;; amdgpu-corpus repo=ROCm/rocThrust kind=compiled arch=gfx90a opt=O3
	.text
	.amdgcn_target "amdgcn-amd-amdhsa--gfx90a"
	.amdhsa_code_object_version 6
	.section	.text._ZN7rocprim17ROCPRIM_400000_NS6detail17trampoline_kernelINS0_14default_configENS1_22reduce_config_selectorIfEEZNS1_11reduce_implILb1ES3_PfS7_fN6thrust23THRUST_200600_302600_NS4plusIfEEEE10hipError_tPvRmT1_T2_T3_mT4_P12ihipStream_tbEUlT_E0_NS1_11comp_targetILNS1_3genE0ELNS1_11target_archE4294967295ELNS1_3gpuE0ELNS1_3repE0EEENS1_30default_config_static_selectorELNS0_4arch9wavefront6targetE1EEEvSF_,"axG",@progbits,_ZN7rocprim17ROCPRIM_400000_NS6detail17trampoline_kernelINS0_14default_configENS1_22reduce_config_selectorIfEEZNS1_11reduce_implILb1ES3_PfS7_fN6thrust23THRUST_200600_302600_NS4plusIfEEEE10hipError_tPvRmT1_T2_T3_mT4_P12ihipStream_tbEUlT_E0_NS1_11comp_targetILNS1_3genE0ELNS1_11target_archE4294967295ELNS1_3gpuE0ELNS1_3repE0EEENS1_30default_config_static_selectorELNS0_4arch9wavefront6targetE1EEEvSF_,comdat
	.protected	_ZN7rocprim17ROCPRIM_400000_NS6detail17trampoline_kernelINS0_14default_configENS1_22reduce_config_selectorIfEEZNS1_11reduce_implILb1ES3_PfS7_fN6thrust23THRUST_200600_302600_NS4plusIfEEEE10hipError_tPvRmT1_T2_T3_mT4_P12ihipStream_tbEUlT_E0_NS1_11comp_targetILNS1_3genE0ELNS1_11target_archE4294967295ELNS1_3gpuE0ELNS1_3repE0EEENS1_30default_config_static_selectorELNS0_4arch9wavefront6targetE1EEEvSF_ ; -- Begin function _ZN7rocprim17ROCPRIM_400000_NS6detail17trampoline_kernelINS0_14default_configENS1_22reduce_config_selectorIfEEZNS1_11reduce_implILb1ES3_PfS7_fN6thrust23THRUST_200600_302600_NS4plusIfEEEE10hipError_tPvRmT1_T2_T3_mT4_P12ihipStream_tbEUlT_E0_NS1_11comp_targetILNS1_3genE0ELNS1_11target_archE4294967295ELNS1_3gpuE0ELNS1_3repE0EEENS1_30default_config_static_selectorELNS0_4arch9wavefront6targetE1EEEvSF_
	.globl	_ZN7rocprim17ROCPRIM_400000_NS6detail17trampoline_kernelINS0_14default_configENS1_22reduce_config_selectorIfEEZNS1_11reduce_implILb1ES3_PfS7_fN6thrust23THRUST_200600_302600_NS4plusIfEEEE10hipError_tPvRmT1_T2_T3_mT4_P12ihipStream_tbEUlT_E0_NS1_11comp_targetILNS1_3genE0ELNS1_11target_archE4294967295ELNS1_3gpuE0ELNS1_3repE0EEENS1_30default_config_static_selectorELNS0_4arch9wavefront6targetE1EEEvSF_
	.p2align	8
	.type	_ZN7rocprim17ROCPRIM_400000_NS6detail17trampoline_kernelINS0_14default_configENS1_22reduce_config_selectorIfEEZNS1_11reduce_implILb1ES3_PfS7_fN6thrust23THRUST_200600_302600_NS4plusIfEEEE10hipError_tPvRmT1_T2_T3_mT4_P12ihipStream_tbEUlT_E0_NS1_11comp_targetILNS1_3genE0ELNS1_11target_archE4294967295ELNS1_3gpuE0ELNS1_3repE0EEENS1_30default_config_static_selectorELNS0_4arch9wavefront6targetE1EEEvSF_,@function
_ZN7rocprim17ROCPRIM_400000_NS6detail17trampoline_kernelINS0_14default_configENS1_22reduce_config_selectorIfEEZNS1_11reduce_implILb1ES3_PfS7_fN6thrust23THRUST_200600_302600_NS4plusIfEEEE10hipError_tPvRmT1_T2_T3_mT4_P12ihipStream_tbEUlT_E0_NS1_11comp_targetILNS1_3genE0ELNS1_11target_archE4294967295ELNS1_3gpuE0ELNS1_3repE0EEENS1_30default_config_static_selectorELNS0_4arch9wavefront6targetE1EEEvSF_: ; @_ZN7rocprim17ROCPRIM_400000_NS6detail17trampoline_kernelINS0_14default_configENS1_22reduce_config_selectorIfEEZNS1_11reduce_implILb1ES3_PfS7_fN6thrust23THRUST_200600_302600_NS4plusIfEEEE10hipError_tPvRmT1_T2_T3_mT4_P12ihipStream_tbEUlT_E0_NS1_11comp_targetILNS1_3genE0ELNS1_11target_archE4294967295ELNS1_3gpuE0ELNS1_3repE0EEENS1_30default_config_static_selectorELNS0_4arch9wavefront6targetE1EEEvSF_
; %bb.0:
	.section	.rodata,"a",@progbits
	.p2align	6, 0x0
	.amdhsa_kernel _ZN7rocprim17ROCPRIM_400000_NS6detail17trampoline_kernelINS0_14default_configENS1_22reduce_config_selectorIfEEZNS1_11reduce_implILb1ES3_PfS7_fN6thrust23THRUST_200600_302600_NS4plusIfEEEE10hipError_tPvRmT1_T2_T3_mT4_P12ihipStream_tbEUlT_E0_NS1_11comp_targetILNS1_3genE0ELNS1_11target_archE4294967295ELNS1_3gpuE0ELNS1_3repE0EEENS1_30default_config_static_selectorELNS0_4arch9wavefront6targetE1EEEvSF_
		.amdhsa_group_segment_fixed_size 0
		.amdhsa_private_segment_fixed_size 0
		.amdhsa_kernarg_size 56
		.amdhsa_user_sgpr_count 6
		.amdhsa_user_sgpr_private_segment_buffer 1
		.amdhsa_user_sgpr_dispatch_ptr 0
		.amdhsa_user_sgpr_queue_ptr 0
		.amdhsa_user_sgpr_kernarg_segment_ptr 1
		.amdhsa_user_sgpr_dispatch_id 0
		.amdhsa_user_sgpr_flat_scratch_init 0
		.amdhsa_user_sgpr_kernarg_preload_length 0
		.amdhsa_user_sgpr_kernarg_preload_offset 0
		.amdhsa_user_sgpr_private_segment_size 0
		.amdhsa_uses_dynamic_stack 0
		.amdhsa_system_sgpr_private_segment_wavefront_offset 0
		.amdhsa_system_sgpr_workgroup_id_x 1
		.amdhsa_system_sgpr_workgroup_id_y 0
		.amdhsa_system_sgpr_workgroup_id_z 0
		.amdhsa_system_sgpr_workgroup_info 0
		.amdhsa_system_vgpr_workitem_id 0
		.amdhsa_next_free_vgpr 1
		.amdhsa_next_free_sgpr 0
		.amdhsa_accum_offset 4
		.amdhsa_reserve_vcc 0
		.amdhsa_reserve_flat_scratch 0
		.amdhsa_float_round_mode_32 0
		.amdhsa_float_round_mode_16_64 0
		.amdhsa_float_denorm_mode_32 3
		.amdhsa_float_denorm_mode_16_64 3
		.amdhsa_dx10_clamp 1
		.amdhsa_ieee_mode 1
		.amdhsa_fp16_overflow 0
		.amdhsa_tg_split 0
		.amdhsa_exception_fp_ieee_invalid_op 0
		.amdhsa_exception_fp_denorm_src 0
		.amdhsa_exception_fp_ieee_div_zero 0
		.amdhsa_exception_fp_ieee_overflow 0
		.amdhsa_exception_fp_ieee_underflow 0
		.amdhsa_exception_fp_ieee_inexact 0
		.amdhsa_exception_int_div_zero 0
	.end_amdhsa_kernel
	.section	.text._ZN7rocprim17ROCPRIM_400000_NS6detail17trampoline_kernelINS0_14default_configENS1_22reduce_config_selectorIfEEZNS1_11reduce_implILb1ES3_PfS7_fN6thrust23THRUST_200600_302600_NS4plusIfEEEE10hipError_tPvRmT1_T2_T3_mT4_P12ihipStream_tbEUlT_E0_NS1_11comp_targetILNS1_3genE0ELNS1_11target_archE4294967295ELNS1_3gpuE0ELNS1_3repE0EEENS1_30default_config_static_selectorELNS0_4arch9wavefront6targetE1EEEvSF_,"axG",@progbits,_ZN7rocprim17ROCPRIM_400000_NS6detail17trampoline_kernelINS0_14default_configENS1_22reduce_config_selectorIfEEZNS1_11reduce_implILb1ES3_PfS7_fN6thrust23THRUST_200600_302600_NS4plusIfEEEE10hipError_tPvRmT1_T2_T3_mT4_P12ihipStream_tbEUlT_E0_NS1_11comp_targetILNS1_3genE0ELNS1_11target_archE4294967295ELNS1_3gpuE0ELNS1_3repE0EEENS1_30default_config_static_selectorELNS0_4arch9wavefront6targetE1EEEvSF_,comdat
.Lfunc_end0:
	.size	_ZN7rocprim17ROCPRIM_400000_NS6detail17trampoline_kernelINS0_14default_configENS1_22reduce_config_selectorIfEEZNS1_11reduce_implILb1ES3_PfS7_fN6thrust23THRUST_200600_302600_NS4plusIfEEEE10hipError_tPvRmT1_T2_T3_mT4_P12ihipStream_tbEUlT_E0_NS1_11comp_targetILNS1_3genE0ELNS1_11target_archE4294967295ELNS1_3gpuE0ELNS1_3repE0EEENS1_30default_config_static_selectorELNS0_4arch9wavefront6targetE1EEEvSF_, .Lfunc_end0-_ZN7rocprim17ROCPRIM_400000_NS6detail17trampoline_kernelINS0_14default_configENS1_22reduce_config_selectorIfEEZNS1_11reduce_implILb1ES3_PfS7_fN6thrust23THRUST_200600_302600_NS4plusIfEEEE10hipError_tPvRmT1_T2_T3_mT4_P12ihipStream_tbEUlT_E0_NS1_11comp_targetILNS1_3genE0ELNS1_11target_archE4294967295ELNS1_3gpuE0ELNS1_3repE0EEENS1_30default_config_static_selectorELNS0_4arch9wavefront6targetE1EEEvSF_
                                        ; -- End function
	.section	.AMDGPU.csdata,"",@progbits
; Kernel info:
; codeLenInByte = 0
; NumSgprs: 4
; NumVgprs: 0
; NumAgprs: 0
; TotalNumVgprs: 0
; ScratchSize: 0
; MemoryBound: 0
; FloatMode: 240
; IeeeMode: 1
; LDSByteSize: 0 bytes/workgroup (compile time only)
; SGPRBlocks: 0
; VGPRBlocks: 0
; NumSGPRsForWavesPerEU: 4
; NumVGPRsForWavesPerEU: 1
; AccumOffset: 4
; Occupancy: 8
; WaveLimiterHint : 0
; COMPUTE_PGM_RSRC2:SCRATCH_EN: 0
; COMPUTE_PGM_RSRC2:USER_SGPR: 6
; COMPUTE_PGM_RSRC2:TRAP_HANDLER: 0
; COMPUTE_PGM_RSRC2:TGID_X_EN: 1
; COMPUTE_PGM_RSRC2:TGID_Y_EN: 0
; COMPUTE_PGM_RSRC2:TGID_Z_EN: 0
; COMPUTE_PGM_RSRC2:TIDIG_COMP_CNT: 0
; COMPUTE_PGM_RSRC3_GFX90A:ACCUM_OFFSET: 0
; COMPUTE_PGM_RSRC3_GFX90A:TG_SPLIT: 0
	.section	.text._ZN7rocprim17ROCPRIM_400000_NS6detail17trampoline_kernelINS0_14default_configENS1_22reduce_config_selectorIfEEZNS1_11reduce_implILb1ES3_PfS7_fN6thrust23THRUST_200600_302600_NS4plusIfEEEE10hipError_tPvRmT1_T2_T3_mT4_P12ihipStream_tbEUlT_E0_NS1_11comp_targetILNS1_3genE5ELNS1_11target_archE942ELNS1_3gpuE9ELNS1_3repE0EEENS1_30default_config_static_selectorELNS0_4arch9wavefront6targetE1EEEvSF_,"axG",@progbits,_ZN7rocprim17ROCPRIM_400000_NS6detail17trampoline_kernelINS0_14default_configENS1_22reduce_config_selectorIfEEZNS1_11reduce_implILb1ES3_PfS7_fN6thrust23THRUST_200600_302600_NS4plusIfEEEE10hipError_tPvRmT1_T2_T3_mT4_P12ihipStream_tbEUlT_E0_NS1_11comp_targetILNS1_3genE5ELNS1_11target_archE942ELNS1_3gpuE9ELNS1_3repE0EEENS1_30default_config_static_selectorELNS0_4arch9wavefront6targetE1EEEvSF_,comdat
	.protected	_ZN7rocprim17ROCPRIM_400000_NS6detail17trampoline_kernelINS0_14default_configENS1_22reduce_config_selectorIfEEZNS1_11reduce_implILb1ES3_PfS7_fN6thrust23THRUST_200600_302600_NS4plusIfEEEE10hipError_tPvRmT1_T2_T3_mT4_P12ihipStream_tbEUlT_E0_NS1_11comp_targetILNS1_3genE5ELNS1_11target_archE942ELNS1_3gpuE9ELNS1_3repE0EEENS1_30default_config_static_selectorELNS0_4arch9wavefront6targetE1EEEvSF_ ; -- Begin function _ZN7rocprim17ROCPRIM_400000_NS6detail17trampoline_kernelINS0_14default_configENS1_22reduce_config_selectorIfEEZNS1_11reduce_implILb1ES3_PfS7_fN6thrust23THRUST_200600_302600_NS4plusIfEEEE10hipError_tPvRmT1_T2_T3_mT4_P12ihipStream_tbEUlT_E0_NS1_11comp_targetILNS1_3genE5ELNS1_11target_archE942ELNS1_3gpuE9ELNS1_3repE0EEENS1_30default_config_static_selectorELNS0_4arch9wavefront6targetE1EEEvSF_
	.globl	_ZN7rocprim17ROCPRIM_400000_NS6detail17trampoline_kernelINS0_14default_configENS1_22reduce_config_selectorIfEEZNS1_11reduce_implILb1ES3_PfS7_fN6thrust23THRUST_200600_302600_NS4plusIfEEEE10hipError_tPvRmT1_T2_T3_mT4_P12ihipStream_tbEUlT_E0_NS1_11comp_targetILNS1_3genE5ELNS1_11target_archE942ELNS1_3gpuE9ELNS1_3repE0EEENS1_30default_config_static_selectorELNS0_4arch9wavefront6targetE1EEEvSF_
	.p2align	8
	.type	_ZN7rocprim17ROCPRIM_400000_NS6detail17trampoline_kernelINS0_14default_configENS1_22reduce_config_selectorIfEEZNS1_11reduce_implILb1ES3_PfS7_fN6thrust23THRUST_200600_302600_NS4plusIfEEEE10hipError_tPvRmT1_T2_T3_mT4_P12ihipStream_tbEUlT_E0_NS1_11comp_targetILNS1_3genE5ELNS1_11target_archE942ELNS1_3gpuE9ELNS1_3repE0EEENS1_30default_config_static_selectorELNS0_4arch9wavefront6targetE1EEEvSF_,@function
_ZN7rocprim17ROCPRIM_400000_NS6detail17trampoline_kernelINS0_14default_configENS1_22reduce_config_selectorIfEEZNS1_11reduce_implILb1ES3_PfS7_fN6thrust23THRUST_200600_302600_NS4plusIfEEEE10hipError_tPvRmT1_T2_T3_mT4_P12ihipStream_tbEUlT_E0_NS1_11comp_targetILNS1_3genE5ELNS1_11target_archE942ELNS1_3gpuE9ELNS1_3repE0EEENS1_30default_config_static_selectorELNS0_4arch9wavefront6targetE1EEEvSF_: ; @_ZN7rocprim17ROCPRIM_400000_NS6detail17trampoline_kernelINS0_14default_configENS1_22reduce_config_selectorIfEEZNS1_11reduce_implILb1ES3_PfS7_fN6thrust23THRUST_200600_302600_NS4plusIfEEEE10hipError_tPvRmT1_T2_T3_mT4_P12ihipStream_tbEUlT_E0_NS1_11comp_targetILNS1_3genE5ELNS1_11target_archE942ELNS1_3gpuE9ELNS1_3repE0EEENS1_30default_config_static_selectorELNS0_4arch9wavefront6targetE1EEEvSF_
; %bb.0:
	.section	.rodata,"a",@progbits
	.p2align	6, 0x0
	.amdhsa_kernel _ZN7rocprim17ROCPRIM_400000_NS6detail17trampoline_kernelINS0_14default_configENS1_22reduce_config_selectorIfEEZNS1_11reduce_implILb1ES3_PfS7_fN6thrust23THRUST_200600_302600_NS4plusIfEEEE10hipError_tPvRmT1_T2_T3_mT4_P12ihipStream_tbEUlT_E0_NS1_11comp_targetILNS1_3genE5ELNS1_11target_archE942ELNS1_3gpuE9ELNS1_3repE0EEENS1_30default_config_static_selectorELNS0_4arch9wavefront6targetE1EEEvSF_
		.amdhsa_group_segment_fixed_size 0
		.amdhsa_private_segment_fixed_size 0
		.amdhsa_kernarg_size 56
		.amdhsa_user_sgpr_count 6
		.amdhsa_user_sgpr_private_segment_buffer 1
		.amdhsa_user_sgpr_dispatch_ptr 0
		.amdhsa_user_sgpr_queue_ptr 0
		.amdhsa_user_sgpr_kernarg_segment_ptr 1
		.amdhsa_user_sgpr_dispatch_id 0
		.amdhsa_user_sgpr_flat_scratch_init 0
		.amdhsa_user_sgpr_kernarg_preload_length 0
		.amdhsa_user_sgpr_kernarg_preload_offset 0
		.amdhsa_user_sgpr_private_segment_size 0
		.amdhsa_uses_dynamic_stack 0
		.amdhsa_system_sgpr_private_segment_wavefront_offset 0
		.amdhsa_system_sgpr_workgroup_id_x 1
		.amdhsa_system_sgpr_workgroup_id_y 0
		.amdhsa_system_sgpr_workgroup_id_z 0
		.amdhsa_system_sgpr_workgroup_info 0
		.amdhsa_system_vgpr_workitem_id 0
		.amdhsa_next_free_vgpr 1
		.amdhsa_next_free_sgpr 0
		.amdhsa_accum_offset 4
		.amdhsa_reserve_vcc 0
		.amdhsa_reserve_flat_scratch 0
		.amdhsa_float_round_mode_32 0
		.amdhsa_float_round_mode_16_64 0
		.amdhsa_float_denorm_mode_32 3
		.amdhsa_float_denorm_mode_16_64 3
		.amdhsa_dx10_clamp 1
		.amdhsa_ieee_mode 1
		.amdhsa_fp16_overflow 0
		.amdhsa_tg_split 0
		.amdhsa_exception_fp_ieee_invalid_op 0
		.amdhsa_exception_fp_denorm_src 0
		.amdhsa_exception_fp_ieee_div_zero 0
		.amdhsa_exception_fp_ieee_overflow 0
		.amdhsa_exception_fp_ieee_underflow 0
		.amdhsa_exception_fp_ieee_inexact 0
		.amdhsa_exception_int_div_zero 0
	.end_amdhsa_kernel
	.section	.text._ZN7rocprim17ROCPRIM_400000_NS6detail17trampoline_kernelINS0_14default_configENS1_22reduce_config_selectorIfEEZNS1_11reduce_implILb1ES3_PfS7_fN6thrust23THRUST_200600_302600_NS4plusIfEEEE10hipError_tPvRmT1_T2_T3_mT4_P12ihipStream_tbEUlT_E0_NS1_11comp_targetILNS1_3genE5ELNS1_11target_archE942ELNS1_3gpuE9ELNS1_3repE0EEENS1_30default_config_static_selectorELNS0_4arch9wavefront6targetE1EEEvSF_,"axG",@progbits,_ZN7rocprim17ROCPRIM_400000_NS6detail17trampoline_kernelINS0_14default_configENS1_22reduce_config_selectorIfEEZNS1_11reduce_implILb1ES3_PfS7_fN6thrust23THRUST_200600_302600_NS4plusIfEEEE10hipError_tPvRmT1_T2_T3_mT4_P12ihipStream_tbEUlT_E0_NS1_11comp_targetILNS1_3genE5ELNS1_11target_archE942ELNS1_3gpuE9ELNS1_3repE0EEENS1_30default_config_static_selectorELNS0_4arch9wavefront6targetE1EEEvSF_,comdat
.Lfunc_end1:
	.size	_ZN7rocprim17ROCPRIM_400000_NS6detail17trampoline_kernelINS0_14default_configENS1_22reduce_config_selectorIfEEZNS1_11reduce_implILb1ES3_PfS7_fN6thrust23THRUST_200600_302600_NS4plusIfEEEE10hipError_tPvRmT1_T2_T3_mT4_P12ihipStream_tbEUlT_E0_NS1_11comp_targetILNS1_3genE5ELNS1_11target_archE942ELNS1_3gpuE9ELNS1_3repE0EEENS1_30default_config_static_selectorELNS0_4arch9wavefront6targetE1EEEvSF_, .Lfunc_end1-_ZN7rocprim17ROCPRIM_400000_NS6detail17trampoline_kernelINS0_14default_configENS1_22reduce_config_selectorIfEEZNS1_11reduce_implILb1ES3_PfS7_fN6thrust23THRUST_200600_302600_NS4plusIfEEEE10hipError_tPvRmT1_T2_T3_mT4_P12ihipStream_tbEUlT_E0_NS1_11comp_targetILNS1_3genE5ELNS1_11target_archE942ELNS1_3gpuE9ELNS1_3repE0EEENS1_30default_config_static_selectorELNS0_4arch9wavefront6targetE1EEEvSF_
                                        ; -- End function
	.section	.AMDGPU.csdata,"",@progbits
; Kernel info:
; codeLenInByte = 0
; NumSgprs: 4
; NumVgprs: 0
; NumAgprs: 0
; TotalNumVgprs: 0
; ScratchSize: 0
; MemoryBound: 0
; FloatMode: 240
; IeeeMode: 1
; LDSByteSize: 0 bytes/workgroup (compile time only)
; SGPRBlocks: 0
; VGPRBlocks: 0
; NumSGPRsForWavesPerEU: 4
; NumVGPRsForWavesPerEU: 1
; AccumOffset: 4
; Occupancy: 8
; WaveLimiterHint : 0
; COMPUTE_PGM_RSRC2:SCRATCH_EN: 0
; COMPUTE_PGM_RSRC2:USER_SGPR: 6
; COMPUTE_PGM_RSRC2:TRAP_HANDLER: 0
; COMPUTE_PGM_RSRC2:TGID_X_EN: 1
; COMPUTE_PGM_RSRC2:TGID_Y_EN: 0
; COMPUTE_PGM_RSRC2:TGID_Z_EN: 0
; COMPUTE_PGM_RSRC2:TIDIG_COMP_CNT: 0
; COMPUTE_PGM_RSRC3_GFX90A:ACCUM_OFFSET: 0
; COMPUTE_PGM_RSRC3_GFX90A:TG_SPLIT: 0
	.section	.text._ZN7rocprim17ROCPRIM_400000_NS6detail17trampoline_kernelINS0_14default_configENS1_22reduce_config_selectorIfEEZNS1_11reduce_implILb1ES3_PfS7_fN6thrust23THRUST_200600_302600_NS4plusIfEEEE10hipError_tPvRmT1_T2_T3_mT4_P12ihipStream_tbEUlT_E0_NS1_11comp_targetILNS1_3genE4ELNS1_11target_archE910ELNS1_3gpuE8ELNS1_3repE0EEENS1_30default_config_static_selectorELNS0_4arch9wavefront6targetE1EEEvSF_,"axG",@progbits,_ZN7rocprim17ROCPRIM_400000_NS6detail17trampoline_kernelINS0_14default_configENS1_22reduce_config_selectorIfEEZNS1_11reduce_implILb1ES3_PfS7_fN6thrust23THRUST_200600_302600_NS4plusIfEEEE10hipError_tPvRmT1_T2_T3_mT4_P12ihipStream_tbEUlT_E0_NS1_11comp_targetILNS1_3genE4ELNS1_11target_archE910ELNS1_3gpuE8ELNS1_3repE0EEENS1_30default_config_static_selectorELNS0_4arch9wavefront6targetE1EEEvSF_,comdat
	.protected	_ZN7rocprim17ROCPRIM_400000_NS6detail17trampoline_kernelINS0_14default_configENS1_22reduce_config_selectorIfEEZNS1_11reduce_implILb1ES3_PfS7_fN6thrust23THRUST_200600_302600_NS4plusIfEEEE10hipError_tPvRmT1_T2_T3_mT4_P12ihipStream_tbEUlT_E0_NS1_11comp_targetILNS1_3genE4ELNS1_11target_archE910ELNS1_3gpuE8ELNS1_3repE0EEENS1_30default_config_static_selectorELNS0_4arch9wavefront6targetE1EEEvSF_ ; -- Begin function _ZN7rocprim17ROCPRIM_400000_NS6detail17trampoline_kernelINS0_14default_configENS1_22reduce_config_selectorIfEEZNS1_11reduce_implILb1ES3_PfS7_fN6thrust23THRUST_200600_302600_NS4plusIfEEEE10hipError_tPvRmT1_T2_T3_mT4_P12ihipStream_tbEUlT_E0_NS1_11comp_targetILNS1_3genE4ELNS1_11target_archE910ELNS1_3gpuE8ELNS1_3repE0EEENS1_30default_config_static_selectorELNS0_4arch9wavefront6targetE1EEEvSF_
	.globl	_ZN7rocprim17ROCPRIM_400000_NS6detail17trampoline_kernelINS0_14default_configENS1_22reduce_config_selectorIfEEZNS1_11reduce_implILb1ES3_PfS7_fN6thrust23THRUST_200600_302600_NS4plusIfEEEE10hipError_tPvRmT1_T2_T3_mT4_P12ihipStream_tbEUlT_E0_NS1_11comp_targetILNS1_3genE4ELNS1_11target_archE910ELNS1_3gpuE8ELNS1_3repE0EEENS1_30default_config_static_selectorELNS0_4arch9wavefront6targetE1EEEvSF_
	.p2align	8
	.type	_ZN7rocprim17ROCPRIM_400000_NS6detail17trampoline_kernelINS0_14default_configENS1_22reduce_config_selectorIfEEZNS1_11reduce_implILb1ES3_PfS7_fN6thrust23THRUST_200600_302600_NS4plusIfEEEE10hipError_tPvRmT1_T2_T3_mT4_P12ihipStream_tbEUlT_E0_NS1_11comp_targetILNS1_3genE4ELNS1_11target_archE910ELNS1_3gpuE8ELNS1_3repE0EEENS1_30default_config_static_selectorELNS0_4arch9wavefront6targetE1EEEvSF_,@function
_ZN7rocprim17ROCPRIM_400000_NS6detail17trampoline_kernelINS0_14default_configENS1_22reduce_config_selectorIfEEZNS1_11reduce_implILb1ES3_PfS7_fN6thrust23THRUST_200600_302600_NS4plusIfEEEE10hipError_tPvRmT1_T2_T3_mT4_P12ihipStream_tbEUlT_E0_NS1_11comp_targetILNS1_3genE4ELNS1_11target_archE910ELNS1_3gpuE8ELNS1_3repE0EEENS1_30default_config_static_selectorELNS0_4arch9wavefront6targetE1EEEvSF_: ; @_ZN7rocprim17ROCPRIM_400000_NS6detail17trampoline_kernelINS0_14default_configENS1_22reduce_config_selectorIfEEZNS1_11reduce_implILb1ES3_PfS7_fN6thrust23THRUST_200600_302600_NS4plusIfEEEE10hipError_tPvRmT1_T2_T3_mT4_P12ihipStream_tbEUlT_E0_NS1_11comp_targetILNS1_3genE4ELNS1_11target_archE910ELNS1_3gpuE8ELNS1_3repE0EEENS1_30default_config_static_selectorELNS0_4arch9wavefront6targetE1EEEvSF_
; %bb.0:
	s_load_dwordx8 s[12:19], s[4:5], 0x0
	s_load_dwordx4 s[20:23], s[4:5], 0x20
	v_lshlrev_b32_e32 v10, 2, v0
	v_mbcnt_lo_u32_b32 v1, -1, 0
	s_waitcnt lgkmcnt(0)
	s_lshl_b64 s[0:1], s[14:15], 2
	s_add_u32 s10, s12, s0
	s_addc_u32 s11, s13, s1
	s_lshl_b32 s0, s6, 10
	s_mov_b32 s1, 0
	s_lshr_b64 s[2:3], s[16:17], 10
	s_lshl_b64 s[8:9], s[0:1], 2
	s_add_u32 s14, s10, s8
	s_mov_b32 s7, s1
	s_addc_u32 s15, s11, s9
	s_cmp_lg_u64 s[2:3], s[6:7]
	s_cbranch_scc0 .LBB2_6
; %bb.1:
	global_load_dword v2, v10, s[14:15]
	global_load_dword v5, v10, s[14:15] offset:512
	global_load_dword v6, v10, s[14:15] offset:1024
	;; [unrolled: 1-line block ×7, first 2 shown]
	v_mbcnt_hi_u32_b32 v3, -1, v1
	v_lshlrev_b32_e32 v4, 2, v3
	v_cmp_eq_u32_e32 vcc, 0, v3
	s_waitcnt vmcnt(6)
	v_add_f32_e32 v2, v2, v5
	s_waitcnt vmcnt(5)
	v_add_f32_e32 v2, v2, v6
	s_waitcnt vmcnt(4)
	v_add_f32_e32 v2, v2, v7
	s_waitcnt vmcnt(3)
	v_add_f32_e32 v2, v2, v8
	s_waitcnt vmcnt(2)
	v_add_f32_e32 v2, v2, v9
	s_waitcnt vmcnt(1)
	v_add_f32_e32 v2, v2, v11
	s_waitcnt vmcnt(0)
	v_add_f32_e32 v2, v2, v12
	v_or_b32_e32 v5, 0xfc, v4
	s_nop 0
	v_add_f32_dpp v2, v2, v2 quad_perm:[1,0,3,2] row_mask:0xf bank_mask:0xf bound_ctrl:1
	s_nop 1
	v_add_f32_dpp v2, v2, v2 quad_perm:[2,3,0,1] row_mask:0xf bank_mask:0xf bound_ctrl:1
	s_nop 1
	v_add_f32_dpp v2, v2, v2 row_ror:4 row_mask:0xf bank_mask:0xf bound_ctrl:1
	s_nop 1
	v_add_f32_dpp v2, v2, v2 row_ror:8 row_mask:0xf bank_mask:0xf bound_ctrl:1
	s_nop 1
	v_add_f32_dpp v2, v2, v2 row_bcast:15 row_mask:0xf bank_mask:0xf bound_ctrl:1
	s_nop 1
	v_add_f32_dpp v2, v2, v2 row_bcast:31 row_mask:0xf bank_mask:0xf bound_ctrl:1
	ds_bpermute_b32 v2, v5, v2
	s_and_saveexec_b64 s[2:3], vcc
	s_cbranch_execz .LBB2_3
; %bb.2:
	v_lshrrev_b32_e32 v5, 4, v0
	v_and_b32_e32 v5, 4, v5
	s_waitcnt lgkmcnt(0)
	ds_write_b32 v5, v2
.LBB2_3:
	s_or_b64 exec, exec, s[2:3]
	v_cmp_gt_u32_e32 vcc, 64, v0
	s_waitcnt lgkmcnt(0)
	s_barrier
	s_and_saveexec_b64 s[2:3], vcc
	s_cbranch_execz .LBB2_5
; %bb.4:
	v_and_b32_e32 v2, 1, v3
	v_lshlrev_b32_e32 v2, 2, v2
	ds_read_b32 v2, v2
	v_or_b32_e32 v3, 4, v4
	s_waitcnt lgkmcnt(0)
	ds_bpermute_b32 v3, v3, v2
	s_waitcnt lgkmcnt(0)
	v_add_f32_e32 v2, v2, v3
.LBB2_5:
	s_or_b64 exec, exec, s[2:3]
	s_load_dword s26, s[4:5], 0x30
	s_branch .LBB2_28
.LBB2_6:
                                        ; implicit-def: $vgpr2
	s_load_dword s26, s[4:5], 0x30
	s_cbranch_execz .LBB2_28
; %bb.7:
	s_sub_i32 s27, s16, s0
	v_cmp_gt_u32_e32 vcc, s27, v0
                                        ; implicit-def: $vgpr2_vgpr3_vgpr4_vgpr5_vgpr6_vgpr7_vgpr8_vgpr9
	s_and_saveexec_b64 s[0:1], vcc
	s_cbranch_execz .LBB2_9
; %bb.8:
	global_load_dword v2, v10, s[14:15]
.LBB2_9:
	s_or_b64 exec, exec, s[0:1]
	v_or_b32_e32 v11, 0x80, v0
	v_cmp_gt_u32_e32 vcc, s27, v11
	s_and_saveexec_b64 s[0:1], vcc
	s_cbranch_execz .LBB2_11
; %bb.10:
	global_load_dword v3, v10, s[14:15] offset:512
.LBB2_11:
	s_or_b64 exec, exec, s[0:1]
	v_or_b32_e32 v11, 0x100, v0
	v_cmp_gt_u32_e64 s[0:1], s27, v11
	s_and_saveexec_b64 s[2:3], s[0:1]
	s_cbranch_execz .LBB2_13
; %bb.12:
	global_load_dword v4, v10, s[14:15] offset:1024
.LBB2_13:
	s_or_b64 exec, exec, s[2:3]
	v_or_b32_e32 v11, 0x180, v0
	v_cmp_gt_u32_e64 s[2:3], s27, v11
	s_and_saveexec_b64 s[4:5], s[2:3]
	;; [unrolled: 8-line block ×6, first 2 shown]
	s_cbranch_execz .LBB2_23
; %bb.22:
	global_load_dword v9, v10, s[14:15] offset:3584
.LBB2_23:
	s_or_b64 exec, exec, s[24:25]
	s_waitcnt vmcnt(0)
	v_add_f32_e32 v3, v2, v3
	v_cndmask_b32_e32 v2, v2, v3, vcc
	v_add_f32_e32 v3, v4, v2
	v_cndmask_b32_e64 v2, v2, v3, s[0:1]
	v_add_f32_e32 v3, v5, v2
	v_cndmask_b32_e64 v2, v2, v3, s[2:3]
	;; [unrolled: 2-line block ×5, first 2 shown]
	v_add_f32_e32 v3, v9, v2
	v_mbcnt_hi_u32_b32 v1, -1, v1
	v_cndmask_b32_e64 v2, v2, v3, s[12:13]
	v_and_b32_e32 v3, 63, v1
	v_cmp_ne_u32_e32 vcc, 63, v3
	v_addc_co_u32_e32 v4, vcc, 0, v1, vcc
	v_lshlrev_b32_e32 v4, 2, v4
	ds_bpermute_b32 v4, v4, v2
	s_min_u32 s2, s27, 0x80
	v_and_b32_e32 v5, 64, v0
	v_sub_u32_e64 v5, s2, v5 clamp
	v_add_u32_e32 v6, 1, v3
	v_cmp_gt_u32_e64 s[0:1], 62, v3
	v_cmp_lt_u32_e32 vcc, v6, v5
	v_cndmask_b32_e64 v6, 0, 1, s[0:1]
	s_waitcnt lgkmcnt(0)
	v_add_f32_e32 v4, v2, v4
	v_lshlrev_b32_e32 v6, 1, v6
	v_cndmask_b32_e32 v4, v2, v4, vcc
	v_add_lshl_u32 v6, v6, v1, 2
	ds_bpermute_b32 v6, v6, v4
	v_add_u32_e32 v7, 2, v3
	v_cmp_lt_u32_e64 s[0:1], v7, v5
	v_add_u32_e32 v7, 4, v3
	s_waitcnt lgkmcnt(0)
	v_add_f32_e32 v6, v4, v6
	v_cndmask_b32_e64 v4, v4, v6, s[0:1]
	v_cmp_gt_u32_e64 s[0:1], 60, v3
	v_cndmask_b32_e64 v6, 0, 1, s[0:1]
	v_lshlrev_b32_e32 v6, 2, v6
	v_add_lshl_u32 v6, v6, v1, 2
	ds_bpermute_b32 v6, v6, v4
	v_cmp_lt_u32_e64 s[0:1], v7, v5
	v_add_u32_e32 v7, 8, v3
	s_waitcnt lgkmcnt(0)
	v_add_f32_e32 v6, v4, v6
	v_cndmask_b32_e64 v4, v4, v6, s[0:1]
	v_cmp_gt_u32_e64 s[0:1], 56, v3
	v_cndmask_b32_e64 v6, 0, 1, s[0:1]
	v_lshlrev_b32_e32 v6, 3, v6
	v_add_lshl_u32 v6, v6, v1, 2
	ds_bpermute_b32 v6, v6, v4
	;; [unrolled: 10-line block ×3, first 2 shown]
	v_cmp_lt_u32_e64 s[0:1], v7, v5
	s_waitcnt lgkmcnt(0)
	v_add_f32_e32 v6, v4, v6
	v_cndmask_b32_e64 v4, v4, v6, s[0:1]
	v_cmp_gt_u32_e64 s[0:1], 32, v3
	v_cndmask_b32_e64 v6, 0, 1, s[0:1]
	v_lshlrev_b32_e32 v6, 5, v6
	v_add_lshl_u32 v6, v6, v1, 2
	ds_bpermute_b32 v6, v6, v4
	v_add_u32_e32 v3, 32, v3
	v_cmp_lt_u32_e64 s[0:1], v3, v5
	s_waitcnt lgkmcnt(0)
	v_add_f32_e32 v6, v4, v6
	v_cndmask_b32_e64 v3, v4, v6, s[0:1]
	v_cndmask_b32_e32 v2, v2, v3, vcc
	v_cmp_eq_u32_e32 vcc, 0, v1
	s_and_saveexec_b64 s[0:1], vcc
	s_cbranch_execz .LBB2_25
; %bb.24:
	v_lshrrev_b32_e32 v3, 4, v0
	v_and_b32_e32 v3, 4, v3
	ds_write_b32 v3, v2 offset:8
.LBB2_25:
	s_or_b64 exec, exec, s[0:1]
	v_cmp_gt_u32_e32 vcc, 2, v0
	s_waitcnt lgkmcnt(0)
	s_barrier
	s_and_saveexec_b64 s[0:1], vcc
	s_cbranch_execz .LBB2_27
; %bb.26:
	v_lshlrev_b32_e32 v2, 2, v1
	ds_read_b32 v3, v2 offset:8
	v_or_b32_e32 v2, 4, v2
	s_add_i32 s2, s2, 63
	v_and_b32_e32 v1, 1, v1
	s_lshr_b32 s2, s2, 6
	s_waitcnt lgkmcnt(0)
	ds_bpermute_b32 v2, v2, v3
	v_add_u32_e32 v1, 1, v1
	v_cmp_gt_u32_e32 vcc, s2, v1
	s_waitcnt lgkmcnt(0)
	v_add_f32_e32 v2, v3, v2
	v_cndmask_b32_e32 v2, v3, v2, vcc
.LBB2_27:
	s_or_b64 exec, exec, s[0:1]
.LBB2_28:
	v_cmp_eq_u32_e32 vcc, 0, v0
	s_and_saveexec_b64 s[0:1], vcc
	s_cbranch_execnz .LBB2_30
; %bb.29:
	s_endpgm
.LBB2_30:
	s_mul_i32 s0, s22, s21
	s_mul_hi_u32 s1, s22, s20
	s_add_i32 s0, s1, s0
	s_mul_i32 s1, s23, s20
	s_add_i32 s1, s0, s1
	s_mul_i32 s0, s22, s20
	s_lshl_b64 s[0:1], s[0:1], 2
	s_add_u32 s2, s18, s0
	s_addc_u32 s3, s19, s1
	s_cmp_eq_u64 s[16:17], 0
	s_cselect_b64 vcc, -1, 0
	s_lshl_b64 s[0:1], s[6:7], 2
	s_waitcnt lgkmcnt(0)
	v_mov_b32_e32 v0, s26
	s_add_u32 s0, s2, s0
	v_cndmask_b32_e32 v0, v2, v0, vcc
	s_addc_u32 s1, s3, s1
	v_mov_b32_e32 v1, 0
	global_store_dword v1, v0, s[0:1]
	s_endpgm
	.section	.rodata,"a",@progbits
	.p2align	6, 0x0
	.amdhsa_kernel _ZN7rocprim17ROCPRIM_400000_NS6detail17trampoline_kernelINS0_14default_configENS1_22reduce_config_selectorIfEEZNS1_11reduce_implILb1ES3_PfS7_fN6thrust23THRUST_200600_302600_NS4plusIfEEEE10hipError_tPvRmT1_T2_T3_mT4_P12ihipStream_tbEUlT_E0_NS1_11comp_targetILNS1_3genE4ELNS1_11target_archE910ELNS1_3gpuE8ELNS1_3repE0EEENS1_30default_config_static_selectorELNS0_4arch9wavefront6targetE1EEEvSF_
		.amdhsa_group_segment_fixed_size 16
		.amdhsa_private_segment_fixed_size 0
		.amdhsa_kernarg_size 56
		.amdhsa_user_sgpr_count 6
		.amdhsa_user_sgpr_private_segment_buffer 1
		.amdhsa_user_sgpr_dispatch_ptr 0
		.amdhsa_user_sgpr_queue_ptr 0
		.amdhsa_user_sgpr_kernarg_segment_ptr 1
		.amdhsa_user_sgpr_dispatch_id 0
		.amdhsa_user_sgpr_flat_scratch_init 0
		.amdhsa_user_sgpr_kernarg_preload_length 0
		.amdhsa_user_sgpr_kernarg_preload_offset 0
		.amdhsa_user_sgpr_private_segment_size 0
		.amdhsa_uses_dynamic_stack 0
		.amdhsa_system_sgpr_private_segment_wavefront_offset 0
		.amdhsa_system_sgpr_workgroup_id_x 1
		.amdhsa_system_sgpr_workgroup_id_y 0
		.amdhsa_system_sgpr_workgroup_id_z 0
		.amdhsa_system_sgpr_workgroup_info 0
		.amdhsa_system_vgpr_workitem_id 0
		.amdhsa_next_free_vgpr 13
		.amdhsa_next_free_sgpr 28
		.amdhsa_accum_offset 16
		.amdhsa_reserve_vcc 1
		.amdhsa_reserve_flat_scratch 0
		.amdhsa_float_round_mode_32 0
		.amdhsa_float_round_mode_16_64 0
		.amdhsa_float_denorm_mode_32 3
		.amdhsa_float_denorm_mode_16_64 3
		.amdhsa_dx10_clamp 1
		.amdhsa_ieee_mode 1
		.amdhsa_fp16_overflow 0
		.amdhsa_tg_split 0
		.amdhsa_exception_fp_ieee_invalid_op 0
		.amdhsa_exception_fp_denorm_src 0
		.amdhsa_exception_fp_ieee_div_zero 0
		.amdhsa_exception_fp_ieee_overflow 0
		.amdhsa_exception_fp_ieee_underflow 0
		.amdhsa_exception_fp_ieee_inexact 0
		.amdhsa_exception_int_div_zero 0
	.end_amdhsa_kernel
	.section	.text._ZN7rocprim17ROCPRIM_400000_NS6detail17trampoline_kernelINS0_14default_configENS1_22reduce_config_selectorIfEEZNS1_11reduce_implILb1ES3_PfS7_fN6thrust23THRUST_200600_302600_NS4plusIfEEEE10hipError_tPvRmT1_T2_T3_mT4_P12ihipStream_tbEUlT_E0_NS1_11comp_targetILNS1_3genE4ELNS1_11target_archE910ELNS1_3gpuE8ELNS1_3repE0EEENS1_30default_config_static_selectorELNS0_4arch9wavefront6targetE1EEEvSF_,"axG",@progbits,_ZN7rocprim17ROCPRIM_400000_NS6detail17trampoline_kernelINS0_14default_configENS1_22reduce_config_selectorIfEEZNS1_11reduce_implILb1ES3_PfS7_fN6thrust23THRUST_200600_302600_NS4plusIfEEEE10hipError_tPvRmT1_T2_T3_mT4_P12ihipStream_tbEUlT_E0_NS1_11comp_targetILNS1_3genE4ELNS1_11target_archE910ELNS1_3gpuE8ELNS1_3repE0EEENS1_30default_config_static_selectorELNS0_4arch9wavefront6targetE1EEEvSF_,comdat
.Lfunc_end2:
	.size	_ZN7rocprim17ROCPRIM_400000_NS6detail17trampoline_kernelINS0_14default_configENS1_22reduce_config_selectorIfEEZNS1_11reduce_implILb1ES3_PfS7_fN6thrust23THRUST_200600_302600_NS4plusIfEEEE10hipError_tPvRmT1_T2_T3_mT4_P12ihipStream_tbEUlT_E0_NS1_11comp_targetILNS1_3genE4ELNS1_11target_archE910ELNS1_3gpuE8ELNS1_3repE0EEENS1_30default_config_static_selectorELNS0_4arch9wavefront6targetE1EEEvSF_, .Lfunc_end2-_ZN7rocprim17ROCPRIM_400000_NS6detail17trampoline_kernelINS0_14default_configENS1_22reduce_config_selectorIfEEZNS1_11reduce_implILb1ES3_PfS7_fN6thrust23THRUST_200600_302600_NS4plusIfEEEE10hipError_tPvRmT1_T2_T3_mT4_P12ihipStream_tbEUlT_E0_NS1_11comp_targetILNS1_3genE4ELNS1_11target_archE910ELNS1_3gpuE8ELNS1_3repE0EEENS1_30default_config_static_selectorELNS0_4arch9wavefront6targetE1EEEvSF_
                                        ; -- End function
	.section	.AMDGPU.csdata,"",@progbits
; Kernel info:
; codeLenInByte = 1396
; NumSgprs: 32
; NumVgprs: 13
; NumAgprs: 0
; TotalNumVgprs: 13
; ScratchSize: 0
; MemoryBound: 0
; FloatMode: 240
; IeeeMode: 1
; LDSByteSize: 16 bytes/workgroup (compile time only)
; SGPRBlocks: 3
; VGPRBlocks: 1
; NumSGPRsForWavesPerEU: 32
; NumVGPRsForWavesPerEU: 13
; AccumOffset: 16
; Occupancy: 8
; WaveLimiterHint : 1
; COMPUTE_PGM_RSRC2:SCRATCH_EN: 0
; COMPUTE_PGM_RSRC2:USER_SGPR: 6
; COMPUTE_PGM_RSRC2:TRAP_HANDLER: 0
; COMPUTE_PGM_RSRC2:TGID_X_EN: 1
; COMPUTE_PGM_RSRC2:TGID_Y_EN: 0
; COMPUTE_PGM_RSRC2:TGID_Z_EN: 0
; COMPUTE_PGM_RSRC2:TIDIG_COMP_CNT: 0
; COMPUTE_PGM_RSRC3_GFX90A:ACCUM_OFFSET: 3
; COMPUTE_PGM_RSRC3_GFX90A:TG_SPLIT: 0
	.section	.text._ZN7rocprim17ROCPRIM_400000_NS6detail17trampoline_kernelINS0_14default_configENS1_22reduce_config_selectorIfEEZNS1_11reduce_implILb1ES3_PfS7_fN6thrust23THRUST_200600_302600_NS4plusIfEEEE10hipError_tPvRmT1_T2_T3_mT4_P12ihipStream_tbEUlT_E0_NS1_11comp_targetILNS1_3genE3ELNS1_11target_archE908ELNS1_3gpuE7ELNS1_3repE0EEENS1_30default_config_static_selectorELNS0_4arch9wavefront6targetE1EEEvSF_,"axG",@progbits,_ZN7rocprim17ROCPRIM_400000_NS6detail17trampoline_kernelINS0_14default_configENS1_22reduce_config_selectorIfEEZNS1_11reduce_implILb1ES3_PfS7_fN6thrust23THRUST_200600_302600_NS4plusIfEEEE10hipError_tPvRmT1_T2_T3_mT4_P12ihipStream_tbEUlT_E0_NS1_11comp_targetILNS1_3genE3ELNS1_11target_archE908ELNS1_3gpuE7ELNS1_3repE0EEENS1_30default_config_static_selectorELNS0_4arch9wavefront6targetE1EEEvSF_,comdat
	.protected	_ZN7rocprim17ROCPRIM_400000_NS6detail17trampoline_kernelINS0_14default_configENS1_22reduce_config_selectorIfEEZNS1_11reduce_implILb1ES3_PfS7_fN6thrust23THRUST_200600_302600_NS4plusIfEEEE10hipError_tPvRmT1_T2_T3_mT4_P12ihipStream_tbEUlT_E0_NS1_11comp_targetILNS1_3genE3ELNS1_11target_archE908ELNS1_3gpuE7ELNS1_3repE0EEENS1_30default_config_static_selectorELNS0_4arch9wavefront6targetE1EEEvSF_ ; -- Begin function _ZN7rocprim17ROCPRIM_400000_NS6detail17trampoline_kernelINS0_14default_configENS1_22reduce_config_selectorIfEEZNS1_11reduce_implILb1ES3_PfS7_fN6thrust23THRUST_200600_302600_NS4plusIfEEEE10hipError_tPvRmT1_T2_T3_mT4_P12ihipStream_tbEUlT_E0_NS1_11comp_targetILNS1_3genE3ELNS1_11target_archE908ELNS1_3gpuE7ELNS1_3repE0EEENS1_30default_config_static_selectorELNS0_4arch9wavefront6targetE1EEEvSF_
	.globl	_ZN7rocprim17ROCPRIM_400000_NS6detail17trampoline_kernelINS0_14default_configENS1_22reduce_config_selectorIfEEZNS1_11reduce_implILb1ES3_PfS7_fN6thrust23THRUST_200600_302600_NS4plusIfEEEE10hipError_tPvRmT1_T2_T3_mT4_P12ihipStream_tbEUlT_E0_NS1_11comp_targetILNS1_3genE3ELNS1_11target_archE908ELNS1_3gpuE7ELNS1_3repE0EEENS1_30default_config_static_selectorELNS0_4arch9wavefront6targetE1EEEvSF_
	.p2align	8
	.type	_ZN7rocprim17ROCPRIM_400000_NS6detail17trampoline_kernelINS0_14default_configENS1_22reduce_config_selectorIfEEZNS1_11reduce_implILb1ES3_PfS7_fN6thrust23THRUST_200600_302600_NS4plusIfEEEE10hipError_tPvRmT1_T2_T3_mT4_P12ihipStream_tbEUlT_E0_NS1_11comp_targetILNS1_3genE3ELNS1_11target_archE908ELNS1_3gpuE7ELNS1_3repE0EEENS1_30default_config_static_selectorELNS0_4arch9wavefront6targetE1EEEvSF_,@function
_ZN7rocprim17ROCPRIM_400000_NS6detail17trampoline_kernelINS0_14default_configENS1_22reduce_config_selectorIfEEZNS1_11reduce_implILb1ES3_PfS7_fN6thrust23THRUST_200600_302600_NS4plusIfEEEE10hipError_tPvRmT1_T2_T3_mT4_P12ihipStream_tbEUlT_E0_NS1_11comp_targetILNS1_3genE3ELNS1_11target_archE908ELNS1_3gpuE7ELNS1_3repE0EEENS1_30default_config_static_selectorELNS0_4arch9wavefront6targetE1EEEvSF_: ; @_ZN7rocprim17ROCPRIM_400000_NS6detail17trampoline_kernelINS0_14default_configENS1_22reduce_config_selectorIfEEZNS1_11reduce_implILb1ES3_PfS7_fN6thrust23THRUST_200600_302600_NS4plusIfEEEE10hipError_tPvRmT1_T2_T3_mT4_P12ihipStream_tbEUlT_E0_NS1_11comp_targetILNS1_3genE3ELNS1_11target_archE908ELNS1_3gpuE7ELNS1_3repE0EEENS1_30default_config_static_selectorELNS0_4arch9wavefront6targetE1EEEvSF_
; %bb.0:
	.section	.rodata,"a",@progbits
	.p2align	6, 0x0
	.amdhsa_kernel _ZN7rocprim17ROCPRIM_400000_NS6detail17trampoline_kernelINS0_14default_configENS1_22reduce_config_selectorIfEEZNS1_11reduce_implILb1ES3_PfS7_fN6thrust23THRUST_200600_302600_NS4plusIfEEEE10hipError_tPvRmT1_T2_T3_mT4_P12ihipStream_tbEUlT_E0_NS1_11comp_targetILNS1_3genE3ELNS1_11target_archE908ELNS1_3gpuE7ELNS1_3repE0EEENS1_30default_config_static_selectorELNS0_4arch9wavefront6targetE1EEEvSF_
		.amdhsa_group_segment_fixed_size 0
		.amdhsa_private_segment_fixed_size 0
		.amdhsa_kernarg_size 56
		.amdhsa_user_sgpr_count 6
		.amdhsa_user_sgpr_private_segment_buffer 1
		.amdhsa_user_sgpr_dispatch_ptr 0
		.amdhsa_user_sgpr_queue_ptr 0
		.amdhsa_user_sgpr_kernarg_segment_ptr 1
		.amdhsa_user_sgpr_dispatch_id 0
		.amdhsa_user_sgpr_flat_scratch_init 0
		.amdhsa_user_sgpr_kernarg_preload_length 0
		.amdhsa_user_sgpr_kernarg_preload_offset 0
		.amdhsa_user_sgpr_private_segment_size 0
		.amdhsa_uses_dynamic_stack 0
		.amdhsa_system_sgpr_private_segment_wavefront_offset 0
		.amdhsa_system_sgpr_workgroup_id_x 1
		.amdhsa_system_sgpr_workgroup_id_y 0
		.amdhsa_system_sgpr_workgroup_id_z 0
		.amdhsa_system_sgpr_workgroup_info 0
		.amdhsa_system_vgpr_workitem_id 0
		.amdhsa_next_free_vgpr 1
		.amdhsa_next_free_sgpr 0
		.amdhsa_accum_offset 4
		.amdhsa_reserve_vcc 0
		.amdhsa_reserve_flat_scratch 0
		.amdhsa_float_round_mode_32 0
		.amdhsa_float_round_mode_16_64 0
		.amdhsa_float_denorm_mode_32 3
		.amdhsa_float_denorm_mode_16_64 3
		.amdhsa_dx10_clamp 1
		.amdhsa_ieee_mode 1
		.amdhsa_fp16_overflow 0
		.amdhsa_tg_split 0
		.amdhsa_exception_fp_ieee_invalid_op 0
		.amdhsa_exception_fp_denorm_src 0
		.amdhsa_exception_fp_ieee_div_zero 0
		.amdhsa_exception_fp_ieee_overflow 0
		.amdhsa_exception_fp_ieee_underflow 0
		.amdhsa_exception_fp_ieee_inexact 0
		.amdhsa_exception_int_div_zero 0
	.end_amdhsa_kernel
	.section	.text._ZN7rocprim17ROCPRIM_400000_NS6detail17trampoline_kernelINS0_14default_configENS1_22reduce_config_selectorIfEEZNS1_11reduce_implILb1ES3_PfS7_fN6thrust23THRUST_200600_302600_NS4plusIfEEEE10hipError_tPvRmT1_T2_T3_mT4_P12ihipStream_tbEUlT_E0_NS1_11comp_targetILNS1_3genE3ELNS1_11target_archE908ELNS1_3gpuE7ELNS1_3repE0EEENS1_30default_config_static_selectorELNS0_4arch9wavefront6targetE1EEEvSF_,"axG",@progbits,_ZN7rocprim17ROCPRIM_400000_NS6detail17trampoline_kernelINS0_14default_configENS1_22reduce_config_selectorIfEEZNS1_11reduce_implILb1ES3_PfS7_fN6thrust23THRUST_200600_302600_NS4plusIfEEEE10hipError_tPvRmT1_T2_T3_mT4_P12ihipStream_tbEUlT_E0_NS1_11comp_targetILNS1_3genE3ELNS1_11target_archE908ELNS1_3gpuE7ELNS1_3repE0EEENS1_30default_config_static_selectorELNS0_4arch9wavefront6targetE1EEEvSF_,comdat
.Lfunc_end3:
	.size	_ZN7rocprim17ROCPRIM_400000_NS6detail17trampoline_kernelINS0_14default_configENS1_22reduce_config_selectorIfEEZNS1_11reduce_implILb1ES3_PfS7_fN6thrust23THRUST_200600_302600_NS4plusIfEEEE10hipError_tPvRmT1_T2_T3_mT4_P12ihipStream_tbEUlT_E0_NS1_11comp_targetILNS1_3genE3ELNS1_11target_archE908ELNS1_3gpuE7ELNS1_3repE0EEENS1_30default_config_static_selectorELNS0_4arch9wavefront6targetE1EEEvSF_, .Lfunc_end3-_ZN7rocprim17ROCPRIM_400000_NS6detail17trampoline_kernelINS0_14default_configENS1_22reduce_config_selectorIfEEZNS1_11reduce_implILb1ES3_PfS7_fN6thrust23THRUST_200600_302600_NS4plusIfEEEE10hipError_tPvRmT1_T2_T3_mT4_P12ihipStream_tbEUlT_E0_NS1_11comp_targetILNS1_3genE3ELNS1_11target_archE908ELNS1_3gpuE7ELNS1_3repE0EEENS1_30default_config_static_selectorELNS0_4arch9wavefront6targetE1EEEvSF_
                                        ; -- End function
	.section	.AMDGPU.csdata,"",@progbits
; Kernel info:
; codeLenInByte = 0
; NumSgprs: 4
; NumVgprs: 0
; NumAgprs: 0
; TotalNumVgprs: 0
; ScratchSize: 0
; MemoryBound: 0
; FloatMode: 240
; IeeeMode: 1
; LDSByteSize: 0 bytes/workgroup (compile time only)
; SGPRBlocks: 0
; VGPRBlocks: 0
; NumSGPRsForWavesPerEU: 4
; NumVGPRsForWavesPerEU: 1
; AccumOffset: 4
; Occupancy: 8
; WaveLimiterHint : 0
; COMPUTE_PGM_RSRC2:SCRATCH_EN: 0
; COMPUTE_PGM_RSRC2:USER_SGPR: 6
; COMPUTE_PGM_RSRC2:TRAP_HANDLER: 0
; COMPUTE_PGM_RSRC2:TGID_X_EN: 1
; COMPUTE_PGM_RSRC2:TGID_Y_EN: 0
; COMPUTE_PGM_RSRC2:TGID_Z_EN: 0
; COMPUTE_PGM_RSRC2:TIDIG_COMP_CNT: 0
; COMPUTE_PGM_RSRC3_GFX90A:ACCUM_OFFSET: 0
; COMPUTE_PGM_RSRC3_GFX90A:TG_SPLIT: 0
	.section	.text._ZN7rocprim17ROCPRIM_400000_NS6detail17trampoline_kernelINS0_14default_configENS1_22reduce_config_selectorIfEEZNS1_11reduce_implILb1ES3_PfS7_fN6thrust23THRUST_200600_302600_NS4plusIfEEEE10hipError_tPvRmT1_T2_T3_mT4_P12ihipStream_tbEUlT_E0_NS1_11comp_targetILNS1_3genE2ELNS1_11target_archE906ELNS1_3gpuE6ELNS1_3repE0EEENS1_30default_config_static_selectorELNS0_4arch9wavefront6targetE1EEEvSF_,"axG",@progbits,_ZN7rocprim17ROCPRIM_400000_NS6detail17trampoline_kernelINS0_14default_configENS1_22reduce_config_selectorIfEEZNS1_11reduce_implILb1ES3_PfS7_fN6thrust23THRUST_200600_302600_NS4plusIfEEEE10hipError_tPvRmT1_T2_T3_mT4_P12ihipStream_tbEUlT_E0_NS1_11comp_targetILNS1_3genE2ELNS1_11target_archE906ELNS1_3gpuE6ELNS1_3repE0EEENS1_30default_config_static_selectorELNS0_4arch9wavefront6targetE1EEEvSF_,comdat
	.protected	_ZN7rocprim17ROCPRIM_400000_NS6detail17trampoline_kernelINS0_14default_configENS1_22reduce_config_selectorIfEEZNS1_11reduce_implILb1ES3_PfS7_fN6thrust23THRUST_200600_302600_NS4plusIfEEEE10hipError_tPvRmT1_T2_T3_mT4_P12ihipStream_tbEUlT_E0_NS1_11comp_targetILNS1_3genE2ELNS1_11target_archE906ELNS1_3gpuE6ELNS1_3repE0EEENS1_30default_config_static_selectorELNS0_4arch9wavefront6targetE1EEEvSF_ ; -- Begin function _ZN7rocprim17ROCPRIM_400000_NS6detail17trampoline_kernelINS0_14default_configENS1_22reduce_config_selectorIfEEZNS1_11reduce_implILb1ES3_PfS7_fN6thrust23THRUST_200600_302600_NS4plusIfEEEE10hipError_tPvRmT1_T2_T3_mT4_P12ihipStream_tbEUlT_E0_NS1_11comp_targetILNS1_3genE2ELNS1_11target_archE906ELNS1_3gpuE6ELNS1_3repE0EEENS1_30default_config_static_selectorELNS0_4arch9wavefront6targetE1EEEvSF_
	.globl	_ZN7rocprim17ROCPRIM_400000_NS6detail17trampoline_kernelINS0_14default_configENS1_22reduce_config_selectorIfEEZNS1_11reduce_implILb1ES3_PfS7_fN6thrust23THRUST_200600_302600_NS4plusIfEEEE10hipError_tPvRmT1_T2_T3_mT4_P12ihipStream_tbEUlT_E0_NS1_11comp_targetILNS1_3genE2ELNS1_11target_archE906ELNS1_3gpuE6ELNS1_3repE0EEENS1_30default_config_static_selectorELNS0_4arch9wavefront6targetE1EEEvSF_
	.p2align	8
	.type	_ZN7rocprim17ROCPRIM_400000_NS6detail17trampoline_kernelINS0_14default_configENS1_22reduce_config_selectorIfEEZNS1_11reduce_implILb1ES3_PfS7_fN6thrust23THRUST_200600_302600_NS4plusIfEEEE10hipError_tPvRmT1_T2_T3_mT4_P12ihipStream_tbEUlT_E0_NS1_11comp_targetILNS1_3genE2ELNS1_11target_archE906ELNS1_3gpuE6ELNS1_3repE0EEENS1_30default_config_static_selectorELNS0_4arch9wavefront6targetE1EEEvSF_,@function
_ZN7rocprim17ROCPRIM_400000_NS6detail17trampoline_kernelINS0_14default_configENS1_22reduce_config_selectorIfEEZNS1_11reduce_implILb1ES3_PfS7_fN6thrust23THRUST_200600_302600_NS4plusIfEEEE10hipError_tPvRmT1_T2_T3_mT4_P12ihipStream_tbEUlT_E0_NS1_11comp_targetILNS1_3genE2ELNS1_11target_archE906ELNS1_3gpuE6ELNS1_3repE0EEENS1_30default_config_static_selectorELNS0_4arch9wavefront6targetE1EEEvSF_: ; @_ZN7rocprim17ROCPRIM_400000_NS6detail17trampoline_kernelINS0_14default_configENS1_22reduce_config_selectorIfEEZNS1_11reduce_implILb1ES3_PfS7_fN6thrust23THRUST_200600_302600_NS4plusIfEEEE10hipError_tPvRmT1_T2_T3_mT4_P12ihipStream_tbEUlT_E0_NS1_11comp_targetILNS1_3genE2ELNS1_11target_archE906ELNS1_3gpuE6ELNS1_3repE0EEENS1_30default_config_static_selectorELNS0_4arch9wavefront6targetE1EEEvSF_
; %bb.0:
	.section	.rodata,"a",@progbits
	.p2align	6, 0x0
	.amdhsa_kernel _ZN7rocprim17ROCPRIM_400000_NS6detail17trampoline_kernelINS0_14default_configENS1_22reduce_config_selectorIfEEZNS1_11reduce_implILb1ES3_PfS7_fN6thrust23THRUST_200600_302600_NS4plusIfEEEE10hipError_tPvRmT1_T2_T3_mT4_P12ihipStream_tbEUlT_E0_NS1_11comp_targetILNS1_3genE2ELNS1_11target_archE906ELNS1_3gpuE6ELNS1_3repE0EEENS1_30default_config_static_selectorELNS0_4arch9wavefront6targetE1EEEvSF_
		.amdhsa_group_segment_fixed_size 0
		.amdhsa_private_segment_fixed_size 0
		.amdhsa_kernarg_size 56
		.amdhsa_user_sgpr_count 6
		.amdhsa_user_sgpr_private_segment_buffer 1
		.amdhsa_user_sgpr_dispatch_ptr 0
		.amdhsa_user_sgpr_queue_ptr 0
		.amdhsa_user_sgpr_kernarg_segment_ptr 1
		.amdhsa_user_sgpr_dispatch_id 0
		.amdhsa_user_sgpr_flat_scratch_init 0
		.amdhsa_user_sgpr_kernarg_preload_length 0
		.amdhsa_user_sgpr_kernarg_preload_offset 0
		.amdhsa_user_sgpr_private_segment_size 0
		.amdhsa_uses_dynamic_stack 0
		.amdhsa_system_sgpr_private_segment_wavefront_offset 0
		.amdhsa_system_sgpr_workgroup_id_x 1
		.amdhsa_system_sgpr_workgroup_id_y 0
		.amdhsa_system_sgpr_workgroup_id_z 0
		.amdhsa_system_sgpr_workgroup_info 0
		.amdhsa_system_vgpr_workitem_id 0
		.amdhsa_next_free_vgpr 1
		.amdhsa_next_free_sgpr 0
		.amdhsa_accum_offset 4
		.amdhsa_reserve_vcc 0
		.amdhsa_reserve_flat_scratch 0
		.amdhsa_float_round_mode_32 0
		.amdhsa_float_round_mode_16_64 0
		.amdhsa_float_denorm_mode_32 3
		.amdhsa_float_denorm_mode_16_64 3
		.amdhsa_dx10_clamp 1
		.amdhsa_ieee_mode 1
		.amdhsa_fp16_overflow 0
		.amdhsa_tg_split 0
		.amdhsa_exception_fp_ieee_invalid_op 0
		.amdhsa_exception_fp_denorm_src 0
		.amdhsa_exception_fp_ieee_div_zero 0
		.amdhsa_exception_fp_ieee_overflow 0
		.amdhsa_exception_fp_ieee_underflow 0
		.amdhsa_exception_fp_ieee_inexact 0
		.amdhsa_exception_int_div_zero 0
	.end_amdhsa_kernel
	.section	.text._ZN7rocprim17ROCPRIM_400000_NS6detail17trampoline_kernelINS0_14default_configENS1_22reduce_config_selectorIfEEZNS1_11reduce_implILb1ES3_PfS7_fN6thrust23THRUST_200600_302600_NS4plusIfEEEE10hipError_tPvRmT1_T2_T3_mT4_P12ihipStream_tbEUlT_E0_NS1_11comp_targetILNS1_3genE2ELNS1_11target_archE906ELNS1_3gpuE6ELNS1_3repE0EEENS1_30default_config_static_selectorELNS0_4arch9wavefront6targetE1EEEvSF_,"axG",@progbits,_ZN7rocprim17ROCPRIM_400000_NS6detail17trampoline_kernelINS0_14default_configENS1_22reduce_config_selectorIfEEZNS1_11reduce_implILb1ES3_PfS7_fN6thrust23THRUST_200600_302600_NS4plusIfEEEE10hipError_tPvRmT1_T2_T3_mT4_P12ihipStream_tbEUlT_E0_NS1_11comp_targetILNS1_3genE2ELNS1_11target_archE906ELNS1_3gpuE6ELNS1_3repE0EEENS1_30default_config_static_selectorELNS0_4arch9wavefront6targetE1EEEvSF_,comdat
.Lfunc_end4:
	.size	_ZN7rocprim17ROCPRIM_400000_NS6detail17trampoline_kernelINS0_14default_configENS1_22reduce_config_selectorIfEEZNS1_11reduce_implILb1ES3_PfS7_fN6thrust23THRUST_200600_302600_NS4plusIfEEEE10hipError_tPvRmT1_T2_T3_mT4_P12ihipStream_tbEUlT_E0_NS1_11comp_targetILNS1_3genE2ELNS1_11target_archE906ELNS1_3gpuE6ELNS1_3repE0EEENS1_30default_config_static_selectorELNS0_4arch9wavefront6targetE1EEEvSF_, .Lfunc_end4-_ZN7rocprim17ROCPRIM_400000_NS6detail17trampoline_kernelINS0_14default_configENS1_22reduce_config_selectorIfEEZNS1_11reduce_implILb1ES3_PfS7_fN6thrust23THRUST_200600_302600_NS4plusIfEEEE10hipError_tPvRmT1_T2_T3_mT4_P12ihipStream_tbEUlT_E0_NS1_11comp_targetILNS1_3genE2ELNS1_11target_archE906ELNS1_3gpuE6ELNS1_3repE0EEENS1_30default_config_static_selectorELNS0_4arch9wavefront6targetE1EEEvSF_
                                        ; -- End function
	.section	.AMDGPU.csdata,"",@progbits
; Kernel info:
; codeLenInByte = 0
; NumSgprs: 4
; NumVgprs: 0
; NumAgprs: 0
; TotalNumVgprs: 0
; ScratchSize: 0
; MemoryBound: 0
; FloatMode: 240
; IeeeMode: 1
; LDSByteSize: 0 bytes/workgroup (compile time only)
; SGPRBlocks: 0
; VGPRBlocks: 0
; NumSGPRsForWavesPerEU: 4
; NumVGPRsForWavesPerEU: 1
; AccumOffset: 4
; Occupancy: 8
; WaveLimiterHint : 0
; COMPUTE_PGM_RSRC2:SCRATCH_EN: 0
; COMPUTE_PGM_RSRC2:USER_SGPR: 6
; COMPUTE_PGM_RSRC2:TRAP_HANDLER: 0
; COMPUTE_PGM_RSRC2:TGID_X_EN: 1
; COMPUTE_PGM_RSRC2:TGID_Y_EN: 0
; COMPUTE_PGM_RSRC2:TGID_Z_EN: 0
; COMPUTE_PGM_RSRC2:TIDIG_COMP_CNT: 0
; COMPUTE_PGM_RSRC3_GFX90A:ACCUM_OFFSET: 0
; COMPUTE_PGM_RSRC3_GFX90A:TG_SPLIT: 0
	.section	.text._ZN7rocprim17ROCPRIM_400000_NS6detail17trampoline_kernelINS0_14default_configENS1_22reduce_config_selectorIfEEZNS1_11reduce_implILb1ES3_PfS7_fN6thrust23THRUST_200600_302600_NS4plusIfEEEE10hipError_tPvRmT1_T2_T3_mT4_P12ihipStream_tbEUlT_E0_NS1_11comp_targetILNS1_3genE10ELNS1_11target_archE1201ELNS1_3gpuE5ELNS1_3repE0EEENS1_30default_config_static_selectorELNS0_4arch9wavefront6targetE1EEEvSF_,"axG",@progbits,_ZN7rocprim17ROCPRIM_400000_NS6detail17trampoline_kernelINS0_14default_configENS1_22reduce_config_selectorIfEEZNS1_11reduce_implILb1ES3_PfS7_fN6thrust23THRUST_200600_302600_NS4plusIfEEEE10hipError_tPvRmT1_T2_T3_mT4_P12ihipStream_tbEUlT_E0_NS1_11comp_targetILNS1_3genE10ELNS1_11target_archE1201ELNS1_3gpuE5ELNS1_3repE0EEENS1_30default_config_static_selectorELNS0_4arch9wavefront6targetE1EEEvSF_,comdat
	.protected	_ZN7rocprim17ROCPRIM_400000_NS6detail17trampoline_kernelINS0_14default_configENS1_22reduce_config_selectorIfEEZNS1_11reduce_implILb1ES3_PfS7_fN6thrust23THRUST_200600_302600_NS4plusIfEEEE10hipError_tPvRmT1_T2_T3_mT4_P12ihipStream_tbEUlT_E0_NS1_11comp_targetILNS1_3genE10ELNS1_11target_archE1201ELNS1_3gpuE5ELNS1_3repE0EEENS1_30default_config_static_selectorELNS0_4arch9wavefront6targetE1EEEvSF_ ; -- Begin function _ZN7rocprim17ROCPRIM_400000_NS6detail17trampoline_kernelINS0_14default_configENS1_22reduce_config_selectorIfEEZNS1_11reduce_implILb1ES3_PfS7_fN6thrust23THRUST_200600_302600_NS4plusIfEEEE10hipError_tPvRmT1_T2_T3_mT4_P12ihipStream_tbEUlT_E0_NS1_11comp_targetILNS1_3genE10ELNS1_11target_archE1201ELNS1_3gpuE5ELNS1_3repE0EEENS1_30default_config_static_selectorELNS0_4arch9wavefront6targetE1EEEvSF_
	.globl	_ZN7rocprim17ROCPRIM_400000_NS6detail17trampoline_kernelINS0_14default_configENS1_22reduce_config_selectorIfEEZNS1_11reduce_implILb1ES3_PfS7_fN6thrust23THRUST_200600_302600_NS4plusIfEEEE10hipError_tPvRmT1_T2_T3_mT4_P12ihipStream_tbEUlT_E0_NS1_11comp_targetILNS1_3genE10ELNS1_11target_archE1201ELNS1_3gpuE5ELNS1_3repE0EEENS1_30default_config_static_selectorELNS0_4arch9wavefront6targetE1EEEvSF_
	.p2align	8
	.type	_ZN7rocprim17ROCPRIM_400000_NS6detail17trampoline_kernelINS0_14default_configENS1_22reduce_config_selectorIfEEZNS1_11reduce_implILb1ES3_PfS7_fN6thrust23THRUST_200600_302600_NS4plusIfEEEE10hipError_tPvRmT1_T2_T3_mT4_P12ihipStream_tbEUlT_E0_NS1_11comp_targetILNS1_3genE10ELNS1_11target_archE1201ELNS1_3gpuE5ELNS1_3repE0EEENS1_30default_config_static_selectorELNS0_4arch9wavefront6targetE1EEEvSF_,@function
_ZN7rocprim17ROCPRIM_400000_NS6detail17trampoline_kernelINS0_14default_configENS1_22reduce_config_selectorIfEEZNS1_11reduce_implILb1ES3_PfS7_fN6thrust23THRUST_200600_302600_NS4plusIfEEEE10hipError_tPvRmT1_T2_T3_mT4_P12ihipStream_tbEUlT_E0_NS1_11comp_targetILNS1_3genE10ELNS1_11target_archE1201ELNS1_3gpuE5ELNS1_3repE0EEENS1_30default_config_static_selectorELNS0_4arch9wavefront6targetE1EEEvSF_: ; @_ZN7rocprim17ROCPRIM_400000_NS6detail17trampoline_kernelINS0_14default_configENS1_22reduce_config_selectorIfEEZNS1_11reduce_implILb1ES3_PfS7_fN6thrust23THRUST_200600_302600_NS4plusIfEEEE10hipError_tPvRmT1_T2_T3_mT4_P12ihipStream_tbEUlT_E0_NS1_11comp_targetILNS1_3genE10ELNS1_11target_archE1201ELNS1_3gpuE5ELNS1_3repE0EEENS1_30default_config_static_selectorELNS0_4arch9wavefront6targetE1EEEvSF_
; %bb.0:
	.section	.rodata,"a",@progbits
	.p2align	6, 0x0
	.amdhsa_kernel _ZN7rocprim17ROCPRIM_400000_NS6detail17trampoline_kernelINS0_14default_configENS1_22reduce_config_selectorIfEEZNS1_11reduce_implILb1ES3_PfS7_fN6thrust23THRUST_200600_302600_NS4plusIfEEEE10hipError_tPvRmT1_T2_T3_mT4_P12ihipStream_tbEUlT_E0_NS1_11comp_targetILNS1_3genE10ELNS1_11target_archE1201ELNS1_3gpuE5ELNS1_3repE0EEENS1_30default_config_static_selectorELNS0_4arch9wavefront6targetE1EEEvSF_
		.amdhsa_group_segment_fixed_size 0
		.amdhsa_private_segment_fixed_size 0
		.amdhsa_kernarg_size 56
		.amdhsa_user_sgpr_count 6
		.amdhsa_user_sgpr_private_segment_buffer 1
		.amdhsa_user_sgpr_dispatch_ptr 0
		.amdhsa_user_sgpr_queue_ptr 0
		.amdhsa_user_sgpr_kernarg_segment_ptr 1
		.amdhsa_user_sgpr_dispatch_id 0
		.amdhsa_user_sgpr_flat_scratch_init 0
		.amdhsa_user_sgpr_kernarg_preload_length 0
		.amdhsa_user_sgpr_kernarg_preload_offset 0
		.amdhsa_user_sgpr_private_segment_size 0
		.amdhsa_uses_dynamic_stack 0
		.amdhsa_system_sgpr_private_segment_wavefront_offset 0
		.amdhsa_system_sgpr_workgroup_id_x 1
		.amdhsa_system_sgpr_workgroup_id_y 0
		.amdhsa_system_sgpr_workgroup_id_z 0
		.amdhsa_system_sgpr_workgroup_info 0
		.amdhsa_system_vgpr_workitem_id 0
		.amdhsa_next_free_vgpr 1
		.amdhsa_next_free_sgpr 0
		.amdhsa_accum_offset 4
		.amdhsa_reserve_vcc 0
		.amdhsa_reserve_flat_scratch 0
		.amdhsa_float_round_mode_32 0
		.amdhsa_float_round_mode_16_64 0
		.amdhsa_float_denorm_mode_32 3
		.amdhsa_float_denorm_mode_16_64 3
		.amdhsa_dx10_clamp 1
		.amdhsa_ieee_mode 1
		.amdhsa_fp16_overflow 0
		.amdhsa_tg_split 0
		.amdhsa_exception_fp_ieee_invalid_op 0
		.amdhsa_exception_fp_denorm_src 0
		.amdhsa_exception_fp_ieee_div_zero 0
		.amdhsa_exception_fp_ieee_overflow 0
		.amdhsa_exception_fp_ieee_underflow 0
		.amdhsa_exception_fp_ieee_inexact 0
		.amdhsa_exception_int_div_zero 0
	.end_amdhsa_kernel
	.section	.text._ZN7rocprim17ROCPRIM_400000_NS6detail17trampoline_kernelINS0_14default_configENS1_22reduce_config_selectorIfEEZNS1_11reduce_implILb1ES3_PfS7_fN6thrust23THRUST_200600_302600_NS4plusIfEEEE10hipError_tPvRmT1_T2_T3_mT4_P12ihipStream_tbEUlT_E0_NS1_11comp_targetILNS1_3genE10ELNS1_11target_archE1201ELNS1_3gpuE5ELNS1_3repE0EEENS1_30default_config_static_selectorELNS0_4arch9wavefront6targetE1EEEvSF_,"axG",@progbits,_ZN7rocprim17ROCPRIM_400000_NS6detail17trampoline_kernelINS0_14default_configENS1_22reduce_config_selectorIfEEZNS1_11reduce_implILb1ES3_PfS7_fN6thrust23THRUST_200600_302600_NS4plusIfEEEE10hipError_tPvRmT1_T2_T3_mT4_P12ihipStream_tbEUlT_E0_NS1_11comp_targetILNS1_3genE10ELNS1_11target_archE1201ELNS1_3gpuE5ELNS1_3repE0EEENS1_30default_config_static_selectorELNS0_4arch9wavefront6targetE1EEEvSF_,comdat
.Lfunc_end5:
	.size	_ZN7rocprim17ROCPRIM_400000_NS6detail17trampoline_kernelINS0_14default_configENS1_22reduce_config_selectorIfEEZNS1_11reduce_implILb1ES3_PfS7_fN6thrust23THRUST_200600_302600_NS4plusIfEEEE10hipError_tPvRmT1_T2_T3_mT4_P12ihipStream_tbEUlT_E0_NS1_11comp_targetILNS1_3genE10ELNS1_11target_archE1201ELNS1_3gpuE5ELNS1_3repE0EEENS1_30default_config_static_selectorELNS0_4arch9wavefront6targetE1EEEvSF_, .Lfunc_end5-_ZN7rocprim17ROCPRIM_400000_NS6detail17trampoline_kernelINS0_14default_configENS1_22reduce_config_selectorIfEEZNS1_11reduce_implILb1ES3_PfS7_fN6thrust23THRUST_200600_302600_NS4plusIfEEEE10hipError_tPvRmT1_T2_T3_mT4_P12ihipStream_tbEUlT_E0_NS1_11comp_targetILNS1_3genE10ELNS1_11target_archE1201ELNS1_3gpuE5ELNS1_3repE0EEENS1_30default_config_static_selectorELNS0_4arch9wavefront6targetE1EEEvSF_
                                        ; -- End function
	.section	.AMDGPU.csdata,"",@progbits
; Kernel info:
; codeLenInByte = 0
; NumSgprs: 4
; NumVgprs: 0
; NumAgprs: 0
; TotalNumVgprs: 0
; ScratchSize: 0
; MemoryBound: 0
; FloatMode: 240
; IeeeMode: 1
; LDSByteSize: 0 bytes/workgroup (compile time only)
; SGPRBlocks: 0
; VGPRBlocks: 0
; NumSGPRsForWavesPerEU: 4
; NumVGPRsForWavesPerEU: 1
; AccumOffset: 4
; Occupancy: 8
; WaveLimiterHint : 0
; COMPUTE_PGM_RSRC2:SCRATCH_EN: 0
; COMPUTE_PGM_RSRC2:USER_SGPR: 6
; COMPUTE_PGM_RSRC2:TRAP_HANDLER: 0
; COMPUTE_PGM_RSRC2:TGID_X_EN: 1
; COMPUTE_PGM_RSRC2:TGID_Y_EN: 0
; COMPUTE_PGM_RSRC2:TGID_Z_EN: 0
; COMPUTE_PGM_RSRC2:TIDIG_COMP_CNT: 0
; COMPUTE_PGM_RSRC3_GFX90A:ACCUM_OFFSET: 0
; COMPUTE_PGM_RSRC3_GFX90A:TG_SPLIT: 0
	.section	.text._ZN7rocprim17ROCPRIM_400000_NS6detail17trampoline_kernelINS0_14default_configENS1_22reduce_config_selectorIfEEZNS1_11reduce_implILb1ES3_PfS7_fN6thrust23THRUST_200600_302600_NS4plusIfEEEE10hipError_tPvRmT1_T2_T3_mT4_P12ihipStream_tbEUlT_E0_NS1_11comp_targetILNS1_3genE10ELNS1_11target_archE1200ELNS1_3gpuE4ELNS1_3repE0EEENS1_30default_config_static_selectorELNS0_4arch9wavefront6targetE1EEEvSF_,"axG",@progbits,_ZN7rocprim17ROCPRIM_400000_NS6detail17trampoline_kernelINS0_14default_configENS1_22reduce_config_selectorIfEEZNS1_11reduce_implILb1ES3_PfS7_fN6thrust23THRUST_200600_302600_NS4plusIfEEEE10hipError_tPvRmT1_T2_T3_mT4_P12ihipStream_tbEUlT_E0_NS1_11comp_targetILNS1_3genE10ELNS1_11target_archE1200ELNS1_3gpuE4ELNS1_3repE0EEENS1_30default_config_static_selectorELNS0_4arch9wavefront6targetE1EEEvSF_,comdat
	.protected	_ZN7rocprim17ROCPRIM_400000_NS6detail17trampoline_kernelINS0_14default_configENS1_22reduce_config_selectorIfEEZNS1_11reduce_implILb1ES3_PfS7_fN6thrust23THRUST_200600_302600_NS4plusIfEEEE10hipError_tPvRmT1_T2_T3_mT4_P12ihipStream_tbEUlT_E0_NS1_11comp_targetILNS1_3genE10ELNS1_11target_archE1200ELNS1_3gpuE4ELNS1_3repE0EEENS1_30default_config_static_selectorELNS0_4arch9wavefront6targetE1EEEvSF_ ; -- Begin function _ZN7rocprim17ROCPRIM_400000_NS6detail17trampoline_kernelINS0_14default_configENS1_22reduce_config_selectorIfEEZNS1_11reduce_implILb1ES3_PfS7_fN6thrust23THRUST_200600_302600_NS4plusIfEEEE10hipError_tPvRmT1_T2_T3_mT4_P12ihipStream_tbEUlT_E0_NS1_11comp_targetILNS1_3genE10ELNS1_11target_archE1200ELNS1_3gpuE4ELNS1_3repE0EEENS1_30default_config_static_selectorELNS0_4arch9wavefront6targetE1EEEvSF_
	.globl	_ZN7rocprim17ROCPRIM_400000_NS6detail17trampoline_kernelINS0_14default_configENS1_22reduce_config_selectorIfEEZNS1_11reduce_implILb1ES3_PfS7_fN6thrust23THRUST_200600_302600_NS4plusIfEEEE10hipError_tPvRmT1_T2_T3_mT4_P12ihipStream_tbEUlT_E0_NS1_11comp_targetILNS1_3genE10ELNS1_11target_archE1200ELNS1_3gpuE4ELNS1_3repE0EEENS1_30default_config_static_selectorELNS0_4arch9wavefront6targetE1EEEvSF_
	.p2align	8
	.type	_ZN7rocprim17ROCPRIM_400000_NS6detail17trampoline_kernelINS0_14default_configENS1_22reduce_config_selectorIfEEZNS1_11reduce_implILb1ES3_PfS7_fN6thrust23THRUST_200600_302600_NS4plusIfEEEE10hipError_tPvRmT1_T2_T3_mT4_P12ihipStream_tbEUlT_E0_NS1_11comp_targetILNS1_3genE10ELNS1_11target_archE1200ELNS1_3gpuE4ELNS1_3repE0EEENS1_30default_config_static_selectorELNS0_4arch9wavefront6targetE1EEEvSF_,@function
_ZN7rocprim17ROCPRIM_400000_NS6detail17trampoline_kernelINS0_14default_configENS1_22reduce_config_selectorIfEEZNS1_11reduce_implILb1ES3_PfS7_fN6thrust23THRUST_200600_302600_NS4plusIfEEEE10hipError_tPvRmT1_T2_T3_mT4_P12ihipStream_tbEUlT_E0_NS1_11comp_targetILNS1_3genE10ELNS1_11target_archE1200ELNS1_3gpuE4ELNS1_3repE0EEENS1_30default_config_static_selectorELNS0_4arch9wavefront6targetE1EEEvSF_: ; @_ZN7rocprim17ROCPRIM_400000_NS6detail17trampoline_kernelINS0_14default_configENS1_22reduce_config_selectorIfEEZNS1_11reduce_implILb1ES3_PfS7_fN6thrust23THRUST_200600_302600_NS4plusIfEEEE10hipError_tPvRmT1_T2_T3_mT4_P12ihipStream_tbEUlT_E0_NS1_11comp_targetILNS1_3genE10ELNS1_11target_archE1200ELNS1_3gpuE4ELNS1_3repE0EEENS1_30default_config_static_selectorELNS0_4arch9wavefront6targetE1EEEvSF_
; %bb.0:
	.section	.rodata,"a",@progbits
	.p2align	6, 0x0
	.amdhsa_kernel _ZN7rocprim17ROCPRIM_400000_NS6detail17trampoline_kernelINS0_14default_configENS1_22reduce_config_selectorIfEEZNS1_11reduce_implILb1ES3_PfS7_fN6thrust23THRUST_200600_302600_NS4plusIfEEEE10hipError_tPvRmT1_T2_T3_mT4_P12ihipStream_tbEUlT_E0_NS1_11comp_targetILNS1_3genE10ELNS1_11target_archE1200ELNS1_3gpuE4ELNS1_3repE0EEENS1_30default_config_static_selectorELNS0_4arch9wavefront6targetE1EEEvSF_
		.amdhsa_group_segment_fixed_size 0
		.amdhsa_private_segment_fixed_size 0
		.amdhsa_kernarg_size 56
		.amdhsa_user_sgpr_count 6
		.amdhsa_user_sgpr_private_segment_buffer 1
		.amdhsa_user_sgpr_dispatch_ptr 0
		.amdhsa_user_sgpr_queue_ptr 0
		.amdhsa_user_sgpr_kernarg_segment_ptr 1
		.amdhsa_user_sgpr_dispatch_id 0
		.amdhsa_user_sgpr_flat_scratch_init 0
		.amdhsa_user_sgpr_kernarg_preload_length 0
		.amdhsa_user_sgpr_kernarg_preload_offset 0
		.amdhsa_user_sgpr_private_segment_size 0
		.amdhsa_uses_dynamic_stack 0
		.amdhsa_system_sgpr_private_segment_wavefront_offset 0
		.amdhsa_system_sgpr_workgroup_id_x 1
		.amdhsa_system_sgpr_workgroup_id_y 0
		.amdhsa_system_sgpr_workgroup_id_z 0
		.amdhsa_system_sgpr_workgroup_info 0
		.amdhsa_system_vgpr_workitem_id 0
		.amdhsa_next_free_vgpr 1
		.amdhsa_next_free_sgpr 0
		.amdhsa_accum_offset 4
		.amdhsa_reserve_vcc 0
		.amdhsa_reserve_flat_scratch 0
		.amdhsa_float_round_mode_32 0
		.amdhsa_float_round_mode_16_64 0
		.amdhsa_float_denorm_mode_32 3
		.amdhsa_float_denorm_mode_16_64 3
		.amdhsa_dx10_clamp 1
		.amdhsa_ieee_mode 1
		.amdhsa_fp16_overflow 0
		.amdhsa_tg_split 0
		.amdhsa_exception_fp_ieee_invalid_op 0
		.amdhsa_exception_fp_denorm_src 0
		.amdhsa_exception_fp_ieee_div_zero 0
		.amdhsa_exception_fp_ieee_overflow 0
		.amdhsa_exception_fp_ieee_underflow 0
		.amdhsa_exception_fp_ieee_inexact 0
		.amdhsa_exception_int_div_zero 0
	.end_amdhsa_kernel
	.section	.text._ZN7rocprim17ROCPRIM_400000_NS6detail17trampoline_kernelINS0_14default_configENS1_22reduce_config_selectorIfEEZNS1_11reduce_implILb1ES3_PfS7_fN6thrust23THRUST_200600_302600_NS4plusIfEEEE10hipError_tPvRmT1_T2_T3_mT4_P12ihipStream_tbEUlT_E0_NS1_11comp_targetILNS1_3genE10ELNS1_11target_archE1200ELNS1_3gpuE4ELNS1_3repE0EEENS1_30default_config_static_selectorELNS0_4arch9wavefront6targetE1EEEvSF_,"axG",@progbits,_ZN7rocprim17ROCPRIM_400000_NS6detail17trampoline_kernelINS0_14default_configENS1_22reduce_config_selectorIfEEZNS1_11reduce_implILb1ES3_PfS7_fN6thrust23THRUST_200600_302600_NS4plusIfEEEE10hipError_tPvRmT1_T2_T3_mT4_P12ihipStream_tbEUlT_E0_NS1_11comp_targetILNS1_3genE10ELNS1_11target_archE1200ELNS1_3gpuE4ELNS1_3repE0EEENS1_30default_config_static_selectorELNS0_4arch9wavefront6targetE1EEEvSF_,comdat
.Lfunc_end6:
	.size	_ZN7rocprim17ROCPRIM_400000_NS6detail17trampoline_kernelINS0_14default_configENS1_22reduce_config_selectorIfEEZNS1_11reduce_implILb1ES3_PfS7_fN6thrust23THRUST_200600_302600_NS4plusIfEEEE10hipError_tPvRmT1_T2_T3_mT4_P12ihipStream_tbEUlT_E0_NS1_11comp_targetILNS1_3genE10ELNS1_11target_archE1200ELNS1_3gpuE4ELNS1_3repE0EEENS1_30default_config_static_selectorELNS0_4arch9wavefront6targetE1EEEvSF_, .Lfunc_end6-_ZN7rocprim17ROCPRIM_400000_NS6detail17trampoline_kernelINS0_14default_configENS1_22reduce_config_selectorIfEEZNS1_11reduce_implILb1ES3_PfS7_fN6thrust23THRUST_200600_302600_NS4plusIfEEEE10hipError_tPvRmT1_T2_T3_mT4_P12ihipStream_tbEUlT_E0_NS1_11comp_targetILNS1_3genE10ELNS1_11target_archE1200ELNS1_3gpuE4ELNS1_3repE0EEENS1_30default_config_static_selectorELNS0_4arch9wavefront6targetE1EEEvSF_
                                        ; -- End function
	.section	.AMDGPU.csdata,"",@progbits
; Kernel info:
; codeLenInByte = 0
; NumSgprs: 4
; NumVgprs: 0
; NumAgprs: 0
; TotalNumVgprs: 0
; ScratchSize: 0
; MemoryBound: 0
; FloatMode: 240
; IeeeMode: 1
; LDSByteSize: 0 bytes/workgroup (compile time only)
; SGPRBlocks: 0
; VGPRBlocks: 0
; NumSGPRsForWavesPerEU: 4
; NumVGPRsForWavesPerEU: 1
; AccumOffset: 4
; Occupancy: 8
; WaveLimiterHint : 0
; COMPUTE_PGM_RSRC2:SCRATCH_EN: 0
; COMPUTE_PGM_RSRC2:USER_SGPR: 6
; COMPUTE_PGM_RSRC2:TRAP_HANDLER: 0
; COMPUTE_PGM_RSRC2:TGID_X_EN: 1
; COMPUTE_PGM_RSRC2:TGID_Y_EN: 0
; COMPUTE_PGM_RSRC2:TGID_Z_EN: 0
; COMPUTE_PGM_RSRC2:TIDIG_COMP_CNT: 0
; COMPUTE_PGM_RSRC3_GFX90A:ACCUM_OFFSET: 0
; COMPUTE_PGM_RSRC3_GFX90A:TG_SPLIT: 0
	.section	.text._ZN7rocprim17ROCPRIM_400000_NS6detail17trampoline_kernelINS0_14default_configENS1_22reduce_config_selectorIfEEZNS1_11reduce_implILb1ES3_PfS7_fN6thrust23THRUST_200600_302600_NS4plusIfEEEE10hipError_tPvRmT1_T2_T3_mT4_P12ihipStream_tbEUlT_E0_NS1_11comp_targetILNS1_3genE9ELNS1_11target_archE1100ELNS1_3gpuE3ELNS1_3repE0EEENS1_30default_config_static_selectorELNS0_4arch9wavefront6targetE1EEEvSF_,"axG",@progbits,_ZN7rocprim17ROCPRIM_400000_NS6detail17trampoline_kernelINS0_14default_configENS1_22reduce_config_selectorIfEEZNS1_11reduce_implILb1ES3_PfS7_fN6thrust23THRUST_200600_302600_NS4plusIfEEEE10hipError_tPvRmT1_T2_T3_mT4_P12ihipStream_tbEUlT_E0_NS1_11comp_targetILNS1_3genE9ELNS1_11target_archE1100ELNS1_3gpuE3ELNS1_3repE0EEENS1_30default_config_static_selectorELNS0_4arch9wavefront6targetE1EEEvSF_,comdat
	.protected	_ZN7rocprim17ROCPRIM_400000_NS6detail17trampoline_kernelINS0_14default_configENS1_22reduce_config_selectorIfEEZNS1_11reduce_implILb1ES3_PfS7_fN6thrust23THRUST_200600_302600_NS4plusIfEEEE10hipError_tPvRmT1_T2_T3_mT4_P12ihipStream_tbEUlT_E0_NS1_11comp_targetILNS1_3genE9ELNS1_11target_archE1100ELNS1_3gpuE3ELNS1_3repE0EEENS1_30default_config_static_selectorELNS0_4arch9wavefront6targetE1EEEvSF_ ; -- Begin function _ZN7rocprim17ROCPRIM_400000_NS6detail17trampoline_kernelINS0_14default_configENS1_22reduce_config_selectorIfEEZNS1_11reduce_implILb1ES3_PfS7_fN6thrust23THRUST_200600_302600_NS4plusIfEEEE10hipError_tPvRmT1_T2_T3_mT4_P12ihipStream_tbEUlT_E0_NS1_11comp_targetILNS1_3genE9ELNS1_11target_archE1100ELNS1_3gpuE3ELNS1_3repE0EEENS1_30default_config_static_selectorELNS0_4arch9wavefront6targetE1EEEvSF_
	.globl	_ZN7rocprim17ROCPRIM_400000_NS6detail17trampoline_kernelINS0_14default_configENS1_22reduce_config_selectorIfEEZNS1_11reduce_implILb1ES3_PfS7_fN6thrust23THRUST_200600_302600_NS4plusIfEEEE10hipError_tPvRmT1_T2_T3_mT4_P12ihipStream_tbEUlT_E0_NS1_11comp_targetILNS1_3genE9ELNS1_11target_archE1100ELNS1_3gpuE3ELNS1_3repE0EEENS1_30default_config_static_selectorELNS0_4arch9wavefront6targetE1EEEvSF_
	.p2align	8
	.type	_ZN7rocprim17ROCPRIM_400000_NS6detail17trampoline_kernelINS0_14default_configENS1_22reduce_config_selectorIfEEZNS1_11reduce_implILb1ES3_PfS7_fN6thrust23THRUST_200600_302600_NS4plusIfEEEE10hipError_tPvRmT1_T2_T3_mT4_P12ihipStream_tbEUlT_E0_NS1_11comp_targetILNS1_3genE9ELNS1_11target_archE1100ELNS1_3gpuE3ELNS1_3repE0EEENS1_30default_config_static_selectorELNS0_4arch9wavefront6targetE1EEEvSF_,@function
_ZN7rocprim17ROCPRIM_400000_NS6detail17trampoline_kernelINS0_14default_configENS1_22reduce_config_selectorIfEEZNS1_11reduce_implILb1ES3_PfS7_fN6thrust23THRUST_200600_302600_NS4plusIfEEEE10hipError_tPvRmT1_T2_T3_mT4_P12ihipStream_tbEUlT_E0_NS1_11comp_targetILNS1_3genE9ELNS1_11target_archE1100ELNS1_3gpuE3ELNS1_3repE0EEENS1_30default_config_static_selectorELNS0_4arch9wavefront6targetE1EEEvSF_: ; @_ZN7rocprim17ROCPRIM_400000_NS6detail17trampoline_kernelINS0_14default_configENS1_22reduce_config_selectorIfEEZNS1_11reduce_implILb1ES3_PfS7_fN6thrust23THRUST_200600_302600_NS4plusIfEEEE10hipError_tPvRmT1_T2_T3_mT4_P12ihipStream_tbEUlT_E0_NS1_11comp_targetILNS1_3genE9ELNS1_11target_archE1100ELNS1_3gpuE3ELNS1_3repE0EEENS1_30default_config_static_selectorELNS0_4arch9wavefront6targetE1EEEvSF_
; %bb.0:
	.section	.rodata,"a",@progbits
	.p2align	6, 0x0
	.amdhsa_kernel _ZN7rocprim17ROCPRIM_400000_NS6detail17trampoline_kernelINS0_14default_configENS1_22reduce_config_selectorIfEEZNS1_11reduce_implILb1ES3_PfS7_fN6thrust23THRUST_200600_302600_NS4plusIfEEEE10hipError_tPvRmT1_T2_T3_mT4_P12ihipStream_tbEUlT_E0_NS1_11comp_targetILNS1_3genE9ELNS1_11target_archE1100ELNS1_3gpuE3ELNS1_3repE0EEENS1_30default_config_static_selectorELNS0_4arch9wavefront6targetE1EEEvSF_
		.amdhsa_group_segment_fixed_size 0
		.amdhsa_private_segment_fixed_size 0
		.amdhsa_kernarg_size 56
		.amdhsa_user_sgpr_count 6
		.amdhsa_user_sgpr_private_segment_buffer 1
		.amdhsa_user_sgpr_dispatch_ptr 0
		.amdhsa_user_sgpr_queue_ptr 0
		.amdhsa_user_sgpr_kernarg_segment_ptr 1
		.amdhsa_user_sgpr_dispatch_id 0
		.amdhsa_user_sgpr_flat_scratch_init 0
		.amdhsa_user_sgpr_kernarg_preload_length 0
		.amdhsa_user_sgpr_kernarg_preload_offset 0
		.amdhsa_user_sgpr_private_segment_size 0
		.amdhsa_uses_dynamic_stack 0
		.amdhsa_system_sgpr_private_segment_wavefront_offset 0
		.amdhsa_system_sgpr_workgroup_id_x 1
		.amdhsa_system_sgpr_workgroup_id_y 0
		.amdhsa_system_sgpr_workgroup_id_z 0
		.amdhsa_system_sgpr_workgroup_info 0
		.amdhsa_system_vgpr_workitem_id 0
		.amdhsa_next_free_vgpr 1
		.amdhsa_next_free_sgpr 0
		.amdhsa_accum_offset 4
		.amdhsa_reserve_vcc 0
		.amdhsa_reserve_flat_scratch 0
		.amdhsa_float_round_mode_32 0
		.amdhsa_float_round_mode_16_64 0
		.amdhsa_float_denorm_mode_32 3
		.amdhsa_float_denorm_mode_16_64 3
		.amdhsa_dx10_clamp 1
		.amdhsa_ieee_mode 1
		.amdhsa_fp16_overflow 0
		.amdhsa_tg_split 0
		.amdhsa_exception_fp_ieee_invalid_op 0
		.amdhsa_exception_fp_denorm_src 0
		.amdhsa_exception_fp_ieee_div_zero 0
		.amdhsa_exception_fp_ieee_overflow 0
		.amdhsa_exception_fp_ieee_underflow 0
		.amdhsa_exception_fp_ieee_inexact 0
		.amdhsa_exception_int_div_zero 0
	.end_amdhsa_kernel
	.section	.text._ZN7rocprim17ROCPRIM_400000_NS6detail17trampoline_kernelINS0_14default_configENS1_22reduce_config_selectorIfEEZNS1_11reduce_implILb1ES3_PfS7_fN6thrust23THRUST_200600_302600_NS4plusIfEEEE10hipError_tPvRmT1_T2_T3_mT4_P12ihipStream_tbEUlT_E0_NS1_11comp_targetILNS1_3genE9ELNS1_11target_archE1100ELNS1_3gpuE3ELNS1_3repE0EEENS1_30default_config_static_selectorELNS0_4arch9wavefront6targetE1EEEvSF_,"axG",@progbits,_ZN7rocprim17ROCPRIM_400000_NS6detail17trampoline_kernelINS0_14default_configENS1_22reduce_config_selectorIfEEZNS1_11reduce_implILb1ES3_PfS7_fN6thrust23THRUST_200600_302600_NS4plusIfEEEE10hipError_tPvRmT1_T2_T3_mT4_P12ihipStream_tbEUlT_E0_NS1_11comp_targetILNS1_3genE9ELNS1_11target_archE1100ELNS1_3gpuE3ELNS1_3repE0EEENS1_30default_config_static_selectorELNS0_4arch9wavefront6targetE1EEEvSF_,comdat
.Lfunc_end7:
	.size	_ZN7rocprim17ROCPRIM_400000_NS6detail17trampoline_kernelINS0_14default_configENS1_22reduce_config_selectorIfEEZNS1_11reduce_implILb1ES3_PfS7_fN6thrust23THRUST_200600_302600_NS4plusIfEEEE10hipError_tPvRmT1_T2_T3_mT4_P12ihipStream_tbEUlT_E0_NS1_11comp_targetILNS1_3genE9ELNS1_11target_archE1100ELNS1_3gpuE3ELNS1_3repE0EEENS1_30default_config_static_selectorELNS0_4arch9wavefront6targetE1EEEvSF_, .Lfunc_end7-_ZN7rocprim17ROCPRIM_400000_NS6detail17trampoline_kernelINS0_14default_configENS1_22reduce_config_selectorIfEEZNS1_11reduce_implILb1ES3_PfS7_fN6thrust23THRUST_200600_302600_NS4plusIfEEEE10hipError_tPvRmT1_T2_T3_mT4_P12ihipStream_tbEUlT_E0_NS1_11comp_targetILNS1_3genE9ELNS1_11target_archE1100ELNS1_3gpuE3ELNS1_3repE0EEENS1_30default_config_static_selectorELNS0_4arch9wavefront6targetE1EEEvSF_
                                        ; -- End function
	.section	.AMDGPU.csdata,"",@progbits
; Kernel info:
; codeLenInByte = 0
; NumSgprs: 4
; NumVgprs: 0
; NumAgprs: 0
; TotalNumVgprs: 0
; ScratchSize: 0
; MemoryBound: 0
; FloatMode: 240
; IeeeMode: 1
; LDSByteSize: 0 bytes/workgroup (compile time only)
; SGPRBlocks: 0
; VGPRBlocks: 0
; NumSGPRsForWavesPerEU: 4
; NumVGPRsForWavesPerEU: 1
; AccumOffset: 4
; Occupancy: 8
; WaveLimiterHint : 0
; COMPUTE_PGM_RSRC2:SCRATCH_EN: 0
; COMPUTE_PGM_RSRC2:USER_SGPR: 6
; COMPUTE_PGM_RSRC2:TRAP_HANDLER: 0
; COMPUTE_PGM_RSRC2:TGID_X_EN: 1
; COMPUTE_PGM_RSRC2:TGID_Y_EN: 0
; COMPUTE_PGM_RSRC2:TGID_Z_EN: 0
; COMPUTE_PGM_RSRC2:TIDIG_COMP_CNT: 0
; COMPUTE_PGM_RSRC3_GFX90A:ACCUM_OFFSET: 0
; COMPUTE_PGM_RSRC3_GFX90A:TG_SPLIT: 0
	.section	.text._ZN7rocprim17ROCPRIM_400000_NS6detail17trampoline_kernelINS0_14default_configENS1_22reduce_config_selectorIfEEZNS1_11reduce_implILb1ES3_PfS7_fN6thrust23THRUST_200600_302600_NS4plusIfEEEE10hipError_tPvRmT1_T2_T3_mT4_P12ihipStream_tbEUlT_E0_NS1_11comp_targetILNS1_3genE8ELNS1_11target_archE1030ELNS1_3gpuE2ELNS1_3repE0EEENS1_30default_config_static_selectorELNS0_4arch9wavefront6targetE1EEEvSF_,"axG",@progbits,_ZN7rocprim17ROCPRIM_400000_NS6detail17trampoline_kernelINS0_14default_configENS1_22reduce_config_selectorIfEEZNS1_11reduce_implILb1ES3_PfS7_fN6thrust23THRUST_200600_302600_NS4plusIfEEEE10hipError_tPvRmT1_T2_T3_mT4_P12ihipStream_tbEUlT_E0_NS1_11comp_targetILNS1_3genE8ELNS1_11target_archE1030ELNS1_3gpuE2ELNS1_3repE0EEENS1_30default_config_static_selectorELNS0_4arch9wavefront6targetE1EEEvSF_,comdat
	.protected	_ZN7rocprim17ROCPRIM_400000_NS6detail17trampoline_kernelINS0_14default_configENS1_22reduce_config_selectorIfEEZNS1_11reduce_implILb1ES3_PfS7_fN6thrust23THRUST_200600_302600_NS4plusIfEEEE10hipError_tPvRmT1_T2_T3_mT4_P12ihipStream_tbEUlT_E0_NS1_11comp_targetILNS1_3genE8ELNS1_11target_archE1030ELNS1_3gpuE2ELNS1_3repE0EEENS1_30default_config_static_selectorELNS0_4arch9wavefront6targetE1EEEvSF_ ; -- Begin function _ZN7rocprim17ROCPRIM_400000_NS6detail17trampoline_kernelINS0_14default_configENS1_22reduce_config_selectorIfEEZNS1_11reduce_implILb1ES3_PfS7_fN6thrust23THRUST_200600_302600_NS4plusIfEEEE10hipError_tPvRmT1_T2_T3_mT4_P12ihipStream_tbEUlT_E0_NS1_11comp_targetILNS1_3genE8ELNS1_11target_archE1030ELNS1_3gpuE2ELNS1_3repE0EEENS1_30default_config_static_selectorELNS0_4arch9wavefront6targetE1EEEvSF_
	.globl	_ZN7rocprim17ROCPRIM_400000_NS6detail17trampoline_kernelINS0_14default_configENS1_22reduce_config_selectorIfEEZNS1_11reduce_implILb1ES3_PfS7_fN6thrust23THRUST_200600_302600_NS4plusIfEEEE10hipError_tPvRmT1_T2_T3_mT4_P12ihipStream_tbEUlT_E0_NS1_11comp_targetILNS1_3genE8ELNS1_11target_archE1030ELNS1_3gpuE2ELNS1_3repE0EEENS1_30default_config_static_selectorELNS0_4arch9wavefront6targetE1EEEvSF_
	.p2align	8
	.type	_ZN7rocprim17ROCPRIM_400000_NS6detail17trampoline_kernelINS0_14default_configENS1_22reduce_config_selectorIfEEZNS1_11reduce_implILb1ES3_PfS7_fN6thrust23THRUST_200600_302600_NS4plusIfEEEE10hipError_tPvRmT1_T2_T3_mT4_P12ihipStream_tbEUlT_E0_NS1_11comp_targetILNS1_3genE8ELNS1_11target_archE1030ELNS1_3gpuE2ELNS1_3repE0EEENS1_30default_config_static_selectorELNS0_4arch9wavefront6targetE1EEEvSF_,@function
_ZN7rocprim17ROCPRIM_400000_NS6detail17trampoline_kernelINS0_14default_configENS1_22reduce_config_selectorIfEEZNS1_11reduce_implILb1ES3_PfS7_fN6thrust23THRUST_200600_302600_NS4plusIfEEEE10hipError_tPvRmT1_T2_T3_mT4_P12ihipStream_tbEUlT_E0_NS1_11comp_targetILNS1_3genE8ELNS1_11target_archE1030ELNS1_3gpuE2ELNS1_3repE0EEENS1_30default_config_static_selectorELNS0_4arch9wavefront6targetE1EEEvSF_: ; @_ZN7rocprim17ROCPRIM_400000_NS6detail17trampoline_kernelINS0_14default_configENS1_22reduce_config_selectorIfEEZNS1_11reduce_implILb1ES3_PfS7_fN6thrust23THRUST_200600_302600_NS4plusIfEEEE10hipError_tPvRmT1_T2_T3_mT4_P12ihipStream_tbEUlT_E0_NS1_11comp_targetILNS1_3genE8ELNS1_11target_archE1030ELNS1_3gpuE2ELNS1_3repE0EEENS1_30default_config_static_selectorELNS0_4arch9wavefront6targetE1EEEvSF_
; %bb.0:
	.section	.rodata,"a",@progbits
	.p2align	6, 0x0
	.amdhsa_kernel _ZN7rocprim17ROCPRIM_400000_NS6detail17trampoline_kernelINS0_14default_configENS1_22reduce_config_selectorIfEEZNS1_11reduce_implILb1ES3_PfS7_fN6thrust23THRUST_200600_302600_NS4plusIfEEEE10hipError_tPvRmT1_T2_T3_mT4_P12ihipStream_tbEUlT_E0_NS1_11comp_targetILNS1_3genE8ELNS1_11target_archE1030ELNS1_3gpuE2ELNS1_3repE0EEENS1_30default_config_static_selectorELNS0_4arch9wavefront6targetE1EEEvSF_
		.amdhsa_group_segment_fixed_size 0
		.amdhsa_private_segment_fixed_size 0
		.amdhsa_kernarg_size 56
		.amdhsa_user_sgpr_count 6
		.amdhsa_user_sgpr_private_segment_buffer 1
		.amdhsa_user_sgpr_dispatch_ptr 0
		.amdhsa_user_sgpr_queue_ptr 0
		.amdhsa_user_sgpr_kernarg_segment_ptr 1
		.amdhsa_user_sgpr_dispatch_id 0
		.amdhsa_user_sgpr_flat_scratch_init 0
		.amdhsa_user_sgpr_kernarg_preload_length 0
		.amdhsa_user_sgpr_kernarg_preload_offset 0
		.amdhsa_user_sgpr_private_segment_size 0
		.amdhsa_uses_dynamic_stack 0
		.amdhsa_system_sgpr_private_segment_wavefront_offset 0
		.amdhsa_system_sgpr_workgroup_id_x 1
		.amdhsa_system_sgpr_workgroup_id_y 0
		.amdhsa_system_sgpr_workgroup_id_z 0
		.amdhsa_system_sgpr_workgroup_info 0
		.amdhsa_system_vgpr_workitem_id 0
		.amdhsa_next_free_vgpr 1
		.amdhsa_next_free_sgpr 0
		.amdhsa_accum_offset 4
		.amdhsa_reserve_vcc 0
		.amdhsa_reserve_flat_scratch 0
		.amdhsa_float_round_mode_32 0
		.amdhsa_float_round_mode_16_64 0
		.amdhsa_float_denorm_mode_32 3
		.amdhsa_float_denorm_mode_16_64 3
		.amdhsa_dx10_clamp 1
		.amdhsa_ieee_mode 1
		.amdhsa_fp16_overflow 0
		.amdhsa_tg_split 0
		.amdhsa_exception_fp_ieee_invalid_op 0
		.amdhsa_exception_fp_denorm_src 0
		.amdhsa_exception_fp_ieee_div_zero 0
		.amdhsa_exception_fp_ieee_overflow 0
		.amdhsa_exception_fp_ieee_underflow 0
		.amdhsa_exception_fp_ieee_inexact 0
		.amdhsa_exception_int_div_zero 0
	.end_amdhsa_kernel
	.section	.text._ZN7rocprim17ROCPRIM_400000_NS6detail17trampoline_kernelINS0_14default_configENS1_22reduce_config_selectorIfEEZNS1_11reduce_implILb1ES3_PfS7_fN6thrust23THRUST_200600_302600_NS4plusIfEEEE10hipError_tPvRmT1_T2_T3_mT4_P12ihipStream_tbEUlT_E0_NS1_11comp_targetILNS1_3genE8ELNS1_11target_archE1030ELNS1_3gpuE2ELNS1_3repE0EEENS1_30default_config_static_selectorELNS0_4arch9wavefront6targetE1EEEvSF_,"axG",@progbits,_ZN7rocprim17ROCPRIM_400000_NS6detail17trampoline_kernelINS0_14default_configENS1_22reduce_config_selectorIfEEZNS1_11reduce_implILb1ES3_PfS7_fN6thrust23THRUST_200600_302600_NS4plusIfEEEE10hipError_tPvRmT1_T2_T3_mT4_P12ihipStream_tbEUlT_E0_NS1_11comp_targetILNS1_3genE8ELNS1_11target_archE1030ELNS1_3gpuE2ELNS1_3repE0EEENS1_30default_config_static_selectorELNS0_4arch9wavefront6targetE1EEEvSF_,comdat
.Lfunc_end8:
	.size	_ZN7rocprim17ROCPRIM_400000_NS6detail17trampoline_kernelINS0_14default_configENS1_22reduce_config_selectorIfEEZNS1_11reduce_implILb1ES3_PfS7_fN6thrust23THRUST_200600_302600_NS4plusIfEEEE10hipError_tPvRmT1_T2_T3_mT4_P12ihipStream_tbEUlT_E0_NS1_11comp_targetILNS1_3genE8ELNS1_11target_archE1030ELNS1_3gpuE2ELNS1_3repE0EEENS1_30default_config_static_selectorELNS0_4arch9wavefront6targetE1EEEvSF_, .Lfunc_end8-_ZN7rocprim17ROCPRIM_400000_NS6detail17trampoline_kernelINS0_14default_configENS1_22reduce_config_selectorIfEEZNS1_11reduce_implILb1ES3_PfS7_fN6thrust23THRUST_200600_302600_NS4plusIfEEEE10hipError_tPvRmT1_T2_T3_mT4_P12ihipStream_tbEUlT_E0_NS1_11comp_targetILNS1_3genE8ELNS1_11target_archE1030ELNS1_3gpuE2ELNS1_3repE0EEENS1_30default_config_static_selectorELNS0_4arch9wavefront6targetE1EEEvSF_
                                        ; -- End function
	.section	.AMDGPU.csdata,"",@progbits
; Kernel info:
; codeLenInByte = 0
; NumSgprs: 4
; NumVgprs: 0
; NumAgprs: 0
; TotalNumVgprs: 0
; ScratchSize: 0
; MemoryBound: 0
; FloatMode: 240
; IeeeMode: 1
; LDSByteSize: 0 bytes/workgroup (compile time only)
; SGPRBlocks: 0
; VGPRBlocks: 0
; NumSGPRsForWavesPerEU: 4
; NumVGPRsForWavesPerEU: 1
; AccumOffset: 4
; Occupancy: 8
; WaveLimiterHint : 0
; COMPUTE_PGM_RSRC2:SCRATCH_EN: 0
; COMPUTE_PGM_RSRC2:USER_SGPR: 6
; COMPUTE_PGM_RSRC2:TRAP_HANDLER: 0
; COMPUTE_PGM_RSRC2:TGID_X_EN: 1
; COMPUTE_PGM_RSRC2:TGID_Y_EN: 0
; COMPUTE_PGM_RSRC2:TGID_Z_EN: 0
; COMPUTE_PGM_RSRC2:TIDIG_COMP_CNT: 0
; COMPUTE_PGM_RSRC3_GFX90A:ACCUM_OFFSET: 0
; COMPUTE_PGM_RSRC3_GFX90A:TG_SPLIT: 0
	.section	.text._ZN7rocprim17ROCPRIM_400000_NS6detail17trampoline_kernelINS0_14default_configENS1_22reduce_config_selectorIfEEZNS1_11reduce_implILb1ES3_PfS7_fN6thrust23THRUST_200600_302600_NS4plusIfEEEE10hipError_tPvRmT1_T2_T3_mT4_P12ihipStream_tbEUlT_E1_NS1_11comp_targetILNS1_3genE0ELNS1_11target_archE4294967295ELNS1_3gpuE0ELNS1_3repE0EEENS1_30default_config_static_selectorELNS0_4arch9wavefront6targetE1EEEvSF_,"axG",@progbits,_ZN7rocprim17ROCPRIM_400000_NS6detail17trampoline_kernelINS0_14default_configENS1_22reduce_config_selectorIfEEZNS1_11reduce_implILb1ES3_PfS7_fN6thrust23THRUST_200600_302600_NS4plusIfEEEE10hipError_tPvRmT1_T2_T3_mT4_P12ihipStream_tbEUlT_E1_NS1_11comp_targetILNS1_3genE0ELNS1_11target_archE4294967295ELNS1_3gpuE0ELNS1_3repE0EEENS1_30default_config_static_selectorELNS0_4arch9wavefront6targetE1EEEvSF_,comdat
	.protected	_ZN7rocprim17ROCPRIM_400000_NS6detail17trampoline_kernelINS0_14default_configENS1_22reduce_config_selectorIfEEZNS1_11reduce_implILb1ES3_PfS7_fN6thrust23THRUST_200600_302600_NS4plusIfEEEE10hipError_tPvRmT1_T2_T3_mT4_P12ihipStream_tbEUlT_E1_NS1_11comp_targetILNS1_3genE0ELNS1_11target_archE4294967295ELNS1_3gpuE0ELNS1_3repE0EEENS1_30default_config_static_selectorELNS0_4arch9wavefront6targetE1EEEvSF_ ; -- Begin function _ZN7rocprim17ROCPRIM_400000_NS6detail17trampoline_kernelINS0_14default_configENS1_22reduce_config_selectorIfEEZNS1_11reduce_implILb1ES3_PfS7_fN6thrust23THRUST_200600_302600_NS4plusIfEEEE10hipError_tPvRmT1_T2_T3_mT4_P12ihipStream_tbEUlT_E1_NS1_11comp_targetILNS1_3genE0ELNS1_11target_archE4294967295ELNS1_3gpuE0ELNS1_3repE0EEENS1_30default_config_static_selectorELNS0_4arch9wavefront6targetE1EEEvSF_
	.globl	_ZN7rocprim17ROCPRIM_400000_NS6detail17trampoline_kernelINS0_14default_configENS1_22reduce_config_selectorIfEEZNS1_11reduce_implILb1ES3_PfS7_fN6thrust23THRUST_200600_302600_NS4plusIfEEEE10hipError_tPvRmT1_T2_T3_mT4_P12ihipStream_tbEUlT_E1_NS1_11comp_targetILNS1_3genE0ELNS1_11target_archE4294967295ELNS1_3gpuE0ELNS1_3repE0EEENS1_30default_config_static_selectorELNS0_4arch9wavefront6targetE1EEEvSF_
	.p2align	8
	.type	_ZN7rocprim17ROCPRIM_400000_NS6detail17trampoline_kernelINS0_14default_configENS1_22reduce_config_selectorIfEEZNS1_11reduce_implILb1ES3_PfS7_fN6thrust23THRUST_200600_302600_NS4plusIfEEEE10hipError_tPvRmT1_T2_T3_mT4_P12ihipStream_tbEUlT_E1_NS1_11comp_targetILNS1_3genE0ELNS1_11target_archE4294967295ELNS1_3gpuE0ELNS1_3repE0EEENS1_30default_config_static_selectorELNS0_4arch9wavefront6targetE1EEEvSF_,@function
_ZN7rocprim17ROCPRIM_400000_NS6detail17trampoline_kernelINS0_14default_configENS1_22reduce_config_selectorIfEEZNS1_11reduce_implILb1ES3_PfS7_fN6thrust23THRUST_200600_302600_NS4plusIfEEEE10hipError_tPvRmT1_T2_T3_mT4_P12ihipStream_tbEUlT_E1_NS1_11comp_targetILNS1_3genE0ELNS1_11target_archE4294967295ELNS1_3gpuE0ELNS1_3repE0EEENS1_30default_config_static_selectorELNS0_4arch9wavefront6targetE1EEEvSF_: ; @_ZN7rocprim17ROCPRIM_400000_NS6detail17trampoline_kernelINS0_14default_configENS1_22reduce_config_selectorIfEEZNS1_11reduce_implILb1ES3_PfS7_fN6thrust23THRUST_200600_302600_NS4plusIfEEEE10hipError_tPvRmT1_T2_T3_mT4_P12ihipStream_tbEUlT_E1_NS1_11comp_targetILNS1_3genE0ELNS1_11target_archE4294967295ELNS1_3gpuE0ELNS1_3repE0EEENS1_30default_config_static_selectorELNS0_4arch9wavefront6targetE1EEEvSF_
; %bb.0:
	.section	.rodata,"a",@progbits
	.p2align	6, 0x0
	.amdhsa_kernel _ZN7rocprim17ROCPRIM_400000_NS6detail17trampoline_kernelINS0_14default_configENS1_22reduce_config_selectorIfEEZNS1_11reduce_implILb1ES3_PfS7_fN6thrust23THRUST_200600_302600_NS4plusIfEEEE10hipError_tPvRmT1_T2_T3_mT4_P12ihipStream_tbEUlT_E1_NS1_11comp_targetILNS1_3genE0ELNS1_11target_archE4294967295ELNS1_3gpuE0ELNS1_3repE0EEENS1_30default_config_static_selectorELNS0_4arch9wavefront6targetE1EEEvSF_
		.amdhsa_group_segment_fixed_size 0
		.amdhsa_private_segment_fixed_size 0
		.amdhsa_kernarg_size 40
		.amdhsa_user_sgpr_count 6
		.amdhsa_user_sgpr_private_segment_buffer 1
		.amdhsa_user_sgpr_dispatch_ptr 0
		.amdhsa_user_sgpr_queue_ptr 0
		.amdhsa_user_sgpr_kernarg_segment_ptr 1
		.amdhsa_user_sgpr_dispatch_id 0
		.amdhsa_user_sgpr_flat_scratch_init 0
		.amdhsa_user_sgpr_kernarg_preload_length 0
		.amdhsa_user_sgpr_kernarg_preload_offset 0
		.amdhsa_user_sgpr_private_segment_size 0
		.amdhsa_uses_dynamic_stack 0
		.amdhsa_system_sgpr_private_segment_wavefront_offset 0
		.amdhsa_system_sgpr_workgroup_id_x 1
		.amdhsa_system_sgpr_workgroup_id_y 0
		.amdhsa_system_sgpr_workgroup_id_z 0
		.amdhsa_system_sgpr_workgroup_info 0
		.amdhsa_system_vgpr_workitem_id 0
		.amdhsa_next_free_vgpr 1
		.amdhsa_next_free_sgpr 0
		.amdhsa_accum_offset 4
		.amdhsa_reserve_vcc 0
		.amdhsa_reserve_flat_scratch 0
		.amdhsa_float_round_mode_32 0
		.amdhsa_float_round_mode_16_64 0
		.amdhsa_float_denorm_mode_32 3
		.amdhsa_float_denorm_mode_16_64 3
		.amdhsa_dx10_clamp 1
		.amdhsa_ieee_mode 1
		.amdhsa_fp16_overflow 0
		.amdhsa_tg_split 0
		.amdhsa_exception_fp_ieee_invalid_op 0
		.amdhsa_exception_fp_denorm_src 0
		.amdhsa_exception_fp_ieee_div_zero 0
		.amdhsa_exception_fp_ieee_overflow 0
		.amdhsa_exception_fp_ieee_underflow 0
		.amdhsa_exception_fp_ieee_inexact 0
		.amdhsa_exception_int_div_zero 0
	.end_amdhsa_kernel
	.section	.text._ZN7rocprim17ROCPRIM_400000_NS6detail17trampoline_kernelINS0_14default_configENS1_22reduce_config_selectorIfEEZNS1_11reduce_implILb1ES3_PfS7_fN6thrust23THRUST_200600_302600_NS4plusIfEEEE10hipError_tPvRmT1_T2_T3_mT4_P12ihipStream_tbEUlT_E1_NS1_11comp_targetILNS1_3genE0ELNS1_11target_archE4294967295ELNS1_3gpuE0ELNS1_3repE0EEENS1_30default_config_static_selectorELNS0_4arch9wavefront6targetE1EEEvSF_,"axG",@progbits,_ZN7rocprim17ROCPRIM_400000_NS6detail17trampoline_kernelINS0_14default_configENS1_22reduce_config_selectorIfEEZNS1_11reduce_implILb1ES3_PfS7_fN6thrust23THRUST_200600_302600_NS4plusIfEEEE10hipError_tPvRmT1_T2_T3_mT4_P12ihipStream_tbEUlT_E1_NS1_11comp_targetILNS1_3genE0ELNS1_11target_archE4294967295ELNS1_3gpuE0ELNS1_3repE0EEENS1_30default_config_static_selectorELNS0_4arch9wavefront6targetE1EEEvSF_,comdat
.Lfunc_end9:
	.size	_ZN7rocprim17ROCPRIM_400000_NS6detail17trampoline_kernelINS0_14default_configENS1_22reduce_config_selectorIfEEZNS1_11reduce_implILb1ES3_PfS7_fN6thrust23THRUST_200600_302600_NS4plusIfEEEE10hipError_tPvRmT1_T2_T3_mT4_P12ihipStream_tbEUlT_E1_NS1_11comp_targetILNS1_3genE0ELNS1_11target_archE4294967295ELNS1_3gpuE0ELNS1_3repE0EEENS1_30default_config_static_selectorELNS0_4arch9wavefront6targetE1EEEvSF_, .Lfunc_end9-_ZN7rocprim17ROCPRIM_400000_NS6detail17trampoline_kernelINS0_14default_configENS1_22reduce_config_selectorIfEEZNS1_11reduce_implILb1ES3_PfS7_fN6thrust23THRUST_200600_302600_NS4plusIfEEEE10hipError_tPvRmT1_T2_T3_mT4_P12ihipStream_tbEUlT_E1_NS1_11comp_targetILNS1_3genE0ELNS1_11target_archE4294967295ELNS1_3gpuE0ELNS1_3repE0EEENS1_30default_config_static_selectorELNS0_4arch9wavefront6targetE1EEEvSF_
                                        ; -- End function
	.section	.AMDGPU.csdata,"",@progbits
; Kernel info:
; codeLenInByte = 0
; NumSgprs: 4
; NumVgprs: 0
; NumAgprs: 0
; TotalNumVgprs: 0
; ScratchSize: 0
; MemoryBound: 0
; FloatMode: 240
; IeeeMode: 1
; LDSByteSize: 0 bytes/workgroup (compile time only)
; SGPRBlocks: 0
; VGPRBlocks: 0
; NumSGPRsForWavesPerEU: 4
; NumVGPRsForWavesPerEU: 1
; AccumOffset: 4
; Occupancy: 8
; WaveLimiterHint : 0
; COMPUTE_PGM_RSRC2:SCRATCH_EN: 0
; COMPUTE_PGM_RSRC2:USER_SGPR: 6
; COMPUTE_PGM_RSRC2:TRAP_HANDLER: 0
; COMPUTE_PGM_RSRC2:TGID_X_EN: 1
; COMPUTE_PGM_RSRC2:TGID_Y_EN: 0
; COMPUTE_PGM_RSRC2:TGID_Z_EN: 0
; COMPUTE_PGM_RSRC2:TIDIG_COMP_CNT: 0
; COMPUTE_PGM_RSRC3_GFX90A:ACCUM_OFFSET: 0
; COMPUTE_PGM_RSRC3_GFX90A:TG_SPLIT: 0
	.section	.text._ZN7rocprim17ROCPRIM_400000_NS6detail17trampoline_kernelINS0_14default_configENS1_22reduce_config_selectorIfEEZNS1_11reduce_implILb1ES3_PfS7_fN6thrust23THRUST_200600_302600_NS4plusIfEEEE10hipError_tPvRmT1_T2_T3_mT4_P12ihipStream_tbEUlT_E1_NS1_11comp_targetILNS1_3genE5ELNS1_11target_archE942ELNS1_3gpuE9ELNS1_3repE0EEENS1_30default_config_static_selectorELNS0_4arch9wavefront6targetE1EEEvSF_,"axG",@progbits,_ZN7rocprim17ROCPRIM_400000_NS6detail17trampoline_kernelINS0_14default_configENS1_22reduce_config_selectorIfEEZNS1_11reduce_implILb1ES3_PfS7_fN6thrust23THRUST_200600_302600_NS4plusIfEEEE10hipError_tPvRmT1_T2_T3_mT4_P12ihipStream_tbEUlT_E1_NS1_11comp_targetILNS1_3genE5ELNS1_11target_archE942ELNS1_3gpuE9ELNS1_3repE0EEENS1_30default_config_static_selectorELNS0_4arch9wavefront6targetE1EEEvSF_,comdat
	.protected	_ZN7rocprim17ROCPRIM_400000_NS6detail17trampoline_kernelINS0_14default_configENS1_22reduce_config_selectorIfEEZNS1_11reduce_implILb1ES3_PfS7_fN6thrust23THRUST_200600_302600_NS4plusIfEEEE10hipError_tPvRmT1_T2_T3_mT4_P12ihipStream_tbEUlT_E1_NS1_11comp_targetILNS1_3genE5ELNS1_11target_archE942ELNS1_3gpuE9ELNS1_3repE0EEENS1_30default_config_static_selectorELNS0_4arch9wavefront6targetE1EEEvSF_ ; -- Begin function _ZN7rocprim17ROCPRIM_400000_NS6detail17trampoline_kernelINS0_14default_configENS1_22reduce_config_selectorIfEEZNS1_11reduce_implILb1ES3_PfS7_fN6thrust23THRUST_200600_302600_NS4plusIfEEEE10hipError_tPvRmT1_T2_T3_mT4_P12ihipStream_tbEUlT_E1_NS1_11comp_targetILNS1_3genE5ELNS1_11target_archE942ELNS1_3gpuE9ELNS1_3repE0EEENS1_30default_config_static_selectorELNS0_4arch9wavefront6targetE1EEEvSF_
	.globl	_ZN7rocprim17ROCPRIM_400000_NS6detail17trampoline_kernelINS0_14default_configENS1_22reduce_config_selectorIfEEZNS1_11reduce_implILb1ES3_PfS7_fN6thrust23THRUST_200600_302600_NS4plusIfEEEE10hipError_tPvRmT1_T2_T3_mT4_P12ihipStream_tbEUlT_E1_NS1_11comp_targetILNS1_3genE5ELNS1_11target_archE942ELNS1_3gpuE9ELNS1_3repE0EEENS1_30default_config_static_selectorELNS0_4arch9wavefront6targetE1EEEvSF_
	.p2align	8
	.type	_ZN7rocprim17ROCPRIM_400000_NS6detail17trampoline_kernelINS0_14default_configENS1_22reduce_config_selectorIfEEZNS1_11reduce_implILb1ES3_PfS7_fN6thrust23THRUST_200600_302600_NS4plusIfEEEE10hipError_tPvRmT1_T2_T3_mT4_P12ihipStream_tbEUlT_E1_NS1_11comp_targetILNS1_3genE5ELNS1_11target_archE942ELNS1_3gpuE9ELNS1_3repE0EEENS1_30default_config_static_selectorELNS0_4arch9wavefront6targetE1EEEvSF_,@function
_ZN7rocprim17ROCPRIM_400000_NS6detail17trampoline_kernelINS0_14default_configENS1_22reduce_config_selectorIfEEZNS1_11reduce_implILb1ES3_PfS7_fN6thrust23THRUST_200600_302600_NS4plusIfEEEE10hipError_tPvRmT1_T2_T3_mT4_P12ihipStream_tbEUlT_E1_NS1_11comp_targetILNS1_3genE5ELNS1_11target_archE942ELNS1_3gpuE9ELNS1_3repE0EEENS1_30default_config_static_selectorELNS0_4arch9wavefront6targetE1EEEvSF_: ; @_ZN7rocprim17ROCPRIM_400000_NS6detail17trampoline_kernelINS0_14default_configENS1_22reduce_config_selectorIfEEZNS1_11reduce_implILb1ES3_PfS7_fN6thrust23THRUST_200600_302600_NS4plusIfEEEE10hipError_tPvRmT1_T2_T3_mT4_P12ihipStream_tbEUlT_E1_NS1_11comp_targetILNS1_3genE5ELNS1_11target_archE942ELNS1_3gpuE9ELNS1_3repE0EEENS1_30default_config_static_selectorELNS0_4arch9wavefront6targetE1EEEvSF_
; %bb.0:
	.section	.rodata,"a",@progbits
	.p2align	6, 0x0
	.amdhsa_kernel _ZN7rocprim17ROCPRIM_400000_NS6detail17trampoline_kernelINS0_14default_configENS1_22reduce_config_selectorIfEEZNS1_11reduce_implILb1ES3_PfS7_fN6thrust23THRUST_200600_302600_NS4plusIfEEEE10hipError_tPvRmT1_T2_T3_mT4_P12ihipStream_tbEUlT_E1_NS1_11comp_targetILNS1_3genE5ELNS1_11target_archE942ELNS1_3gpuE9ELNS1_3repE0EEENS1_30default_config_static_selectorELNS0_4arch9wavefront6targetE1EEEvSF_
		.amdhsa_group_segment_fixed_size 0
		.amdhsa_private_segment_fixed_size 0
		.amdhsa_kernarg_size 40
		.amdhsa_user_sgpr_count 6
		.amdhsa_user_sgpr_private_segment_buffer 1
		.amdhsa_user_sgpr_dispatch_ptr 0
		.amdhsa_user_sgpr_queue_ptr 0
		.amdhsa_user_sgpr_kernarg_segment_ptr 1
		.amdhsa_user_sgpr_dispatch_id 0
		.amdhsa_user_sgpr_flat_scratch_init 0
		.amdhsa_user_sgpr_kernarg_preload_length 0
		.amdhsa_user_sgpr_kernarg_preload_offset 0
		.amdhsa_user_sgpr_private_segment_size 0
		.amdhsa_uses_dynamic_stack 0
		.amdhsa_system_sgpr_private_segment_wavefront_offset 0
		.amdhsa_system_sgpr_workgroup_id_x 1
		.amdhsa_system_sgpr_workgroup_id_y 0
		.amdhsa_system_sgpr_workgroup_id_z 0
		.amdhsa_system_sgpr_workgroup_info 0
		.amdhsa_system_vgpr_workitem_id 0
		.amdhsa_next_free_vgpr 1
		.amdhsa_next_free_sgpr 0
		.amdhsa_accum_offset 4
		.amdhsa_reserve_vcc 0
		.amdhsa_reserve_flat_scratch 0
		.amdhsa_float_round_mode_32 0
		.amdhsa_float_round_mode_16_64 0
		.amdhsa_float_denorm_mode_32 3
		.amdhsa_float_denorm_mode_16_64 3
		.amdhsa_dx10_clamp 1
		.amdhsa_ieee_mode 1
		.amdhsa_fp16_overflow 0
		.amdhsa_tg_split 0
		.amdhsa_exception_fp_ieee_invalid_op 0
		.amdhsa_exception_fp_denorm_src 0
		.amdhsa_exception_fp_ieee_div_zero 0
		.amdhsa_exception_fp_ieee_overflow 0
		.amdhsa_exception_fp_ieee_underflow 0
		.amdhsa_exception_fp_ieee_inexact 0
		.amdhsa_exception_int_div_zero 0
	.end_amdhsa_kernel
	.section	.text._ZN7rocprim17ROCPRIM_400000_NS6detail17trampoline_kernelINS0_14default_configENS1_22reduce_config_selectorIfEEZNS1_11reduce_implILb1ES3_PfS7_fN6thrust23THRUST_200600_302600_NS4plusIfEEEE10hipError_tPvRmT1_T2_T3_mT4_P12ihipStream_tbEUlT_E1_NS1_11comp_targetILNS1_3genE5ELNS1_11target_archE942ELNS1_3gpuE9ELNS1_3repE0EEENS1_30default_config_static_selectorELNS0_4arch9wavefront6targetE1EEEvSF_,"axG",@progbits,_ZN7rocprim17ROCPRIM_400000_NS6detail17trampoline_kernelINS0_14default_configENS1_22reduce_config_selectorIfEEZNS1_11reduce_implILb1ES3_PfS7_fN6thrust23THRUST_200600_302600_NS4plusIfEEEE10hipError_tPvRmT1_T2_T3_mT4_P12ihipStream_tbEUlT_E1_NS1_11comp_targetILNS1_3genE5ELNS1_11target_archE942ELNS1_3gpuE9ELNS1_3repE0EEENS1_30default_config_static_selectorELNS0_4arch9wavefront6targetE1EEEvSF_,comdat
.Lfunc_end10:
	.size	_ZN7rocprim17ROCPRIM_400000_NS6detail17trampoline_kernelINS0_14default_configENS1_22reduce_config_selectorIfEEZNS1_11reduce_implILb1ES3_PfS7_fN6thrust23THRUST_200600_302600_NS4plusIfEEEE10hipError_tPvRmT1_T2_T3_mT4_P12ihipStream_tbEUlT_E1_NS1_11comp_targetILNS1_3genE5ELNS1_11target_archE942ELNS1_3gpuE9ELNS1_3repE0EEENS1_30default_config_static_selectorELNS0_4arch9wavefront6targetE1EEEvSF_, .Lfunc_end10-_ZN7rocprim17ROCPRIM_400000_NS6detail17trampoline_kernelINS0_14default_configENS1_22reduce_config_selectorIfEEZNS1_11reduce_implILb1ES3_PfS7_fN6thrust23THRUST_200600_302600_NS4plusIfEEEE10hipError_tPvRmT1_T2_T3_mT4_P12ihipStream_tbEUlT_E1_NS1_11comp_targetILNS1_3genE5ELNS1_11target_archE942ELNS1_3gpuE9ELNS1_3repE0EEENS1_30default_config_static_selectorELNS0_4arch9wavefront6targetE1EEEvSF_
                                        ; -- End function
	.section	.AMDGPU.csdata,"",@progbits
; Kernel info:
; codeLenInByte = 0
; NumSgprs: 4
; NumVgprs: 0
; NumAgprs: 0
; TotalNumVgprs: 0
; ScratchSize: 0
; MemoryBound: 0
; FloatMode: 240
; IeeeMode: 1
; LDSByteSize: 0 bytes/workgroup (compile time only)
; SGPRBlocks: 0
; VGPRBlocks: 0
; NumSGPRsForWavesPerEU: 4
; NumVGPRsForWavesPerEU: 1
; AccumOffset: 4
; Occupancy: 8
; WaveLimiterHint : 0
; COMPUTE_PGM_RSRC2:SCRATCH_EN: 0
; COMPUTE_PGM_RSRC2:USER_SGPR: 6
; COMPUTE_PGM_RSRC2:TRAP_HANDLER: 0
; COMPUTE_PGM_RSRC2:TGID_X_EN: 1
; COMPUTE_PGM_RSRC2:TGID_Y_EN: 0
; COMPUTE_PGM_RSRC2:TGID_Z_EN: 0
; COMPUTE_PGM_RSRC2:TIDIG_COMP_CNT: 0
; COMPUTE_PGM_RSRC3_GFX90A:ACCUM_OFFSET: 0
; COMPUTE_PGM_RSRC3_GFX90A:TG_SPLIT: 0
	.section	.text._ZN7rocprim17ROCPRIM_400000_NS6detail17trampoline_kernelINS0_14default_configENS1_22reduce_config_selectorIfEEZNS1_11reduce_implILb1ES3_PfS7_fN6thrust23THRUST_200600_302600_NS4plusIfEEEE10hipError_tPvRmT1_T2_T3_mT4_P12ihipStream_tbEUlT_E1_NS1_11comp_targetILNS1_3genE4ELNS1_11target_archE910ELNS1_3gpuE8ELNS1_3repE0EEENS1_30default_config_static_selectorELNS0_4arch9wavefront6targetE1EEEvSF_,"axG",@progbits,_ZN7rocprim17ROCPRIM_400000_NS6detail17trampoline_kernelINS0_14default_configENS1_22reduce_config_selectorIfEEZNS1_11reduce_implILb1ES3_PfS7_fN6thrust23THRUST_200600_302600_NS4plusIfEEEE10hipError_tPvRmT1_T2_T3_mT4_P12ihipStream_tbEUlT_E1_NS1_11comp_targetILNS1_3genE4ELNS1_11target_archE910ELNS1_3gpuE8ELNS1_3repE0EEENS1_30default_config_static_selectorELNS0_4arch9wavefront6targetE1EEEvSF_,comdat
	.protected	_ZN7rocprim17ROCPRIM_400000_NS6detail17trampoline_kernelINS0_14default_configENS1_22reduce_config_selectorIfEEZNS1_11reduce_implILb1ES3_PfS7_fN6thrust23THRUST_200600_302600_NS4plusIfEEEE10hipError_tPvRmT1_T2_T3_mT4_P12ihipStream_tbEUlT_E1_NS1_11comp_targetILNS1_3genE4ELNS1_11target_archE910ELNS1_3gpuE8ELNS1_3repE0EEENS1_30default_config_static_selectorELNS0_4arch9wavefront6targetE1EEEvSF_ ; -- Begin function _ZN7rocprim17ROCPRIM_400000_NS6detail17trampoline_kernelINS0_14default_configENS1_22reduce_config_selectorIfEEZNS1_11reduce_implILb1ES3_PfS7_fN6thrust23THRUST_200600_302600_NS4plusIfEEEE10hipError_tPvRmT1_T2_T3_mT4_P12ihipStream_tbEUlT_E1_NS1_11comp_targetILNS1_3genE4ELNS1_11target_archE910ELNS1_3gpuE8ELNS1_3repE0EEENS1_30default_config_static_selectorELNS0_4arch9wavefront6targetE1EEEvSF_
	.globl	_ZN7rocprim17ROCPRIM_400000_NS6detail17trampoline_kernelINS0_14default_configENS1_22reduce_config_selectorIfEEZNS1_11reduce_implILb1ES3_PfS7_fN6thrust23THRUST_200600_302600_NS4plusIfEEEE10hipError_tPvRmT1_T2_T3_mT4_P12ihipStream_tbEUlT_E1_NS1_11comp_targetILNS1_3genE4ELNS1_11target_archE910ELNS1_3gpuE8ELNS1_3repE0EEENS1_30default_config_static_selectorELNS0_4arch9wavefront6targetE1EEEvSF_
	.p2align	8
	.type	_ZN7rocprim17ROCPRIM_400000_NS6detail17trampoline_kernelINS0_14default_configENS1_22reduce_config_selectorIfEEZNS1_11reduce_implILb1ES3_PfS7_fN6thrust23THRUST_200600_302600_NS4plusIfEEEE10hipError_tPvRmT1_T2_T3_mT4_P12ihipStream_tbEUlT_E1_NS1_11comp_targetILNS1_3genE4ELNS1_11target_archE910ELNS1_3gpuE8ELNS1_3repE0EEENS1_30default_config_static_selectorELNS0_4arch9wavefront6targetE1EEEvSF_,@function
_ZN7rocprim17ROCPRIM_400000_NS6detail17trampoline_kernelINS0_14default_configENS1_22reduce_config_selectorIfEEZNS1_11reduce_implILb1ES3_PfS7_fN6thrust23THRUST_200600_302600_NS4plusIfEEEE10hipError_tPvRmT1_T2_T3_mT4_P12ihipStream_tbEUlT_E1_NS1_11comp_targetILNS1_3genE4ELNS1_11target_archE910ELNS1_3gpuE8ELNS1_3repE0EEENS1_30default_config_static_selectorELNS0_4arch9wavefront6targetE1EEEvSF_: ; @_ZN7rocprim17ROCPRIM_400000_NS6detail17trampoline_kernelINS0_14default_configENS1_22reduce_config_selectorIfEEZNS1_11reduce_implILb1ES3_PfS7_fN6thrust23THRUST_200600_302600_NS4plusIfEEEE10hipError_tPvRmT1_T2_T3_mT4_P12ihipStream_tbEUlT_E1_NS1_11comp_targetILNS1_3genE4ELNS1_11target_archE910ELNS1_3gpuE8ELNS1_3repE0EEENS1_30default_config_static_selectorELNS0_4arch9wavefront6targetE1EEEvSF_
; %bb.0:
	s_load_dword s33, s[4:5], 0x4
	s_load_dwordx4 s[68:71], s[4:5], 0x8
	s_waitcnt lgkmcnt(0)
	s_cmp_lt_i32 s33, 8
	s_cbranch_scc1 .LBB11_11
; %bb.1:
	s_cmp_gt_i32 s33, 15
	s_cbranch_scc0 .LBB11_12
; %bb.2:
	s_cmp_gt_i32 s33, 31
	s_cbranch_scc0 .LBB11_13
; %bb.3:
	s_cmp_eq_u32 s33, 32
	s_mov_b64 s[66:67], 0
	s_cbranch_scc0 .LBB11_14
; %bb.4:
	s_mov_b32 s7, 0
	s_lshl_b32 s0, s6, 12
	s_mov_b32 s1, s7
	s_lshr_b64 s[2:3], s[70:71], 12
	s_lshl_b64 s[8:9], s[0:1], 2
	s_add_u32 s72, s68, s8
	s_addc_u32 s73, s69, s9
	s_cmp_lg_u64 s[2:3], s[6:7]
	s_cbranch_scc0 .LBB11_23
; %bb.5:
	v_lshlrev_b32_e32 v1, 2, v0
	global_load_dword v6, v1, s[72:73]
	global_load_dword v7, v1, s[72:73] offset:512
	global_load_dword v8, v1, s[72:73] offset:1024
	;; [unrolled: 1-line block ×7, first 2 shown]
	v_mov_b32_e32 v2, s73
	v_add_co_u32_e32 v4, vcc, s72, v1
	v_addc_co_u32_e32 v5, vcc, 0, v2, vcc
	v_add_co_u32_e32 v2, vcc, 0x1000, v4
	v_addc_co_u32_e32 v3, vcc, 0, v5, vcc
	global_load_dword v1, v[2:3], off
	global_load_dword v14, v[2:3], off offset:512
	global_load_dword v15, v[2:3], off offset:1024
	global_load_dword v16, v[2:3], off offset:1536
	global_load_dword v17, v[2:3], off offset:2048
	global_load_dword v18, v[2:3], off offset:2560
	global_load_dword v19, v[2:3], off offset:3072
	global_load_dword v20, v[2:3], off offset:3584
	v_add_co_u32_e32 v2, vcc, 0x2000, v4
	v_addc_co_u32_e32 v3, vcc, 0, v5, vcc
	global_load_dword v21, v[2:3], off
	global_load_dword v22, v[2:3], off offset:512
	global_load_dword v23, v[2:3], off offset:1024
	global_load_dword v24, v[2:3], off offset:1536
	global_load_dword v25, v[2:3], off offset:2048
	global_load_dword v26, v[2:3], off offset:2560
	global_load_dword v27, v[2:3], off offset:3072
	global_load_dword v28, v[2:3], off offset:3584
	;; [unrolled: 10-line block ×3, first 2 shown]
	v_mbcnt_lo_u32_b32 v2, -1, 0
	v_mbcnt_hi_u32_b32 v2, -1, v2
	v_lshlrev_b32_e32 v3, 2, v2
	v_cmp_eq_u32_e32 vcc, 0, v2
	s_waitcnt vmcnt(30)
	v_add_f32_e32 v6, v6, v7
	s_waitcnt vmcnt(29)
	v_add_f32_e32 v6, v6, v8
	;; [unrolled: 2-line block ×31, first 2 shown]
	v_or_b32_e32 v4, 0xfc, v3
	s_nop 0
	v_add_f32_dpp v1, v1, v1 quad_perm:[1,0,3,2] row_mask:0xf bank_mask:0xf bound_ctrl:1
	s_nop 1
	v_add_f32_dpp v1, v1, v1 quad_perm:[2,3,0,1] row_mask:0xf bank_mask:0xf bound_ctrl:1
	s_nop 1
	v_add_f32_dpp v1, v1, v1 row_ror:4 row_mask:0xf bank_mask:0xf bound_ctrl:1
	s_nop 1
	v_add_f32_dpp v1, v1, v1 row_ror:8 row_mask:0xf bank_mask:0xf bound_ctrl:1
	s_nop 1
	v_add_f32_dpp v1, v1, v1 row_bcast:15 row_mask:0xf bank_mask:0xf bound_ctrl:1
	s_nop 1
	v_add_f32_dpp v1, v1, v1 row_bcast:31 row_mask:0xf bank_mask:0xf bound_ctrl:1
	ds_bpermute_b32 v1, v4, v1
	s_and_saveexec_b64 s[2:3], vcc
	s_cbranch_execz .LBB11_7
; %bb.6:
	v_lshrrev_b32_e32 v4, 4, v0
	v_and_b32_e32 v4, 4, v4
	s_waitcnt lgkmcnt(0)
	ds_write_b32 v4, v1 offset:24
.LBB11_7:
	s_or_b64 exec, exec, s[2:3]
	v_cmp_gt_u32_e32 vcc, 64, v0
	s_waitcnt lgkmcnt(0)
	s_barrier
	s_and_saveexec_b64 s[2:3], vcc
	s_cbranch_execz .LBB11_9
; %bb.8:
	v_and_b32_e32 v1, 1, v2
	v_lshlrev_b32_e32 v1, 2, v1
	ds_read_b32 v1, v1 offset:24
	v_or_b32_e32 v2, 4, v3
	s_waitcnt lgkmcnt(0)
	ds_bpermute_b32 v2, v2, v1
	s_waitcnt lgkmcnt(0)
	v_add_f32_e32 v1, v1, v2
.LBB11_9:
	s_or_b64 exec, exec, s[2:3]
.LBB11_10:
	v_cmp_eq_u32_e64 s[0:1], 0, v0
	s_and_b64 vcc, exec, s[66:67]
	s_cbranch_vccnz .LBB11_15
	s_branch .LBB11_93
.LBB11_11:
	s_mov_b64 s[0:1], 0
                                        ; implicit-def: $vgpr1
	s_cbranch_execnz .LBB11_166
	s_branch .LBB11_224
.LBB11_12:
	s_mov_b64 s[0:1], 0
                                        ; implicit-def: $vgpr1
	s_cbranch_execnz .LBB11_134
	s_branch .LBB11_142
.LBB11_13:
	s_mov_b64 s[66:67], -1
.LBB11_14:
	s_mov_b64 s[0:1], 0
                                        ; implicit-def: $vgpr1
	s_and_b64 vcc, exec, s[66:67]
	s_cbranch_vccz .LBB11_93
.LBB11_15:
	s_cmp_eq_u32 s33, 16
	s_cbranch_scc0 .LBB11_22
; %bb.16:
	s_mov_b32 s7, 0
	s_lshl_b32 s0, s6, 11
	s_mov_b32 s1, s7
	s_lshr_b64 s[2:3], s[70:71], 11
	s_lshl_b64 s[8:9], s[0:1], 2
	s_add_u32 s34, s68, s8
	s_addc_u32 s35, s69, s9
	s_cmp_lg_u64 s[2:3], s[6:7]
	s_cbranch_scc0 .LBB11_94
; %bb.17:
	v_lshlrev_b32_e32 v1, 2, v0
	global_load_dword v5, v1, s[34:35]
	global_load_dword v6, v1, s[34:35] offset:512
	global_load_dword v7, v1, s[34:35] offset:1024
	;; [unrolled: 1-line block ×7, first 2 shown]
	v_mov_b32_e32 v2, s35
	v_add_co_u32_e32 v3, vcc, s34, v1
	v_addc_co_u32_e32 v4, vcc, 0, v2, vcc
	v_add_co_u32_e32 v2, vcc, 0x1000, v3
	v_addc_co_u32_e32 v3, vcc, 0, v4, vcc
	global_load_dword v1, v[2:3], off
	global_load_dword v4, v[2:3], off offset:512
	global_load_dword v13, v[2:3], off offset:1024
	;; [unrolled: 1-line block ×7, first 2 shown]
	v_mbcnt_lo_u32_b32 v2, -1, 0
	v_mbcnt_hi_u32_b32 v2, -1, v2
	v_lshlrev_b32_e32 v3, 2, v2
	v_cmp_eq_u32_e32 vcc, 0, v2
	s_waitcnt vmcnt(14)
	v_add_f32_e32 v5, v5, v6
	s_waitcnt vmcnt(13)
	v_add_f32_e32 v5, v5, v7
	;; [unrolled: 2-line block ×15, first 2 shown]
	v_or_b32_e32 v4, 0xfc, v3
	s_nop 0
	v_add_f32_dpp v1, v1, v1 quad_perm:[1,0,3,2] row_mask:0xf bank_mask:0xf bound_ctrl:1
	s_nop 1
	v_add_f32_dpp v1, v1, v1 quad_perm:[2,3,0,1] row_mask:0xf bank_mask:0xf bound_ctrl:1
	s_nop 1
	v_add_f32_dpp v1, v1, v1 row_ror:4 row_mask:0xf bank_mask:0xf bound_ctrl:1
	s_nop 1
	v_add_f32_dpp v1, v1, v1 row_ror:8 row_mask:0xf bank_mask:0xf bound_ctrl:1
	s_nop 1
	v_add_f32_dpp v1, v1, v1 row_bcast:15 row_mask:0xf bank_mask:0xf bound_ctrl:1
	s_nop 1
	v_add_f32_dpp v1, v1, v1 row_bcast:31 row_mask:0xf bank_mask:0xf bound_ctrl:1
	ds_bpermute_b32 v1, v4, v1
	s_and_saveexec_b64 s[2:3], vcc
	s_cbranch_execz .LBB11_19
; %bb.18:
	v_lshrrev_b32_e32 v4, 4, v0
	v_and_b32_e32 v4, 4, v4
	s_waitcnt lgkmcnt(0)
	ds_write_b32 v4, v1
.LBB11_19:
	s_or_b64 exec, exec, s[2:3]
	v_cmp_gt_u32_e32 vcc, 64, v0
	s_waitcnt lgkmcnt(0)
	s_barrier
	s_and_saveexec_b64 s[2:3], vcc
	s_cbranch_execz .LBB11_21
; %bb.20:
	v_and_b32_e32 v1, 1, v2
	v_lshlrev_b32_e32 v1, 2, v1
	ds_read_b32 v1, v1
	v_or_b32_e32 v2, 4, v3
	s_waitcnt lgkmcnt(0)
	ds_bpermute_b32 v2, v2, v1
	s_waitcnt lgkmcnt(0)
	v_add_f32_e32 v1, v1, v2
.LBB11_21:
	s_or_b64 exec, exec, s[2:3]
	s_mov_b64 s[2:3], 0
	s_branch .LBB11_95
.LBB11_22:
                                        ; implicit-def: $vgpr1
	s_branch .LBB11_142
.LBB11_23:
                                        ; implicit-def: $vgpr1
	s_cbranch_execz .LBB11_10
; %bb.24:
	s_sub_i32 s76, s70, s0
	v_cmp_gt_u32_e32 vcc, s76, v0
                                        ; implicit-def: $vgpr1
	s_and_saveexec_b64 s[0:1], vcc
	s_cbranch_execz .LBB11_26
; %bb.25:
	v_lshlrev_b32_e32 v1, 2, v0
	global_load_dword v1, v1, s[72:73]
.LBB11_26:
	s_or_b64 exec, exec, s[0:1]
	v_or_b32_e32 v2, 0x80, v0
	v_cmp_gt_u32_e32 vcc, s76, v2
                                        ; implicit-def: $vgpr2
	s_and_saveexec_b64 s[0:1], vcc
	s_cbranch_execz .LBB11_28
; %bb.27:
	v_lshlrev_b32_e32 v2, 2, v0
	global_load_dword v2, v2, s[72:73] offset:512
.LBB11_28:
	s_or_b64 exec, exec, s[0:1]
	v_or_b32_e32 v3, 0x100, v0
	v_cmp_gt_u32_e64 s[0:1], s76, v3
                                        ; implicit-def: $vgpr3
	s_and_saveexec_b64 s[2:3], s[0:1]
	s_cbranch_execz .LBB11_30
; %bb.29:
	v_lshlrev_b32_e32 v3, 2, v0
	global_load_dword v3, v3, s[72:73] offset:1024
.LBB11_30:
	s_or_b64 exec, exec, s[2:3]
	v_or_b32_e32 v4, 0x180, v0
	v_cmp_gt_u32_e64 s[2:3], s76, v4
                                        ; implicit-def: $vgpr4
	s_and_saveexec_b64 s[8:9], s[2:3]
	s_cbranch_execz .LBB11_32
; %bb.31:
	v_lshlrev_b32_e32 v4, 2, v0
	global_load_dword v4, v4, s[72:73] offset:1536
.LBB11_32:
	s_or_b64 exec, exec, s[8:9]
	v_or_b32_e32 v5, 0x200, v0
	v_cmp_gt_u32_e64 s[8:9], s76, v5
                                        ; implicit-def: $vgpr5
	s_and_saveexec_b64 s[10:11], s[8:9]
	s_cbranch_execz .LBB11_34
; %bb.33:
	v_lshlrev_b32_e32 v5, 2, v0
	global_load_dword v5, v5, s[72:73] offset:2048
.LBB11_34:
	s_or_b64 exec, exec, s[10:11]
	v_or_b32_e32 v6, 0x280, v0
	v_cmp_gt_u32_e64 s[10:11], s76, v6
                                        ; implicit-def: $vgpr6
	s_and_saveexec_b64 s[12:13], s[10:11]
	s_cbranch_execz .LBB11_36
; %bb.35:
	v_lshlrev_b32_e32 v6, 2, v0
	global_load_dword v6, v6, s[72:73] offset:2560
.LBB11_36:
	s_or_b64 exec, exec, s[12:13]
	v_or_b32_e32 v7, 0x300, v0
	v_cmp_gt_u32_e64 s[12:13], s76, v7
                                        ; implicit-def: $vgpr7
	s_and_saveexec_b64 s[14:15], s[12:13]
	s_cbranch_execz .LBB11_38
; %bb.37:
	v_lshlrev_b32_e32 v7, 2, v0
	global_load_dword v7, v7, s[72:73] offset:3072
.LBB11_38:
	s_or_b64 exec, exec, s[14:15]
	v_or_b32_e32 v8, 0x380, v0
	v_cmp_gt_u32_e64 s[14:15], s76, v8
                                        ; implicit-def: $vgpr8
	s_and_saveexec_b64 s[16:17], s[14:15]
	s_cbranch_execz .LBB11_40
; %bb.39:
	v_lshlrev_b32_e32 v8, 2, v0
	global_load_dword v8, v8, s[72:73] offset:3584
.LBB11_40:
	s_or_b64 exec, exec, s[16:17]
	v_or_b32_e32 v10, 0x400, v0
	v_cmp_gt_u32_e64 s[16:17], s76, v10
                                        ; implicit-def: $vgpr9
	s_and_saveexec_b64 s[18:19], s[16:17]
	s_cbranch_execz .LBB11_42
; %bb.41:
	v_lshlrev_b32_e32 v9, 2, v10
	global_load_dword v9, v9, s[72:73]
.LBB11_42:
	s_or_b64 exec, exec, s[18:19]
	v_or_b32_e32 v11, 0x480, v0
	v_cmp_gt_u32_e64 s[18:19], s76, v11
                                        ; implicit-def: $vgpr10
	s_and_saveexec_b64 s[20:21], s[18:19]
	s_cbranch_execz .LBB11_44
; %bb.43:
	v_lshlrev_b32_e32 v10, 2, v11
	global_load_dword v10, v10, s[72:73]
.LBB11_44:
	s_or_b64 exec, exec, s[20:21]
	v_or_b32_e32 v12, 0x500, v0
	v_cmp_gt_u32_e64 s[20:21], s76, v12
                                        ; implicit-def: $vgpr11
	s_and_saveexec_b64 s[22:23], s[20:21]
	s_cbranch_execz .LBB11_46
; %bb.45:
	v_lshlrev_b32_e32 v11, 2, v12
	global_load_dword v11, v11, s[72:73]
.LBB11_46:
	s_or_b64 exec, exec, s[22:23]
	v_or_b32_e32 v13, 0x580, v0
	v_cmp_gt_u32_e64 s[22:23], s76, v13
                                        ; implicit-def: $vgpr12
	s_and_saveexec_b64 s[24:25], s[22:23]
	s_cbranch_execz .LBB11_48
; %bb.47:
	v_lshlrev_b32_e32 v12, 2, v13
	global_load_dword v12, v12, s[72:73]
.LBB11_48:
	s_or_b64 exec, exec, s[24:25]
	v_or_b32_e32 v14, 0x600, v0
	v_cmp_gt_u32_e64 s[24:25], s76, v14
                                        ; implicit-def: $vgpr13
	s_and_saveexec_b64 s[26:27], s[24:25]
	s_cbranch_execz .LBB11_50
; %bb.49:
	v_lshlrev_b32_e32 v13, 2, v14
	global_load_dword v13, v13, s[72:73]
.LBB11_50:
	s_or_b64 exec, exec, s[26:27]
	v_or_b32_e32 v15, 0x680, v0
	v_cmp_gt_u32_e64 s[26:27], s76, v15
                                        ; implicit-def: $vgpr14
	s_and_saveexec_b64 s[28:29], s[26:27]
	s_cbranch_execz .LBB11_52
; %bb.51:
	v_lshlrev_b32_e32 v14, 2, v15
	global_load_dword v14, v14, s[72:73]
.LBB11_52:
	s_or_b64 exec, exec, s[28:29]
	v_or_b32_e32 v16, 0x700, v0
	v_cmp_gt_u32_e64 s[28:29], s76, v16
                                        ; implicit-def: $vgpr15
	s_and_saveexec_b64 s[30:31], s[28:29]
	s_cbranch_execz .LBB11_54
; %bb.53:
	v_lshlrev_b32_e32 v15, 2, v16
	global_load_dword v15, v15, s[72:73]
.LBB11_54:
	s_or_b64 exec, exec, s[30:31]
	v_or_b32_e32 v17, 0x780, v0
	v_cmp_gt_u32_e64 s[30:31], s76, v17
                                        ; implicit-def: $vgpr16
	s_and_saveexec_b64 s[34:35], s[30:31]
	s_cbranch_execz .LBB11_56
; %bb.55:
	v_lshlrev_b32_e32 v16, 2, v17
	global_load_dword v16, v16, s[72:73]
.LBB11_56:
	s_or_b64 exec, exec, s[34:35]
	v_or_b32_e32 v18, 0x800, v0
	v_cmp_gt_u32_e64 s[34:35], s76, v18
                                        ; implicit-def: $vgpr17
	s_and_saveexec_b64 s[36:37], s[34:35]
	s_cbranch_execz .LBB11_58
; %bb.57:
	v_lshlrev_b32_e32 v17, 2, v18
	global_load_dword v17, v17, s[72:73]
.LBB11_58:
	s_or_b64 exec, exec, s[36:37]
	v_or_b32_e32 v19, 0x880, v0
	v_cmp_gt_u32_e64 s[36:37], s76, v19
                                        ; implicit-def: $vgpr18
	s_and_saveexec_b64 s[38:39], s[36:37]
	s_cbranch_execz .LBB11_60
; %bb.59:
	v_lshlrev_b32_e32 v18, 2, v19
	global_load_dword v18, v18, s[72:73]
.LBB11_60:
	s_or_b64 exec, exec, s[38:39]
	v_or_b32_e32 v20, 0x900, v0
	v_cmp_gt_u32_e64 s[38:39], s76, v20
                                        ; implicit-def: $vgpr19
	s_and_saveexec_b64 s[40:41], s[38:39]
	s_cbranch_execz .LBB11_62
; %bb.61:
	v_lshlrev_b32_e32 v19, 2, v20
	global_load_dword v19, v19, s[72:73]
.LBB11_62:
	s_or_b64 exec, exec, s[40:41]
	v_or_b32_e32 v21, 0x980, v0
	v_cmp_gt_u32_e64 s[40:41], s76, v21
                                        ; implicit-def: $vgpr20
	s_and_saveexec_b64 s[42:43], s[40:41]
	s_cbranch_execz .LBB11_64
; %bb.63:
	v_lshlrev_b32_e32 v20, 2, v21
	global_load_dword v20, v20, s[72:73]
.LBB11_64:
	s_or_b64 exec, exec, s[42:43]
	v_or_b32_e32 v22, 0xa00, v0
	v_cmp_gt_u32_e64 s[42:43], s76, v22
                                        ; implicit-def: $vgpr21
	s_and_saveexec_b64 s[44:45], s[42:43]
	s_cbranch_execz .LBB11_66
; %bb.65:
	v_lshlrev_b32_e32 v21, 2, v22
	global_load_dword v21, v21, s[72:73]
.LBB11_66:
	s_or_b64 exec, exec, s[44:45]
	v_or_b32_e32 v23, 0xa80, v0
	v_cmp_gt_u32_e64 s[44:45], s76, v23
                                        ; implicit-def: $vgpr22
	s_and_saveexec_b64 s[46:47], s[44:45]
	s_cbranch_execz .LBB11_68
; %bb.67:
	v_lshlrev_b32_e32 v22, 2, v23
	global_load_dword v22, v22, s[72:73]
.LBB11_68:
	s_or_b64 exec, exec, s[46:47]
	v_or_b32_e32 v24, 0xb00, v0
	v_cmp_gt_u32_e64 s[46:47], s76, v24
                                        ; implicit-def: $vgpr23
	s_and_saveexec_b64 s[48:49], s[46:47]
	s_cbranch_execz .LBB11_70
; %bb.69:
	v_lshlrev_b32_e32 v23, 2, v24
	global_load_dword v23, v23, s[72:73]
.LBB11_70:
	s_or_b64 exec, exec, s[48:49]
	v_or_b32_e32 v25, 0xb80, v0
	v_cmp_gt_u32_e64 s[48:49], s76, v25
                                        ; implicit-def: $vgpr24
	s_and_saveexec_b64 s[50:51], s[48:49]
	s_cbranch_execz .LBB11_72
; %bb.71:
	v_lshlrev_b32_e32 v24, 2, v25
	global_load_dword v24, v24, s[72:73]
.LBB11_72:
	s_or_b64 exec, exec, s[50:51]
	v_or_b32_e32 v26, 0xc00, v0
	v_cmp_gt_u32_e64 s[50:51], s76, v26
                                        ; implicit-def: $vgpr25
	s_and_saveexec_b64 s[52:53], s[50:51]
	s_cbranch_execz .LBB11_74
; %bb.73:
	v_lshlrev_b32_e32 v25, 2, v26
	global_load_dword v25, v25, s[72:73]
.LBB11_74:
	s_or_b64 exec, exec, s[52:53]
	v_or_b32_e32 v27, 0xc80, v0
	v_cmp_gt_u32_e64 s[52:53], s76, v27
                                        ; implicit-def: $vgpr26
	s_and_saveexec_b64 s[54:55], s[52:53]
	s_cbranch_execz .LBB11_76
; %bb.75:
	v_lshlrev_b32_e32 v26, 2, v27
	global_load_dword v26, v26, s[72:73]
.LBB11_76:
	s_or_b64 exec, exec, s[54:55]
	v_or_b32_e32 v28, 0xd00, v0
	v_cmp_gt_u32_e64 s[54:55], s76, v28
                                        ; implicit-def: $vgpr27
	s_and_saveexec_b64 s[56:57], s[54:55]
	s_cbranch_execz .LBB11_78
; %bb.77:
	v_lshlrev_b32_e32 v27, 2, v28
	global_load_dword v27, v27, s[72:73]
.LBB11_78:
	s_or_b64 exec, exec, s[56:57]
	v_or_b32_e32 v29, 0xd80, v0
	v_cmp_gt_u32_e64 s[56:57], s76, v29
                                        ; implicit-def: $vgpr28
	s_and_saveexec_b64 s[58:59], s[56:57]
	s_cbranch_execz .LBB11_80
; %bb.79:
	v_lshlrev_b32_e32 v28, 2, v29
	global_load_dword v28, v28, s[72:73]
.LBB11_80:
	s_or_b64 exec, exec, s[58:59]
	v_or_b32_e32 v30, 0xe00, v0
	v_cmp_gt_u32_e64 s[58:59], s76, v30
                                        ; implicit-def: $vgpr29
	s_and_saveexec_b64 s[60:61], s[58:59]
	s_cbranch_execz .LBB11_82
; %bb.81:
	v_lshlrev_b32_e32 v29, 2, v30
	global_load_dword v29, v29, s[72:73]
.LBB11_82:
	s_or_b64 exec, exec, s[60:61]
	v_or_b32_e32 v31, 0xe80, v0
	v_cmp_gt_u32_e64 s[60:61], s76, v31
                                        ; implicit-def: $vgpr30
	s_and_saveexec_b64 s[62:63], s[60:61]
	s_cbranch_execz .LBB11_84
; %bb.83:
	v_lshlrev_b32_e32 v30, 2, v31
	global_load_dword v30, v30, s[72:73]
.LBB11_84:
	s_or_b64 exec, exec, s[62:63]
	v_or_b32_e32 v32, 0xf00, v0
	v_cmp_gt_u32_e64 s[62:63], s76, v32
                                        ; implicit-def: $vgpr31
	s_and_saveexec_b64 s[64:65], s[62:63]
	s_cbranch_execz .LBB11_86
; %bb.85:
	v_lshlrev_b32_e32 v31, 2, v32
	global_load_dword v31, v31, s[72:73]
.LBB11_86:
	s_or_b64 exec, exec, s[64:65]
	v_or_b32_e32 v33, 0xf80, v0
	v_cmp_gt_u32_e64 s[64:65], s76, v33
                                        ; implicit-def: $vgpr32
	s_and_saveexec_b64 s[74:75], s[64:65]
	s_cbranch_execz .LBB11_88
; %bb.87:
	v_lshlrev_b32_e32 v32, 2, v33
	global_load_dword v32, v32, s[72:73]
.LBB11_88:
	s_or_b64 exec, exec, s[74:75]
	s_waitcnt vmcnt(0)
	v_add_f32_e32 v2, v1, v2
	v_cndmask_b32_e32 v1, v1, v2, vcc
	v_add_f32_e32 v2, v1, v3
	v_cndmask_b32_e64 v1, v1, v2, s[0:1]
	v_add_f32_e32 v2, v1, v4
	v_cndmask_b32_e64 v1, v1, v2, s[2:3]
	;; [unrolled: 2-line block ×30, first 2 shown]
	v_mbcnt_lo_u32_b32 v2, -1, 0
	v_mbcnt_hi_u32_b32 v2, -1, v2
	v_and_b32_e32 v3, 63, v2
	v_cmp_ne_u32_e32 vcc, 63, v3
	v_addc_co_u32_e32 v4, vcc, 0, v2, vcc
	v_lshlrev_b32_e32 v4, 2, v4
	ds_bpermute_b32 v4, v4, v1
	s_min_u32 s2, s76, 0x80
	v_and_b32_e32 v5, 64, v0
	v_sub_u32_e64 v5, s2, v5 clamp
	v_add_u32_e32 v6, 1, v3
	v_cmp_gt_u32_e64 s[0:1], 62, v3
	v_cmp_lt_u32_e32 vcc, v6, v5
	v_cndmask_b32_e64 v6, 0, 1, s[0:1]
	s_waitcnt lgkmcnt(0)
	v_add_f32_e32 v4, v1, v4
	v_lshlrev_b32_e32 v6, 1, v6
	v_cndmask_b32_e32 v4, v1, v4, vcc
	v_add_lshl_u32 v6, v6, v2, 2
	ds_bpermute_b32 v6, v6, v4
	v_add_u32_e32 v7, 2, v3
	v_cmp_lt_u32_e64 s[0:1], v7, v5
	v_add_u32_e32 v7, 4, v3
	s_waitcnt lgkmcnt(0)
	v_add_f32_e32 v6, v4, v6
	v_cndmask_b32_e64 v4, v4, v6, s[0:1]
	v_cmp_gt_u32_e64 s[0:1], 60, v3
	v_cndmask_b32_e64 v6, 0, 1, s[0:1]
	v_lshlrev_b32_e32 v6, 2, v6
	v_add_lshl_u32 v6, v6, v2, 2
	ds_bpermute_b32 v6, v6, v4
	v_cmp_lt_u32_e64 s[0:1], v7, v5
	v_add_u32_e32 v7, 8, v3
	s_waitcnt lgkmcnt(0)
	v_add_f32_e32 v6, v4, v6
	v_cndmask_b32_e64 v4, v4, v6, s[0:1]
	v_cmp_gt_u32_e64 s[0:1], 56, v3
	v_cndmask_b32_e64 v6, 0, 1, s[0:1]
	v_lshlrev_b32_e32 v6, 3, v6
	v_add_lshl_u32 v6, v6, v2, 2
	ds_bpermute_b32 v6, v6, v4
	;; [unrolled: 10-line block ×3, first 2 shown]
	v_cmp_lt_u32_e64 s[0:1], v7, v5
	s_waitcnt lgkmcnt(0)
	v_add_f32_e32 v6, v4, v6
	v_cndmask_b32_e64 v4, v4, v6, s[0:1]
	v_cmp_gt_u32_e64 s[0:1], 32, v3
	v_cndmask_b32_e64 v6, 0, 1, s[0:1]
	v_lshlrev_b32_e32 v6, 5, v6
	v_add_lshl_u32 v6, v6, v2, 2
	ds_bpermute_b32 v6, v6, v4
	v_add_u32_e32 v3, 32, v3
	v_cmp_lt_u32_e64 s[0:1], v3, v5
	s_waitcnt lgkmcnt(0)
	v_add_f32_e32 v6, v4, v6
	v_cndmask_b32_e64 v3, v4, v6, s[0:1]
	v_cndmask_b32_e32 v1, v1, v3, vcc
	v_cmp_eq_u32_e32 vcc, 0, v2
	s_and_saveexec_b64 s[0:1], vcc
	s_cbranch_execz .LBB11_90
; %bb.89:
	v_lshrrev_b32_e32 v3, 4, v0
	v_and_b32_e32 v3, 4, v3
	ds_write_b32 v3, v1 offset:48
.LBB11_90:
	s_or_b64 exec, exec, s[0:1]
	v_cmp_gt_u32_e32 vcc, 2, v0
	s_waitcnt lgkmcnt(0)
	s_barrier
	s_and_saveexec_b64 s[0:1], vcc
	s_cbranch_execz .LBB11_92
; %bb.91:
	v_lshlrev_b32_e32 v1, 2, v2
	ds_read_b32 v3, v1 offset:48
	v_or_b32_e32 v1, 4, v1
	s_add_i32 s2, s2, 63
	v_and_b32_e32 v2, 1, v2
	s_lshr_b32 s2, s2, 6
	s_waitcnt lgkmcnt(0)
	ds_bpermute_b32 v1, v1, v3
	v_add_u32_e32 v2, 1, v2
	v_cmp_gt_u32_e32 vcc, s2, v2
	s_waitcnt lgkmcnt(0)
	v_add_f32_e32 v1, v3, v1
	v_cndmask_b32_e32 v1, v3, v1, vcc
.LBB11_92:
	s_or_b64 exec, exec, s[0:1]
	v_cmp_eq_u32_e64 s[0:1], 0, v0
	s_and_b64 vcc, exec, s[66:67]
	s_cbranch_vccnz .LBB11_15
.LBB11_93:
	s_branch .LBB11_142
.LBB11_94:
	s_mov_b64 s[2:3], -1
                                        ; implicit-def: $vgpr1
.LBB11_95:
	s_and_b64 vcc, exec, s[2:3]
	s_cbranch_vccz .LBB11_133
; %bb.96:
	s_sub_i32 s38, s70, s0
	v_cmp_gt_u32_e32 vcc, s38, v0
                                        ; implicit-def: $vgpr2_vgpr3_vgpr4_vgpr5_vgpr6_vgpr7_vgpr8_vgpr9_vgpr10_vgpr11_vgpr12_vgpr13_vgpr14_vgpr15_vgpr16_vgpr17
	s_and_saveexec_b64 s[0:1], vcc
	s_cbranch_execz .LBB11_98
; %bb.97:
	v_lshlrev_b32_e32 v1, 2, v0
	global_load_dword v2, v1, s[34:35]
.LBB11_98:
	s_or_b64 exec, exec, s[0:1]
	v_or_b32_e32 v1, 0x80, v0
	v_cmp_gt_u32_e32 vcc, s38, v1
	s_and_saveexec_b64 s[0:1], vcc
	s_cbranch_execz .LBB11_100
; %bb.99:
	v_lshlrev_b32_e32 v1, 2, v0
	global_load_dword v3, v1, s[34:35] offset:512
.LBB11_100:
	s_or_b64 exec, exec, s[0:1]
	v_or_b32_e32 v1, 0x100, v0
	v_cmp_gt_u32_e64 s[0:1], s38, v1
	s_and_saveexec_b64 s[2:3], s[0:1]
	s_cbranch_execz .LBB11_102
; %bb.101:
	v_lshlrev_b32_e32 v1, 2, v0
	global_load_dword v4, v1, s[34:35] offset:1024
.LBB11_102:
	s_or_b64 exec, exec, s[2:3]
	v_or_b32_e32 v1, 0x180, v0
	v_cmp_gt_u32_e64 s[2:3], s38, v1
	s_and_saveexec_b64 s[8:9], s[2:3]
	;; [unrolled: 9-line block ×7, first 2 shown]
	s_cbranch_execz .LBB11_114
; %bb.113:
	v_lshlrev_b32_e32 v1, 2, v1
	global_load_dword v10, v1, s[34:35]
.LBB11_114:
	s_or_b64 exec, exec, s[18:19]
	v_or_b32_e32 v1, 0x480, v0
	v_cmp_gt_u32_e64 s[18:19], s38, v1
	s_and_saveexec_b64 s[20:21], s[18:19]
	s_cbranch_execz .LBB11_116
; %bb.115:
	v_lshlrev_b32_e32 v1, 2, v1
	global_load_dword v11, v1, s[34:35]
.LBB11_116:
	s_or_b64 exec, exec, s[20:21]
	v_or_b32_e32 v1, 0x500, v0
	v_cmp_gt_u32_e64 s[20:21], s38, v1
	s_and_saveexec_b64 s[22:23], s[20:21]
	;; [unrolled: 9-line block ×7, first 2 shown]
	s_cbranch_execz .LBB11_128
; %bb.127:
	v_lshlrev_b32_e32 v1, 2, v1
	global_load_dword v17, v1, s[34:35]
.LBB11_128:
	s_or_b64 exec, exec, s[36:37]
	s_waitcnt vmcnt(0)
	v_add_f32_e32 v1, v2, v3
	v_cndmask_b32_e32 v1, v2, v1, vcc
	v_add_f32_e32 v2, v4, v1
	v_cndmask_b32_e64 v1, v1, v2, s[0:1]
	v_add_f32_e32 v2, v5, v1
	v_cndmask_b32_e64 v1, v1, v2, s[2:3]
	;; [unrolled: 2-line block ×14, first 2 shown]
	v_mbcnt_lo_u32_b32 v2, -1, 0
	v_mbcnt_hi_u32_b32 v2, -1, v2
	v_and_b32_e32 v3, 63, v2
	v_cmp_ne_u32_e32 vcc, 63, v3
	v_addc_co_u32_e32 v4, vcc, 0, v2, vcc
	v_lshlrev_b32_e32 v4, 2, v4
	ds_bpermute_b32 v4, v4, v1
	s_min_u32 s2, s38, 0x80
	v_and_b32_e32 v5, 64, v0
	v_sub_u32_e64 v5, s2, v5 clamp
	v_add_u32_e32 v6, 1, v3
	v_cmp_gt_u32_e64 s[0:1], 62, v3
	v_cmp_lt_u32_e32 vcc, v6, v5
	v_cndmask_b32_e64 v6, 0, 1, s[0:1]
	s_waitcnt lgkmcnt(0)
	v_add_f32_e32 v4, v1, v4
	v_lshlrev_b32_e32 v6, 1, v6
	v_cndmask_b32_e32 v4, v1, v4, vcc
	v_add_lshl_u32 v6, v6, v2, 2
	ds_bpermute_b32 v6, v6, v4
	v_add_u32_e32 v7, 2, v3
	v_cmp_lt_u32_e64 s[0:1], v7, v5
	v_add_u32_e32 v7, 4, v3
	s_waitcnt lgkmcnt(0)
	v_add_f32_e32 v6, v4, v6
	v_cndmask_b32_e64 v4, v4, v6, s[0:1]
	v_cmp_gt_u32_e64 s[0:1], 60, v3
	v_cndmask_b32_e64 v6, 0, 1, s[0:1]
	v_lshlrev_b32_e32 v6, 2, v6
	v_add_lshl_u32 v6, v6, v2, 2
	ds_bpermute_b32 v6, v6, v4
	v_cmp_lt_u32_e64 s[0:1], v7, v5
	v_add_u32_e32 v7, 8, v3
	s_waitcnt lgkmcnt(0)
	v_add_f32_e32 v6, v4, v6
	v_cndmask_b32_e64 v4, v4, v6, s[0:1]
	v_cmp_gt_u32_e64 s[0:1], 56, v3
	v_cndmask_b32_e64 v6, 0, 1, s[0:1]
	v_lshlrev_b32_e32 v6, 3, v6
	v_add_lshl_u32 v6, v6, v2, 2
	ds_bpermute_b32 v6, v6, v4
	;; [unrolled: 10-line block ×3, first 2 shown]
	v_cmp_lt_u32_e64 s[0:1], v7, v5
	s_waitcnt lgkmcnt(0)
	v_add_f32_e32 v6, v4, v6
	v_cndmask_b32_e64 v4, v4, v6, s[0:1]
	v_cmp_gt_u32_e64 s[0:1], 32, v3
	v_cndmask_b32_e64 v6, 0, 1, s[0:1]
	v_lshlrev_b32_e32 v6, 5, v6
	v_add_lshl_u32 v6, v6, v2, 2
	ds_bpermute_b32 v6, v6, v4
	v_add_u32_e32 v3, 32, v3
	v_cmp_lt_u32_e64 s[0:1], v3, v5
	s_waitcnt lgkmcnt(0)
	v_add_f32_e32 v6, v4, v6
	v_cndmask_b32_e64 v3, v4, v6, s[0:1]
	v_cndmask_b32_e32 v1, v1, v3, vcc
	v_cmp_eq_u32_e32 vcc, 0, v2
	s_and_saveexec_b64 s[0:1], vcc
	s_cbranch_execz .LBB11_130
; %bb.129:
	v_lshrrev_b32_e32 v3, 4, v0
	v_and_b32_e32 v3, 4, v3
	ds_write_b32 v3, v1 offset:48
.LBB11_130:
	s_or_b64 exec, exec, s[0:1]
	v_cmp_gt_u32_e32 vcc, 2, v0
	s_waitcnt lgkmcnt(0)
	s_barrier
	s_and_saveexec_b64 s[0:1], vcc
	s_cbranch_execz .LBB11_132
; %bb.131:
	v_lshlrev_b32_e32 v1, 2, v2
	ds_read_b32 v3, v1 offset:48
	v_or_b32_e32 v1, 4, v1
	s_add_i32 s2, s2, 63
	v_and_b32_e32 v2, 1, v2
	s_lshr_b32 s2, s2, 6
	s_waitcnt lgkmcnt(0)
	ds_bpermute_b32 v1, v1, v3
	v_add_u32_e32 v2, 1, v2
	v_cmp_gt_u32_e32 vcc, s2, v2
	s_waitcnt lgkmcnt(0)
	v_add_f32_e32 v1, v3, v1
	v_cndmask_b32_e32 v1, v3, v1, vcc
.LBB11_132:
	s_or_b64 exec, exec, s[0:1]
.LBB11_133:
	v_cmp_eq_u32_e64 s[0:1], 0, v0
	s_branch .LBB11_142
.LBB11_134:
	s_cmp_eq_u32 s33, 8
	s_cbranch_scc0 .LBB11_141
; %bb.135:
	s_mov_b32 s7, 0
	s_lshl_b32 s0, s6, 10
	s_mov_b32 s1, s7
	s_lshr_b64 s[2:3], s[70:71], 10
	s_lshl_b64 s[8:9], s[0:1], 2
	s_add_u32 s16, s68, s8
	s_addc_u32 s17, s69, s9
	s_cmp_lg_u64 s[2:3], s[6:7]
	s_cbranch_scc0 .LBB11_143
; %bb.136:
	v_lshlrev_b32_e32 v1, 2, v0
	global_load_dword v4, v1, s[16:17]
	global_load_dword v5, v1, s[16:17] offset:512
	global_load_dword v6, v1, s[16:17] offset:1024
	;; [unrolled: 1-line block ×7, first 2 shown]
	v_mbcnt_lo_u32_b32 v1, -1, 0
	v_mbcnt_hi_u32_b32 v2, -1, v1
	v_lshlrev_b32_e32 v3, 2, v2
	v_cmp_eq_u32_e32 vcc, 0, v2
	s_waitcnt vmcnt(6)
	v_add_f32_e32 v1, v4, v5
	s_waitcnt vmcnt(5)
	v_add_f32_e32 v1, v1, v6
	;; [unrolled: 2-line block ×7, first 2 shown]
	v_or_b32_e32 v4, 0xfc, v3
	s_nop 0
	v_add_f32_dpp v1, v1, v1 quad_perm:[1,0,3,2] row_mask:0xf bank_mask:0xf bound_ctrl:1
	s_nop 1
	v_add_f32_dpp v1, v1, v1 quad_perm:[2,3,0,1] row_mask:0xf bank_mask:0xf bound_ctrl:1
	s_nop 1
	v_add_f32_dpp v1, v1, v1 row_ror:4 row_mask:0xf bank_mask:0xf bound_ctrl:1
	s_nop 1
	v_add_f32_dpp v1, v1, v1 row_ror:8 row_mask:0xf bank_mask:0xf bound_ctrl:1
	s_nop 1
	v_add_f32_dpp v1, v1, v1 row_bcast:15 row_mask:0xf bank_mask:0xf bound_ctrl:1
	s_nop 1
	v_add_f32_dpp v1, v1, v1 row_bcast:31 row_mask:0xf bank_mask:0xf bound_ctrl:1
	ds_bpermute_b32 v1, v4, v1
	s_and_saveexec_b64 s[2:3], vcc
	s_cbranch_execz .LBB11_138
; %bb.137:
	v_lshrrev_b32_e32 v4, 4, v0
	v_and_b32_e32 v4, 4, v4
	s_waitcnt lgkmcnt(0)
	ds_write_b32 v4, v1 offset:40
.LBB11_138:
	s_or_b64 exec, exec, s[2:3]
	v_cmp_gt_u32_e32 vcc, 64, v0
	s_waitcnt lgkmcnt(0)
	s_barrier
	s_and_saveexec_b64 s[2:3], vcc
	s_cbranch_execz .LBB11_140
; %bb.139:
	v_and_b32_e32 v1, 1, v2
	v_lshlrev_b32_e32 v1, 2, v1
	ds_read_b32 v1, v1 offset:40
	v_or_b32_e32 v2, 4, v3
	s_waitcnt lgkmcnt(0)
	ds_bpermute_b32 v2, v2, v1
	s_waitcnt lgkmcnt(0)
	v_add_f32_e32 v1, v1, v2
.LBB11_140:
	s_or_b64 exec, exec, s[2:3]
	s_branch .LBB11_165
.LBB11_141:
                                        ; implicit-def: $vgpr1
.LBB11_142:
	s_branch .LBB11_224
.LBB11_143:
                                        ; implicit-def: $vgpr1
	s_cbranch_execz .LBB11_165
; %bb.144:
	s_sub_i32 s20, s70, s0
	v_cmp_gt_u32_e32 vcc, s20, v0
                                        ; implicit-def: $vgpr2_vgpr3_vgpr4_vgpr5_vgpr6_vgpr7_vgpr8_vgpr9
	s_and_saveexec_b64 s[0:1], vcc
	s_cbranch_execz .LBB11_146
; %bb.145:
	v_lshlrev_b32_e32 v1, 2, v0
	global_load_dword v2, v1, s[16:17]
.LBB11_146:
	s_or_b64 exec, exec, s[0:1]
	v_or_b32_e32 v1, 0x80, v0
	v_cmp_gt_u32_e32 vcc, s20, v1
	s_and_saveexec_b64 s[0:1], vcc
	s_cbranch_execz .LBB11_148
; %bb.147:
	v_lshlrev_b32_e32 v1, 2, v0
	global_load_dword v3, v1, s[16:17] offset:512
.LBB11_148:
	s_or_b64 exec, exec, s[0:1]
	v_or_b32_e32 v1, 0x100, v0
	v_cmp_gt_u32_e64 s[0:1], s20, v1
	s_and_saveexec_b64 s[2:3], s[0:1]
	s_cbranch_execz .LBB11_150
; %bb.149:
	v_lshlrev_b32_e32 v1, 2, v0
	global_load_dword v4, v1, s[16:17] offset:1024
.LBB11_150:
	s_or_b64 exec, exec, s[2:3]
	v_or_b32_e32 v1, 0x180, v0
	v_cmp_gt_u32_e64 s[2:3], s20, v1
	s_and_saveexec_b64 s[8:9], s[2:3]
	;; [unrolled: 9-line block ×6, first 2 shown]
	s_cbranch_execz .LBB11_160
; %bb.159:
	v_lshlrev_b32_e32 v1, 2, v0
	global_load_dword v9, v1, s[16:17] offset:3584
.LBB11_160:
	s_or_b64 exec, exec, s[18:19]
	s_waitcnt vmcnt(0)
	v_add_f32_e32 v1, v2, v3
	v_cndmask_b32_e32 v1, v2, v1, vcc
	v_add_f32_e32 v2, v4, v1
	v_cndmask_b32_e64 v1, v1, v2, s[0:1]
	v_add_f32_e32 v2, v5, v1
	v_cndmask_b32_e64 v1, v1, v2, s[2:3]
	;; [unrolled: 2-line block ×6, first 2 shown]
	v_mbcnt_lo_u32_b32 v2, -1, 0
	v_mbcnt_hi_u32_b32 v2, -1, v2
	v_and_b32_e32 v3, 63, v2
	v_cmp_ne_u32_e32 vcc, 63, v3
	v_addc_co_u32_e32 v4, vcc, 0, v2, vcc
	v_lshlrev_b32_e32 v4, 2, v4
	ds_bpermute_b32 v4, v4, v1
	s_min_u32 s2, s20, 0x80
	v_and_b32_e32 v5, 64, v0
	v_sub_u32_e64 v5, s2, v5 clamp
	v_add_u32_e32 v6, 1, v3
	v_cmp_gt_u32_e64 s[0:1], 62, v3
	v_cmp_lt_u32_e32 vcc, v6, v5
	v_cndmask_b32_e64 v6, 0, 1, s[0:1]
	s_waitcnt lgkmcnt(0)
	v_add_f32_e32 v4, v1, v4
	v_lshlrev_b32_e32 v6, 1, v6
	v_cndmask_b32_e32 v4, v1, v4, vcc
	v_add_lshl_u32 v6, v6, v2, 2
	ds_bpermute_b32 v6, v6, v4
	v_add_u32_e32 v7, 2, v3
	v_cmp_lt_u32_e64 s[0:1], v7, v5
	v_add_u32_e32 v7, 4, v3
	s_waitcnt lgkmcnt(0)
	v_add_f32_e32 v6, v4, v6
	v_cndmask_b32_e64 v4, v4, v6, s[0:1]
	v_cmp_gt_u32_e64 s[0:1], 60, v3
	v_cndmask_b32_e64 v6, 0, 1, s[0:1]
	v_lshlrev_b32_e32 v6, 2, v6
	v_add_lshl_u32 v6, v6, v2, 2
	ds_bpermute_b32 v6, v6, v4
	v_cmp_lt_u32_e64 s[0:1], v7, v5
	v_add_u32_e32 v7, 8, v3
	s_waitcnt lgkmcnt(0)
	v_add_f32_e32 v6, v4, v6
	v_cndmask_b32_e64 v4, v4, v6, s[0:1]
	v_cmp_gt_u32_e64 s[0:1], 56, v3
	v_cndmask_b32_e64 v6, 0, 1, s[0:1]
	v_lshlrev_b32_e32 v6, 3, v6
	v_add_lshl_u32 v6, v6, v2, 2
	ds_bpermute_b32 v6, v6, v4
	;; [unrolled: 10-line block ×3, first 2 shown]
	v_cmp_lt_u32_e64 s[0:1], v7, v5
	s_waitcnt lgkmcnt(0)
	v_add_f32_e32 v6, v4, v6
	v_cndmask_b32_e64 v4, v4, v6, s[0:1]
	v_cmp_gt_u32_e64 s[0:1], 32, v3
	v_cndmask_b32_e64 v6, 0, 1, s[0:1]
	v_lshlrev_b32_e32 v6, 5, v6
	v_add_lshl_u32 v6, v6, v2, 2
	ds_bpermute_b32 v6, v6, v4
	v_add_u32_e32 v3, 32, v3
	v_cmp_lt_u32_e64 s[0:1], v3, v5
	s_waitcnt lgkmcnt(0)
	v_add_f32_e32 v6, v4, v6
	v_cndmask_b32_e64 v3, v4, v6, s[0:1]
	v_cndmask_b32_e32 v1, v1, v3, vcc
	v_cmp_eq_u32_e32 vcc, 0, v2
	s_and_saveexec_b64 s[0:1], vcc
	s_cbranch_execz .LBB11_162
; %bb.161:
	v_lshrrev_b32_e32 v3, 4, v0
	v_and_b32_e32 v3, 4, v3
	ds_write_b32 v3, v1 offset:48
.LBB11_162:
	s_or_b64 exec, exec, s[0:1]
	v_cmp_gt_u32_e32 vcc, 2, v0
	s_waitcnt lgkmcnt(0)
	s_barrier
	s_and_saveexec_b64 s[0:1], vcc
	s_cbranch_execz .LBB11_164
; %bb.163:
	v_lshlrev_b32_e32 v1, 2, v2
	ds_read_b32 v3, v1 offset:48
	v_or_b32_e32 v1, 4, v1
	s_add_i32 s2, s2, 63
	v_and_b32_e32 v2, 1, v2
	s_lshr_b32 s2, s2, 6
	s_waitcnt lgkmcnt(0)
	ds_bpermute_b32 v1, v1, v3
	v_add_u32_e32 v2, 1, v2
	v_cmp_gt_u32_e32 vcc, s2, v2
	s_waitcnt lgkmcnt(0)
	v_add_f32_e32 v1, v3, v1
	v_cndmask_b32_e32 v1, v3, v1, vcc
.LBB11_164:
	s_or_b64 exec, exec, s[0:1]
.LBB11_165:
	v_cmp_eq_u32_e64 s[0:1], 0, v0
	s_branch .LBB11_224
.LBB11_166:
	s_cmp_gt_i32 s33, 1
	s_cbranch_scc0 .LBB11_175
; %bb.167:
	s_cmp_gt_i32 s33, 3
	s_cbranch_scc0 .LBB11_176
; %bb.168:
	s_cmp_eq_u32 s33, 4
	s_cbranch_scc0 .LBB11_177
; %bb.169:
	s_mov_b32 s7, 0
	s_lshl_b32 s0, s6, 9
	s_mov_b32 s1, s7
	s_lshr_b64 s[2:3], s[70:71], 9
	s_lshl_b64 s[8:9], s[0:1], 2
	s_add_u32 s8, s68, s8
	s_addc_u32 s9, s69, s9
	s_cmp_lg_u64 s[2:3], s[6:7]
	s_cbranch_scc0 .LBB11_179
; %bb.170:
	v_lshlrev_b32_e32 v1, 2, v0
	global_load_dword v4, v1, s[8:9]
	global_load_dword v5, v1, s[8:9] offset:512
	global_load_dword v6, v1, s[8:9] offset:1024
	;; [unrolled: 1-line block ×3, first 2 shown]
	v_mbcnt_lo_u32_b32 v1, -1, 0
	v_mbcnt_hi_u32_b32 v2, -1, v1
	v_lshlrev_b32_e32 v3, 2, v2
	v_cmp_eq_u32_e32 vcc, 0, v2
	s_waitcnt vmcnt(2)
	v_add_f32_e32 v1, v4, v5
	s_waitcnt vmcnt(1)
	v_add_f32_e32 v1, v1, v6
	;; [unrolled: 2-line block ×3, first 2 shown]
	v_or_b32_e32 v4, 0xfc, v3
	s_nop 0
	v_add_f32_dpp v1, v1, v1 quad_perm:[1,0,3,2] row_mask:0xf bank_mask:0xf bound_ctrl:1
	s_nop 1
	v_add_f32_dpp v1, v1, v1 quad_perm:[2,3,0,1] row_mask:0xf bank_mask:0xf bound_ctrl:1
	s_nop 1
	v_add_f32_dpp v1, v1, v1 row_ror:4 row_mask:0xf bank_mask:0xf bound_ctrl:1
	s_nop 1
	v_add_f32_dpp v1, v1, v1 row_ror:8 row_mask:0xf bank_mask:0xf bound_ctrl:1
	s_nop 1
	v_add_f32_dpp v1, v1, v1 row_bcast:15 row_mask:0xf bank_mask:0xf bound_ctrl:1
	s_nop 1
	v_add_f32_dpp v1, v1, v1 row_bcast:31 row_mask:0xf bank_mask:0xf bound_ctrl:1
	ds_bpermute_b32 v1, v4, v1
	s_and_saveexec_b64 s[2:3], vcc
	s_cbranch_execz .LBB11_172
; %bb.171:
	v_lshrrev_b32_e32 v4, 4, v0
	v_and_b32_e32 v4, 4, v4
	s_waitcnt lgkmcnt(0)
	ds_write_b32 v4, v1 offset:32
.LBB11_172:
	s_or_b64 exec, exec, s[2:3]
	v_cmp_gt_u32_e32 vcc, 64, v0
	s_waitcnt lgkmcnt(0)
	s_barrier
	s_and_saveexec_b64 s[2:3], vcc
	s_cbranch_execz .LBB11_174
; %bb.173:
	v_and_b32_e32 v1, 1, v2
	v_lshlrev_b32_e32 v1, 2, v1
	ds_read_b32 v1, v1 offset:32
	v_or_b32_e32 v2, 4, v3
	s_waitcnt lgkmcnt(0)
	ds_bpermute_b32 v2, v2, v1
	s_waitcnt lgkmcnt(0)
	v_add_f32_e32 v1, v1, v2
.LBB11_174:
	s_or_b64 exec, exec, s[2:3]
	s_mov_b64 s[2:3], 0
	s_branch .LBB11_180
.LBB11_175:
                                        ; implicit-def: $vgpr1
	s_cbranch_execnz .LBB11_215
	s_branch .LBB11_224
.LBB11_176:
                                        ; implicit-def: $vgpr1
	s_cbranch_execz .LBB11_178
	s_branch .LBB11_195
.LBB11_177:
                                        ; implicit-def: $vgpr1
.LBB11_178:
	s_branch .LBB11_224
.LBB11_179:
	s_mov_b64 s[2:3], -1
                                        ; implicit-def: $vgpr1
.LBB11_180:
	s_and_b64 vcc, exec, s[2:3]
	s_cbranch_vccz .LBB11_194
; %bb.181:
	s_sub_i32 s12, s70, s0
	v_cmp_gt_u32_e32 vcc, s12, v0
                                        ; implicit-def: $vgpr2_vgpr3_vgpr4_vgpr5
	s_and_saveexec_b64 s[0:1], vcc
	s_cbranch_execz .LBB11_183
; %bb.182:
	v_lshlrev_b32_e32 v1, 2, v0
	global_load_dword v2, v1, s[8:9]
.LBB11_183:
	s_or_b64 exec, exec, s[0:1]
	v_or_b32_e32 v1, 0x80, v0
	v_cmp_gt_u32_e32 vcc, s12, v1
	s_and_saveexec_b64 s[0:1], vcc
	s_cbranch_execz .LBB11_185
; %bb.184:
	v_lshlrev_b32_e32 v1, 2, v0
	global_load_dword v3, v1, s[8:9] offset:512
.LBB11_185:
	s_or_b64 exec, exec, s[0:1]
	v_or_b32_e32 v1, 0x100, v0
	v_cmp_gt_u32_e64 s[0:1], s12, v1
	s_and_saveexec_b64 s[2:3], s[0:1]
	s_cbranch_execz .LBB11_187
; %bb.186:
	v_lshlrev_b32_e32 v1, 2, v0
	global_load_dword v4, v1, s[8:9] offset:1024
.LBB11_187:
	s_or_b64 exec, exec, s[2:3]
	v_or_b32_e32 v1, 0x180, v0
	v_cmp_gt_u32_e64 s[2:3], s12, v1
	s_and_saveexec_b64 s[10:11], s[2:3]
	s_cbranch_execz .LBB11_189
; %bb.188:
	v_lshlrev_b32_e32 v1, 2, v0
	global_load_dword v5, v1, s[8:9] offset:1536
.LBB11_189:
	s_or_b64 exec, exec, s[10:11]
	s_waitcnt vmcnt(0)
	v_add_f32_e32 v1, v2, v3
	v_cndmask_b32_e32 v1, v2, v1, vcc
	v_add_f32_e32 v2, v4, v1
	v_cndmask_b32_e64 v1, v1, v2, s[0:1]
	v_add_f32_e32 v2, v5, v1
	v_cndmask_b32_e64 v1, v1, v2, s[2:3]
	v_mbcnt_lo_u32_b32 v2, -1, 0
	v_mbcnt_hi_u32_b32 v2, -1, v2
	v_and_b32_e32 v3, 63, v2
	v_cmp_ne_u32_e32 vcc, 63, v3
	v_addc_co_u32_e32 v4, vcc, 0, v2, vcc
	v_lshlrev_b32_e32 v4, 2, v4
	ds_bpermute_b32 v4, v4, v1
	s_min_u32 s2, s12, 0x80
	v_and_b32_e32 v5, 64, v0
	v_sub_u32_e64 v5, s2, v5 clamp
	v_add_u32_e32 v6, 1, v3
	v_cmp_gt_u32_e64 s[0:1], 62, v3
	v_cmp_lt_u32_e32 vcc, v6, v5
	v_cndmask_b32_e64 v6, 0, 1, s[0:1]
	s_waitcnt lgkmcnt(0)
	v_add_f32_e32 v4, v1, v4
	v_lshlrev_b32_e32 v6, 1, v6
	v_cndmask_b32_e32 v4, v1, v4, vcc
	v_add_lshl_u32 v6, v6, v2, 2
	ds_bpermute_b32 v6, v6, v4
	v_add_u32_e32 v7, 2, v3
	v_cmp_lt_u32_e64 s[0:1], v7, v5
	v_add_u32_e32 v7, 4, v3
	s_waitcnt lgkmcnt(0)
	v_add_f32_e32 v6, v4, v6
	v_cndmask_b32_e64 v4, v4, v6, s[0:1]
	v_cmp_gt_u32_e64 s[0:1], 60, v3
	v_cndmask_b32_e64 v6, 0, 1, s[0:1]
	v_lshlrev_b32_e32 v6, 2, v6
	v_add_lshl_u32 v6, v6, v2, 2
	ds_bpermute_b32 v6, v6, v4
	v_cmp_lt_u32_e64 s[0:1], v7, v5
	v_add_u32_e32 v7, 8, v3
	s_waitcnt lgkmcnt(0)
	v_add_f32_e32 v6, v4, v6
	v_cndmask_b32_e64 v4, v4, v6, s[0:1]
	v_cmp_gt_u32_e64 s[0:1], 56, v3
	v_cndmask_b32_e64 v6, 0, 1, s[0:1]
	v_lshlrev_b32_e32 v6, 3, v6
	v_add_lshl_u32 v6, v6, v2, 2
	ds_bpermute_b32 v6, v6, v4
	;; [unrolled: 10-line block ×3, first 2 shown]
	v_cmp_lt_u32_e64 s[0:1], v7, v5
	s_waitcnt lgkmcnt(0)
	v_add_f32_e32 v6, v4, v6
	v_cndmask_b32_e64 v4, v4, v6, s[0:1]
	v_cmp_gt_u32_e64 s[0:1], 32, v3
	v_cndmask_b32_e64 v6, 0, 1, s[0:1]
	v_lshlrev_b32_e32 v6, 5, v6
	v_add_lshl_u32 v6, v6, v2, 2
	ds_bpermute_b32 v6, v6, v4
	v_add_u32_e32 v3, 32, v3
	v_cmp_lt_u32_e64 s[0:1], v3, v5
	s_waitcnt lgkmcnt(0)
	v_add_f32_e32 v6, v4, v6
	v_cndmask_b32_e64 v3, v4, v6, s[0:1]
	v_cndmask_b32_e32 v1, v1, v3, vcc
	v_cmp_eq_u32_e32 vcc, 0, v2
	s_and_saveexec_b64 s[0:1], vcc
	s_cbranch_execz .LBB11_191
; %bb.190:
	v_lshrrev_b32_e32 v3, 4, v0
	v_and_b32_e32 v3, 4, v3
	ds_write_b32 v3, v1 offset:48
.LBB11_191:
	s_or_b64 exec, exec, s[0:1]
	v_cmp_gt_u32_e32 vcc, 2, v0
	s_waitcnt lgkmcnt(0)
	s_barrier
	s_and_saveexec_b64 s[0:1], vcc
	s_cbranch_execz .LBB11_193
; %bb.192:
	v_lshlrev_b32_e32 v1, 2, v2
	ds_read_b32 v3, v1 offset:48
	v_or_b32_e32 v1, 4, v1
	s_add_i32 s2, s2, 63
	v_and_b32_e32 v2, 1, v2
	s_lshr_b32 s2, s2, 6
	s_waitcnt lgkmcnt(0)
	ds_bpermute_b32 v1, v1, v3
	v_add_u32_e32 v2, 1, v2
	v_cmp_gt_u32_e32 vcc, s2, v2
	s_waitcnt lgkmcnt(0)
	v_add_f32_e32 v1, v3, v1
	v_cndmask_b32_e32 v1, v3, v1, vcc
.LBB11_193:
	s_or_b64 exec, exec, s[0:1]
.LBB11_194:
	v_cmp_eq_u32_e64 s[0:1], 0, v0
	s_branch .LBB11_178
.LBB11_195:
	s_cmp_eq_u32 s33, 2
	s_cbranch_scc0 .LBB11_202
; %bb.196:
	s_mov_b32 s7, 0
	s_lshl_b32 s2, s6, 8
	s_mov_b32 s3, s7
	s_lshr_b64 s[8:9], s[70:71], 8
	s_lshl_b64 s[0:1], s[2:3], 2
	s_add_u32 s0, s68, s0
	s_addc_u32 s1, s69, s1
	s_cmp_lg_u64 s[8:9], s[6:7]
	s_cbranch_scc0 .LBB11_203
; %bb.197:
	v_lshlrev_b32_e32 v1, 2, v0
	global_load_dword v4, v1, s[0:1]
	global_load_dword v5, v1, s[0:1] offset:512
	v_mbcnt_lo_u32_b32 v1, -1, 0
	v_mbcnt_hi_u32_b32 v2, -1, v1
	v_lshlrev_b32_e32 v3, 2, v2
	v_cmp_eq_u32_e32 vcc, 0, v2
	s_waitcnt vmcnt(0)
	v_add_f32_e32 v1, v4, v5
	s_nop 1
	v_add_f32_dpp v1, v1, v1 quad_perm:[1,0,3,2] row_mask:0xf bank_mask:0xf bound_ctrl:1
	v_or_b32_e32 v4, 0xfc, v3
	s_nop 0
	v_add_f32_dpp v1, v1, v1 quad_perm:[2,3,0,1] row_mask:0xf bank_mask:0xf bound_ctrl:1
	s_nop 1
	v_add_f32_dpp v1, v1, v1 row_ror:4 row_mask:0xf bank_mask:0xf bound_ctrl:1
	s_nop 1
	v_add_f32_dpp v1, v1, v1 row_ror:8 row_mask:0xf bank_mask:0xf bound_ctrl:1
	s_nop 1
	v_add_f32_dpp v1, v1, v1 row_bcast:15 row_mask:0xf bank_mask:0xf bound_ctrl:1
	s_nop 1
	v_add_f32_dpp v1, v1, v1 row_bcast:31 row_mask:0xf bank_mask:0xf bound_ctrl:1
	ds_bpermute_b32 v1, v4, v1
	s_and_saveexec_b64 s[8:9], vcc
	s_cbranch_execz .LBB11_199
; %bb.198:
	v_lshrrev_b32_e32 v4, 4, v0
	v_and_b32_e32 v4, 4, v4
	s_waitcnt lgkmcnt(0)
	ds_write_b32 v4, v1 offset:16
.LBB11_199:
	s_or_b64 exec, exec, s[8:9]
	v_cmp_gt_u32_e32 vcc, 64, v0
	s_waitcnt lgkmcnt(0)
	s_barrier
	s_and_saveexec_b64 s[8:9], vcc
	s_cbranch_execz .LBB11_201
; %bb.200:
	v_and_b32_e32 v1, 1, v2
	v_lshlrev_b32_e32 v1, 2, v1
	ds_read_b32 v1, v1 offset:16
	v_or_b32_e32 v2, 4, v3
	s_waitcnt lgkmcnt(0)
	ds_bpermute_b32 v2, v2, v1
	s_waitcnt lgkmcnt(0)
	v_add_f32_e32 v1, v1, v2
.LBB11_201:
	s_or_b64 exec, exec, s[8:9]
	s_mov_b64 s[8:9], 0
	s_branch .LBB11_204
.LBB11_202:
                                        ; implicit-def: $vgpr1
	s_branch .LBB11_224
.LBB11_203:
	s_mov_b64 s[8:9], -1
                                        ; implicit-def: $vgpr1
.LBB11_204:
	s_and_b64 vcc, exec, s[8:9]
	s_cbranch_vccz .LBB11_214
; %bb.205:
	s_sub_i32 s8, s70, s2
	v_cmp_gt_u32_e32 vcc, s8, v0
                                        ; implicit-def: $vgpr2_vgpr3
	s_and_saveexec_b64 s[2:3], vcc
	s_cbranch_execz .LBB11_207
; %bb.206:
	v_lshlrev_b32_e32 v1, 2, v0
	global_load_dword v2, v1, s[0:1]
.LBB11_207:
	s_or_b64 exec, exec, s[2:3]
	v_or_b32_e32 v1, 0x80, v0
	v_cmp_gt_u32_e32 vcc, s8, v1
	s_and_saveexec_b64 s[2:3], vcc
	s_cbranch_execz .LBB11_209
; %bb.208:
	v_lshlrev_b32_e32 v1, 2, v0
	global_load_dword v3, v1, s[0:1] offset:512
.LBB11_209:
	s_or_b64 exec, exec, s[2:3]
	s_waitcnt vmcnt(0)
	v_add_f32_e32 v1, v2, v3
	v_cndmask_b32_e32 v1, v2, v1, vcc
	v_mbcnt_lo_u32_b32 v2, -1, 0
	v_mbcnt_hi_u32_b32 v2, -1, v2
	v_and_b32_e32 v3, 63, v2
	v_cmp_ne_u32_e32 vcc, 63, v3
	v_addc_co_u32_e32 v4, vcc, 0, v2, vcc
	v_lshlrev_b32_e32 v4, 2, v4
	ds_bpermute_b32 v4, v4, v1
	s_min_u32 s2, s8, 0x80
	v_and_b32_e32 v5, 64, v0
	v_sub_u32_e64 v5, s2, v5 clamp
	v_add_u32_e32 v6, 1, v3
	v_cmp_gt_u32_e64 s[0:1], 62, v3
	v_cmp_lt_u32_e32 vcc, v6, v5
	v_cndmask_b32_e64 v6, 0, 1, s[0:1]
	s_waitcnt lgkmcnt(0)
	v_add_f32_e32 v4, v1, v4
	v_lshlrev_b32_e32 v6, 1, v6
	v_cndmask_b32_e32 v4, v1, v4, vcc
	v_add_lshl_u32 v6, v6, v2, 2
	ds_bpermute_b32 v6, v6, v4
	v_add_u32_e32 v7, 2, v3
	v_cmp_lt_u32_e64 s[0:1], v7, v5
	v_add_u32_e32 v7, 4, v3
	s_waitcnt lgkmcnt(0)
	v_add_f32_e32 v6, v4, v6
	v_cndmask_b32_e64 v4, v4, v6, s[0:1]
	v_cmp_gt_u32_e64 s[0:1], 60, v3
	v_cndmask_b32_e64 v6, 0, 1, s[0:1]
	v_lshlrev_b32_e32 v6, 2, v6
	v_add_lshl_u32 v6, v6, v2, 2
	ds_bpermute_b32 v6, v6, v4
	v_cmp_lt_u32_e64 s[0:1], v7, v5
	v_add_u32_e32 v7, 8, v3
	s_waitcnt lgkmcnt(0)
	v_add_f32_e32 v6, v4, v6
	v_cndmask_b32_e64 v4, v4, v6, s[0:1]
	v_cmp_gt_u32_e64 s[0:1], 56, v3
	v_cndmask_b32_e64 v6, 0, 1, s[0:1]
	v_lshlrev_b32_e32 v6, 3, v6
	v_add_lshl_u32 v6, v6, v2, 2
	ds_bpermute_b32 v6, v6, v4
	;; [unrolled: 10-line block ×3, first 2 shown]
	v_cmp_lt_u32_e64 s[0:1], v7, v5
	s_waitcnt lgkmcnt(0)
	v_add_f32_e32 v6, v4, v6
	v_cndmask_b32_e64 v4, v4, v6, s[0:1]
	v_cmp_gt_u32_e64 s[0:1], 32, v3
	v_cndmask_b32_e64 v6, 0, 1, s[0:1]
	v_lshlrev_b32_e32 v6, 5, v6
	v_add_lshl_u32 v6, v6, v2, 2
	ds_bpermute_b32 v6, v6, v4
	v_add_u32_e32 v3, 32, v3
	v_cmp_lt_u32_e64 s[0:1], v3, v5
	s_waitcnt lgkmcnt(0)
	v_add_f32_e32 v6, v4, v6
	v_cndmask_b32_e64 v3, v4, v6, s[0:1]
	v_cndmask_b32_e32 v1, v1, v3, vcc
	v_cmp_eq_u32_e32 vcc, 0, v2
	s_and_saveexec_b64 s[0:1], vcc
	s_cbranch_execz .LBB11_211
; %bb.210:
	v_lshrrev_b32_e32 v3, 4, v0
	v_and_b32_e32 v3, 4, v3
	ds_write_b32 v3, v1 offset:48
.LBB11_211:
	s_or_b64 exec, exec, s[0:1]
	v_cmp_gt_u32_e32 vcc, 2, v0
	s_waitcnt lgkmcnt(0)
	s_barrier
	s_and_saveexec_b64 s[0:1], vcc
	s_cbranch_execz .LBB11_213
; %bb.212:
	v_lshlrev_b32_e32 v1, 2, v2
	ds_read_b32 v3, v1 offset:48
	v_or_b32_e32 v1, 4, v1
	s_add_i32 s2, s2, 63
	v_and_b32_e32 v2, 1, v2
	s_lshr_b32 s2, s2, 6
	s_waitcnt lgkmcnt(0)
	ds_bpermute_b32 v1, v1, v3
	v_add_u32_e32 v2, 1, v2
	v_cmp_gt_u32_e32 vcc, s2, v2
	s_waitcnt lgkmcnt(0)
	v_add_f32_e32 v1, v3, v1
	v_cndmask_b32_e32 v1, v3, v1, vcc
.LBB11_213:
	s_or_b64 exec, exec, s[0:1]
.LBB11_214:
	v_cmp_eq_u32_e64 s[0:1], 0, v0
	s_branch .LBB11_224
.LBB11_215:
	s_cmp_eq_u32 s33, 1
	s_cbranch_scc0 .LBB11_223
; %bb.216:
	s_mov_b32 s1, 0
	s_lshl_b32 s0, s6, 7
	s_mov_b32 s7, s1
	s_lshr_b64 s[2:3], s[70:71], 7
	s_cmp_lg_u64 s[2:3], s[6:7]
	v_mbcnt_lo_u32_b32 v2, -1, 0
	s_cbranch_scc0 .LBB11_227
; %bb.217:
	s_lshl_b64 s[2:3], s[0:1], 2
	s_add_u32 s2, s68, s2
	s_addc_u32 s3, s69, s3
	v_lshlrev_b32_e32 v1, 2, v0
	global_load_dword v1, v1, s[2:3]
	v_mbcnt_hi_u32_b32 v3, -1, v2
	v_lshlrev_b32_e32 v4, 2, v3
	v_or_b32_e32 v5, 0xfc, v4
	v_cmp_eq_u32_e32 vcc, 0, v3
	s_waitcnt vmcnt(0)
	v_add_f32_dpp v1, v1, v1 quad_perm:[1,0,3,2] row_mask:0xf bank_mask:0xf bound_ctrl:1
	s_nop 1
	v_add_f32_dpp v1, v1, v1 quad_perm:[2,3,0,1] row_mask:0xf bank_mask:0xf bound_ctrl:1
	s_nop 1
	v_add_f32_dpp v1, v1, v1 row_ror:4 row_mask:0xf bank_mask:0xf bound_ctrl:1
	s_nop 1
	v_add_f32_dpp v1, v1, v1 row_ror:8 row_mask:0xf bank_mask:0xf bound_ctrl:1
	s_nop 1
	v_add_f32_dpp v1, v1, v1 row_bcast:15 row_mask:0xf bank_mask:0xf bound_ctrl:1
	s_nop 1
	v_add_f32_dpp v1, v1, v1 row_bcast:31 row_mask:0xf bank_mask:0xf bound_ctrl:1
	ds_bpermute_b32 v1, v5, v1
	s_and_saveexec_b64 s[2:3], vcc
	s_cbranch_execz .LBB11_219
; %bb.218:
	v_lshrrev_b32_e32 v5, 4, v0
	v_and_b32_e32 v5, 4, v5
	s_waitcnt lgkmcnt(0)
	ds_write_b32 v5, v1 offset:8
.LBB11_219:
	s_or_b64 exec, exec, s[2:3]
	v_cmp_gt_u32_e32 vcc, 64, v0
	s_waitcnt lgkmcnt(0)
	s_barrier
	s_and_saveexec_b64 s[2:3], vcc
	s_cbranch_execz .LBB11_221
; %bb.220:
	v_and_b32_e32 v1, 1, v3
	v_lshlrev_b32_e32 v1, 2, v1
	ds_read_b32 v1, v1 offset:8
	v_or_b32_e32 v3, 4, v4
	s_waitcnt lgkmcnt(0)
	ds_bpermute_b32 v3, v3, v1
	s_waitcnt lgkmcnt(0)
	v_add_f32_e32 v1, v1, v3
.LBB11_221:
	s_or_b64 exec, exec, s[2:3]
.LBB11_222:
	v_cmp_eq_u32_e64 s[0:1], 0, v0
	s_and_saveexec_b64 s[2:3], s[0:1]
	s_cbranch_execnz .LBB11_225
	s_branch .LBB11_226
.LBB11_223:
                                        ; implicit-def: $vgpr1
                                        ; implicit-def: $sgpr6_sgpr7
.LBB11_224:
	s_and_saveexec_b64 s[2:3], s[0:1]
	s_cbranch_execz .LBB11_226
.LBB11_225:
	s_load_dwordx2 s[0:1], s[4:5], 0x18
	s_load_dword s8, s[4:5], 0x20
	s_lshl_b64 s[2:3], s[6:7], 2
	v_mov_b32_e32 v0, 0
	s_waitcnt lgkmcnt(0)
	s_add_u32 s0, s0, s2
	s_addc_u32 s1, s1, s3
	s_cmp_eq_u64 s[70:71], 0
	v_add_f32_e32 v1, s8, v1
	v_mov_b32_e32 v2, s8
	s_cselect_b64 vcc, -1, 0
	v_cndmask_b32_e32 v1, v1, v2, vcc
	global_store_dword v0, v1, s[0:1]
.LBB11_226:
	s_endpgm
.LBB11_227:
                                        ; implicit-def: $vgpr1
	s_cbranch_execz .LBB11_222
; %bb.228:
	s_sub_i32 s8, s70, s0
	v_cmp_gt_u32_e32 vcc, s8, v0
                                        ; implicit-def: $vgpr1
	s_and_saveexec_b64 s[2:3], vcc
	s_cbranch_execz .LBB11_230
; %bb.229:
	s_lshl_b64 s[0:1], s[0:1], 2
	s_add_u32 s0, s68, s0
	s_addc_u32 s1, s69, s1
	v_lshlrev_b32_e32 v1, 2, v0
	global_load_dword v1, v1, s[0:1]
.LBB11_230:
	s_or_b64 exec, exec, s[2:3]
	v_mbcnt_hi_u32_b32 v2, -1, v2
	v_and_b32_e32 v3, 63, v2
	v_cmp_ne_u32_e32 vcc, 63, v3
	v_addc_co_u32_e32 v4, vcc, 0, v2, vcc
	v_lshlrev_b32_e32 v4, 2, v4
	s_waitcnt vmcnt(0)
	ds_bpermute_b32 v4, v4, v1
	s_min_u32 s2, s8, 0x80
	v_and_b32_e32 v5, 64, v0
	v_sub_u32_e64 v5, s2, v5 clamp
	v_add_u32_e32 v6, 1, v3
	v_cmp_gt_u32_e64 s[0:1], 62, v3
	v_cmp_lt_u32_e32 vcc, v6, v5
	v_cndmask_b32_e64 v6, 0, 1, s[0:1]
	s_waitcnt lgkmcnt(0)
	v_add_f32_e32 v4, v1, v4
	v_lshlrev_b32_e32 v6, 1, v6
	v_cndmask_b32_e32 v4, v1, v4, vcc
	v_add_lshl_u32 v6, v6, v2, 2
	ds_bpermute_b32 v6, v6, v4
	v_add_u32_e32 v7, 2, v3
	v_cmp_lt_u32_e64 s[0:1], v7, v5
	v_add_u32_e32 v7, 4, v3
	s_waitcnt lgkmcnt(0)
	v_add_f32_e32 v6, v4, v6
	v_cndmask_b32_e64 v4, v4, v6, s[0:1]
	v_cmp_gt_u32_e64 s[0:1], 60, v3
	v_cndmask_b32_e64 v6, 0, 1, s[0:1]
	v_lshlrev_b32_e32 v6, 2, v6
	v_add_lshl_u32 v6, v6, v2, 2
	ds_bpermute_b32 v6, v6, v4
	v_cmp_lt_u32_e64 s[0:1], v7, v5
	v_add_u32_e32 v7, 8, v3
	s_waitcnt lgkmcnt(0)
	v_add_f32_e32 v6, v4, v6
	v_cndmask_b32_e64 v4, v4, v6, s[0:1]
	v_cmp_gt_u32_e64 s[0:1], 56, v3
	v_cndmask_b32_e64 v6, 0, 1, s[0:1]
	v_lshlrev_b32_e32 v6, 3, v6
	v_add_lshl_u32 v6, v6, v2, 2
	ds_bpermute_b32 v6, v6, v4
	;; [unrolled: 10-line block ×3, first 2 shown]
	v_cmp_lt_u32_e64 s[0:1], v7, v5
	s_waitcnt lgkmcnt(0)
	v_add_f32_e32 v6, v4, v6
	v_cndmask_b32_e64 v4, v4, v6, s[0:1]
	v_cmp_gt_u32_e64 s[0:1], 32, v3
	v_cndmask_b32_e64 v6, 0, 1, s[0:1]
	v_lshlrev_b32_e32 v6, 5, v6
	v_add_lshl_u32 v6, v6, v2, 2
	ds_bpermute_b32 v6, v6, v4
	v_add_u32_e32 v3, 32, v3
	v_cmp_lt_u32_e64 s[0:1], v3, v5
	s_waitcnt lgkmcnt(0)
	v_add_f32_e32 v6, v4, v6
	v_cndmask_b32_e64 v3, v4, v6, s[0:1]
	v_cndmask_b32_e32 v1, v1, v3, vcc
	v_cmp_eq_u32_e32 vcc, 0, v2
	s_and_saveexec_b64 s[0:1], vcc
	s_cbranch_execz .LBB11_232
; %bb.231:
	v_lshrrev_b32_e32 v3, 4, v0
	v_and_b32_e32 v3, 4, v3
	ds_write_b32 v3, v1 offset:48
.LBB11_232:
	s_or_b64 exec, exec, s[0:1]
	v_cmp_gt_u32_e32 vcc, 2, v0
	s_waitcnt lgkmcnt(0)
	s_barrier
	s_and_saveexec_b64 s[0:1], vcc
	s_cbranch_execz .LBB11_234
; %bb.233:
	v_lshlrev_b32_e32 v1, 2, v2
	ds_read_b32 v3, v1 offset:48
	v_or_b32_e32 v1, 4, v1
	s_add_i32 s2, s2, 63
	v_and_b32_e32 v2, 1, v2
	s_lshr_b32 s2, s2, 6
	s_waitcnt lgkmcnt(0)
	ds_bpermute_b32 v1, v1, v3
	v_add_u32_e32 v2, 1, v2
	v_cmp_gt_u32_e32 vcc, s2, v2
	s_waitcnt lgkmcnt(0)
	v_add_f32_e32 v1, v3, v1
	v_cndmask_b32_e32 v1, v3, v1, vcc
.LBB11_234:
	s_or_b64 exec, exec, s[0:1]
	v_cmp_eq_u32_e64 s[0:1], 0, v0
	s_and_saveexec_b64 s[2:3], s[0:1]
	s_cbranch_execnz .LBB11_225
	s_branch .LBB11_226
	.section	.rodata,"a",@progbits
	.p2align	6, 0x0
	.amdhsa_kernel _ZN7rocprim17ROCPRIM_400000_NS6detail17trampoline_kernelINS0_14default_configENS1_22reduce_config_selectorIfEEZNS1_11reduce_implILb1ES3_PfS7_fN6thrust23THRUST_200600_302600_NS4plusIfEEEE10hipError_tPvRmT1_T2_T3_mT4_P12ihipStream_tbEUlT_E1_NS1_11comp_targetILNS1_3genE4ELNS1_11target_archE910ELNS1_3gpuE8ELNS1_3repE0EEENS1_30default_config_static_selectorELNS0_4arch9wavefront6targetE1EEEvSF_
		.amdhsa_group_segment_fixed_size 56
		.amdhsa_private_segment_fixed_size 0
		.amdhsa_kernarg_size 40
		.amdhsa_user_sgpr_count 6
		.amdhsa_user_sgpr_private_segment_buffer 1
		.amdhsa_user_sgpr_dispatch_ptr 0
		.amdhsa_user_sgpr_queue_ptr 0
		.amdhsa_user_sgpr_kernarg_segment_ptr 1
		.amdhsa_user_sgpr_dispatch_id 0
		.amdhsa_user_sgpr_flat_scratch_init 0
		.amdhsa_user_sgpr_kernarg_preload_length 0
		.amdhsa_user_sgpr_kernarg_preload_offset 0
		.amdhsa_user_sgpr_private_segment_size 0
		.amdhsa_uses_dynamic_stack 0
		.amdhsa_system_sgpr_private_segment_wavefront_offset 0
		.amdhsa_system_sgpr_workgroup_id_x 1
		.amdhsa_system_sgpr_workgroup_id_y 0
		.amdhsa_system_sgpr_workgroup_id_z 0
		.amdhsa_system_sgpr_workgroup_info 0
		.amdhsa_system_vgpr_workitem_id 0
		.amdhsa_next_free_vgpr 35
		.amdhsa_next_free_sgpr 77
		.amdhsa_accum_offset 36
		.amdhsa_reserve_vcc 1
		.amdhsa_reserve_flat_scratch 0
		.amdhsa_float_round_mode_32 0
		.amdhsa_float_round_mode_16_64 0
		.amdhsa_float_denorm_mode_32 3
		.amdhsa_float_denorm_mode_16_64 3
		.amdhsa_dx10_clamp 1
		.amdhsa_ieee_mode 1
		.amdhsa_fp16_overflow 0
		.amdhsa_tg_split 0
		.amdhsa_exception_fp_ieee_invalid_op 0
		.amdhsa_exception_fp_denorm_src 0
		.amdhsa_exception_fp_ieee_div_zero 0
		.amdhsa_exception_fp_ieee_overflow 0
		.amdhsa_exception_fp_ieee_underflow 0
		.amdhsa_exception_fp_ieee_inexact 0
		.amdhsa_exception_int_div_zero 0
	.end_amdhsa_kernel
	.section	.text._ZN7rocprim17ROCPRIM_400000_NS6detail17trampoline_kernelINS0_14default_configENS1_22reduce_config_selectorIfEEZNS1_11reduce_implILb1ES3_PfS7_fN6thrust23THRUST_200600_302600_NS4plusIfEEEE10hipError_tPvRmT1_T2_T3_mT4_P12ihipStream_tbEUlT_E1_NS1_11comp_targetILNS1_3genE4ELNS1_11target_archE910ELNS1_3gpuE8ELNS1_3repE0EEENS1_30default_config_static_selectorELNS0_4arch9wavefront6targetE1EEEvSF_,"axG",@progbits,_ZN7rocprim17ROCPRIM_400000_NS6detail17trampoline_kernelINS0_14default_configENS1_22reduce_config_selectorIfEEZNS1_11reduce_implILb1ES3_PfS7_fN6thrust23THRUST_200600_302600_NS4plusIfEEEE10hipError_tPvRmT1_T2_T3_mT4_P12ihipStream_tbEUlT_E1_NS1_11comp_targetILNS1_3genE4ELNS1_11target_archE910ELNS1_3gpuE8ELNS1_3repE0EEENS1_30default_config_static_selectorELNS0_4arch9wavefront6targetE1EEEvSF_,comdat
.Lfunc_end11:
	.size	_ZN7rocprim17ROCPRIM_400000_NS6detail17trampoline_kernelINS0_14default_configENS1_22reduce_config_selectorIfEEZNS1_11reduce_implILb1ES3_PfS7_fN6thrust23THRUST_200600_302600_NS4plusIfEEEE10hipError_tPvRmT1_T2_T3_mT4_P12ihipStream_tbEUlT_E1_NS1_11comp_targetILNS1_3genE4ELNS1_11target_archE910ELNS1_3gpuE8ELNS1_3repE0EEENS1_30default_config_static_selectorELNS0_4arch9wavefront6targetE1EEEvSF_, .Lfunc_end11-_ZN7rocprim17ROCPRIM_400000_NS6detail17trampoline_kernelINS0_14default_configENS1_22reduce_config_selectorIfEEZNS1_11reduce_implILb1ES3_PfS7_fN6thrust23THRUST_200600_302600_NS4plusIfEEEE10hipError_tPvRmT1_T2_T3_mT4_P12ihipStream_tbEUlT_E1_NS1_11comp_targetILNS1_3genE4ELNS1_11target_archE910ELNS1_3gpuE8ELNS1_3repE0EEENS1_30default_config_static_selectorELNS0_4arch9wavefront6targetE1EEEvSF_
                                        ; -- End function
	.section	.AMDGPU.csdata,"",@progbits
; Kernel info:
; codeLenInByte = 9248
; NumSgprs: 81
; NumVgprs: 35
; NumAgprs: 0
; TotalNumVgprs: 35
; ScratchSize: 0
; MemoryBound: 0
; FloatMode: 240
; IeeeMode: 1
; LDSByteSize: 56 bytes/workgroup (compile time only)
; SGPRBlocks: 10
; VGPRBlocks: 4
; NumSGPRsForWavesPerEU: 81
; NumVGPRsForWavesPerEU: 35
; AccumOffset: 36
; Occupancy: 8
; WaveLimiterHint : 1
; COMPUTE_PGM_RSRC2:SCRATCH_EN: 0
; COMPUTE_PGM_RSRC2:USER_SGPR: 6
; COMPUTE_PGM_RSRC2:TRAP_HANDLER: 0
; COMPUTE_PGM_RSRC2:TGID_X_EN: 1
; COMPUTE_PGM_RSRC2:TGID_Y_EN: 0
; COMPUTE_PGM_RSRC2:TGID_Z_EN: 0
; COMPUTE_PGM_RSRC2:TIDIG_COMP_CNT: 0
; COMPUTE_PGM_RSRC3_GFX90A:ACCUM_OFFSET: 8
; COMPUTE_PGM_RSRC3_GFX90A:TG_SPLIT: 0
	.section	.text._ZN7rocprim17ROCPRIM_400000_NS6detail17trampoline_kernelINS0_14default_configENS1_22reduce_config_selectorIfEEZNS1_11reduce_implILb1ES3_PfS7_fN6thrust23THRUST_200600_302600_NS4plusIfEEEE10hipError_tPvRmT1_T2_T3_mT4_P12ihipStream_tbEUlT_E1_NS1_11comp_targetILNS1_3genE3ELNS1_11target_archE908ELNS1_3gpuE7ELNS1_3repE0EEENS1_30default_config_static_selectorELNS0_4arch9wavefront6targetE1EEEvSF_,"axG",@progbits,_ZN7rocprim17ROCPRIM_400000_NS6detail17trampoline_kernelINS0_14default_configENS1_22reduce_config_selectorIfEEZNS1_11reduce_implILb1ES3_PfS7_fN6thrust23THRUST_200600_302600_NS4plusIfEEEE10hipError_tPvRmT1_T2_T3_mT4_P12ihipStream_tbEUlT_E1_NS1_11comp_targetILNS1_3genE3ELNS1_11target_archE908ELNS1_3gpuE7ELNS1_3repE0EEENS1_30default_config_static_selectorELNS0_4arch9wavefront6targetE1EEEvSF_,comdat
	.protected	_ZN7rocprim17ROCPRIM_400000_NS6detail17trampoline_kernelINS0_14default_configENS1_22reduce_config_selectorIfEEZNS1_11reduce_implILb1ES3_PfS7_fN6thrust23THRUST_200600_302600_NS4plusIfEEEE10hipError_tPvRmT1_T2_T3_mT4_P12ihipStream_tbEUlT_E1_NS1_11comp_targetILNS1_3genE3ELNS1_11target_archE908ELNS1_3gpuE7ELNS1_3repE0EEENS1_30default_config_static_selectorELNS0_4arch9wavefront6targetE1EEEvSF_ ; -- Begin function _ZN7rocprim17ROCPRIM_400000_NS6detail17trampoline_kernelINS0_14default_configENS1_22reduce_config_selectorIfEEZNS1_11reduce_implILb1ES3_PfS7_fN6thrust23THRUST_200600_302600_NS4plusIfEEEE10hipError_tPvRmT1_T2_T3_mT4_P12ihipStream_tbEUlT_E1_NS1_11comp_targetILNS1_3genE3ELNS1_11target_archE908ELNS1_3gpuE7ELNS1_3repE0EEENS1_30default_config_static_selectorELNS0_4arch9wavefront6targetE1EEEvSF_
	.globl	_ZN7rocprim17ROCPRIM_400000_NS6detail17trampoline_kernelINS0_14default_configENS1_22reduce_config_selectorIfEEZNS1_11reduce_implILb1ES3_PfS7_fN6thrust23THRUST_200600_302600_NS4plusIfEEEE10hipError_tPvRmT1_T2_T3_mT4_P12ihipStream_tbEUlT_E1_NS1_11comp_targetILNS1_3genE3ELNS1_11target_archE908ELNS1_3gpuE7ELNS1_3repE0EEENS1_30default_config_static_selectorELNS0_4arch9wavefront6targetE1EEEvSF_
	.p2align	8
	.type	_ZN7rocprim17ROCPRIM_400000_NS6detail17trampoline_kernelINS0_14default_configENS1_22reduce_config_selectorIfEEZNS1_11reduce_implILb1ES3_PfS7_fN6thrust23THRUST_200600_302600_NS4plusIfEEEE10hipError_tPvRmT1_T2_T3_mT4_P12ihipStream_tbEUlT_E1_NS1_11comp_targetILNS1_3genE3ELNS1_11target_archE908ELNS1_3gpuE7ELNS1_3repE0EEENS1_30default_config_static_selectorELNS0_4arch9wavefront6targetE1EEEvSF_,@function
_ZN7rocprim17ROCPRIM_400000_NS6detail17trampoline_kernelINS0_14default_configENS1_22reduce_config_selectorIfEEZNS1_11reduce_implILb1ES3_PfS7_fN6thrust23THRUST_200600_302600_NS4plusIfEEEE10hipError_tPvRmT1_T2_T3_mT4_P12ihipStream_tbEUlT_E1_NS1_11comp_targetILNS1_3genE3ELNS1_11target_archE908ELNS1_3gpuE7ELNS1_3repE0EEENS1_30default_config_static_selectorELNS0_4arch9wavefront6targetE1EEEvSF_: ; @_ZN7rocprim17ROCPRIM_400000_NS6detail17trampoline_kernelINS0_14default_configENS1_22reduce_config_selectorIfEEZNS1_11reduce_implILb1ES3_PfS7_fN6thrust23THRUST_200600_302600_NS4plusIfEEEE10hipError_tPvRmT1_T2_T3_mT4_P12ihipStream_tbEUlT_E1_NS1_11comp_targetILNS1_3genE3ELNS1_11target_archE908ELNS1_3gpuE7ELNS1_3repE0EEENS1_30default_config_static_selectorELNS0_4arch9wavefront6targetE1EEEvSF_
; %bb.0:
	.section	.rodata,"a",@progbits
	.p2align	6, 0x0
	.amdhsa_kernel _ZN7rocprim17ROCPRIM_400000_NS6detail17trampoline_kernelINS0_14default_configENS1_22reduce_config_selectorIfEEZNS1_11reduce_implILb1ES3_PfS7_fN6thrust23THRUST_200600_302600_NS4plusIfEEEE10hipError_tPvRmT1_T2_T3_mT4_P12ihipStream_tbEUlT_E1_NS1_11comp_targetILNS1_3genE3ELNS1_11target_archE908ELNS1_3gpuE7ELNS1_3repE0EEENS1_30default_config_static_selectorELNS0_4arch9wavefront6targetE1EEEvSF_
		.amdhsa_group_segment_fixed_size 0
		.amdhsa_private_segment_fixed_size 0
		.amdhsa_kernarg_size 40
		.amdhsa_user_sgpr_count 6
		.amdhsa_user_sgpr_private_segment_buffer 1
		.amdhsa_user_sgpr_dispatch_ptr 0
		.amdhsa_user_sgpr_queue_ptr 0
		.amdhsa_user_sgpr_kernarg_segment_ptr 1
		.amdhsa_user_sgpr_dispatch_id 0
		.amdhsa_user_sgpr_flat_scratch_init 0
		.amdhsa_user_sgpr_kernarg_preload_length 0
		.amdhsa_user_sgpr_kernarg_preload_offset 0
		.amdhsa_user_sgpr_private_segment_size 0
		.amdhsa_uses_dynamic_stack 0
		.amdhsa_system_sgpr_private_segment_wavefront_offset 0
		.amdhsa_system_sgpr_workgroup_id_x 1
		.amdhsa_system_sgpr_workgroup_id_y 0
		.amdhsa_system_sgpr_workgroup_id_z 0
		.amdhsa_system_sgpr_workgroup_info 0
		.amdhsa_system_vgpr_workitem_id 0
		.amdhsa_next_free_vgpr 1
		.amdhsa_next_free_sgpr 0
		.amdhsa_accum_offset 4
		.amdhsa_reserve_vcc 0
		.amdhsa_reserve_flat_scratch 0
		.amdhsa_float_round_mode_32 0
		.amdhsa_float_round_mode_16_64 0
		.amdhsa_float_denorm_mode_32 3
		.amdhsa_float_denorm_mode_16_64 3
		.amdhsa_dx10_clamp 1
		.amdhsa_ieee_mode 1
		.amdhsa_fp16_overflow 0
		.amdhsa_tg_split 0
		.amdhsa_exception_fp_ieee_invalid_op 0
		.amdhsa_exception_fp_denorm_src 0
		.amdhsa_exception_fp_ieee_div_zero 0
		.amdhsa_exception_fp_ieee_overflow 0
		.amdhsa_exception_fp_ieee_underflow 0
		.amdhsa_exception_fp_ieee_inexact 0
		.amdhsa_exception_int_div_zero 0
	.end_amdhsa_kernel
	.section	.text._ZN7rocprim17ROCPRIM_400000_NS6detail17trampoline_kernelINS0_14default_configENS1_22reduce_config_selectorIfEEZNS1_11reduce_implILb1ES3_PfS7_fN6thrust23THRUST_200600_302600_NS4plusIfEEEE10hipError_tPvRmT1_T2_T3_mT4_P12ihipStream_tbEUlT_E1_NS1_11comp_targetILNS1_3genE3ELNS1_11target_archE908ELNS1_3gpuE7ELNS1_3repE0EEENS1_30default_config_static_selectorELNS0_4arch9wavefront6targetE1EEEvSF_,"axG",@progbits,_ZN7rocprim17ROCPRIM_400000_NS6detail17trampoline_kernelINS0_14default_configENS1_22reduce_config_selectorIfEEZNS1_11reduce_implILb1ES3_PfS7_fN6thrust23THRUST_200600_302600_NS4plusIfEEEE10hipError_tPvRmT1_T2_T3_mT4_P12ihipStream_tbEUlT_E1_NS1_11comp_targetILNS1_3genE3ELNS1_11target_archE908ELNS1_3gpuE7ELNS1_3repE0EEENS1_30default_config_static_selectorELNS0_4arch9wavefront6targetE1EEEvSF_,comdat
.Lfunc_end12:
	.size	_ZN7rocprim17ROCPRIM_400000_NS6detail17trampoline_kernelINS0_14default_configENS1_22reduce_config_selectorIfEEZNS1_11reduce_implILb1ES3_PfS7_fN6thrust23THRUST_200600_302600_NS4plusIfEEEE10hipError_tPvRmT1_T2_T3_mT4_P12ihipStream_tbEUlT_E1_NS1_11comp_targetILNS1_3genE3ELNS1_11target_archE908ELNS1_3gpuE7ELNS1_3repE0EEENS1_30default_config_static_selectorELNS0_4arch9wavefront6targetE1EEEvSF_, .Lfunc_end12-_ZN7rocprim17ROCPRIM_400000_NS6detail17trampoline_kernelINS0_14default_configENS1_22reduce_config_selectorIfEEZNS1_11reduce_implILb1ES3_PfS7_fN6thrust23THRUST_200600_302600_NS4plusIfEEEE10hipError_tPvRmT1_T2_T3_mT4_P12ihipStream_tbEUlT_E1_NS1_11comp_targetILNS1_3genE3ELNS1_11target_archE908ELNS1_3gpuE7ELNS1_3repE0EEENS1_30default_config_static_selectorELNS0_4arch9wavefront6targetE1EEEvSF_
                                        ; -- End function
	.section	.AMDGPU.csdata,"",@progbits
; Kernel info:
; codeLenInByte = 0
; NumSgprs: 4
; NumVgprs: 0
; NumAgprs: 0
; TotalNumVgprs: 0
; ScratchSize: 0
; MemoryBound: 0
; FloatMode: 240
; IeeeMode: 1
; LDSByteSize: 0 bytes/workgroup (compile time only)
; SGPRBlocks: 0
; VGPRBlocks: 0
; NumSGPRsForWavesPerEU: 4
; NumVGPRsForWavesPerEU: 1
; AccumOffset: 4
; Occupancy: 8
; WaveLimiterHint : 0
; COMPUTE_PGM_RSRC2:SCRATCH_EN: 0
; COMPUTE_PGM_RSRC2:USER_SGPR: 6
; COMPUTE_PGM_RSRC2:TRAP_HANDLER: 0
; COMPUTE_PGM_RSRC2:TGID_X_EN: 1
; COMPUTE_PGM_RSRC2:TGID_Y_EN: 0
; COMPUTE_PGM_RSRC2:TGID_Z_EN: 0
; COMPUTE_PGM_RSRC2:TIDIG_COMP_CNT: 0
; COMPUTE_PGM_RSRC3_GFX90A:ACCUM_OFFSET: 0
; COMPUTE_PGM_RSRC3_GFX90A:TG_SPLIT: 0
	.section	.text._ZN7rocprim17ROCPRIM_400000_NS6detail17trampoline_kernelINS0_14default_configENS1_22reduce_config_selectorIfEEZNS1_11reduce_implILb1ES3_PfS7_fN6thrust23THRUST_200600_302600_NS4plusIfEEEE10hipError_tPvRmT1_T2_T3_mT4_P12ihipStream_tbEUlT_E1_NS1_11comp_targetILNS1_3genE2ELNS1_11target_archE906ELNS1_3gpuE6ELNS1_3repE0EEENS1_30default_config_static_selectorELNS0_4arch9wavefront6targetE1EEEvSF_,"axG",@progbits,_ZN7rocprim17ROCPRIM_400000_NS6detail17trampoline_kernelINS0_14default_configENS1_22reduce_config_selectorIfEEZNS1_11reduce_implILb1ES3_PfS7_fN6thrust23THRUST_200600_302600_NS4plusIfEEEE10hipError_tPvRmT1_T2_T3_mT4_P12ihipStream_tbEUlT_E1_NS1_11comp_targetILNS1_3genE2ELNS1_11target_archE906ELNS1_3gpuE6ELNS1_3repE0EEENS1_30default_config_static_selectorELNS0_4arch9wavefront6targetE1EEEvSF_,comdat
	.protected	_ZN7rocprim17ROCPRIM_400000_NS6detail17trampoline_kernelINS0_14default_configENS1_22reduce_config_selectorIfEEZNS1_11reduce_implILb1ES3_PfS7_fN6thrust23THRUST_200600_302600_NS4plusIfEEEE10hipError_tPvRmT1_T2_T3_mT4_P12ihipStream_tbEUlT_E1_NS1_11comp_targetILNS1_3genE2ELNS1_11target_archE906ELNS1_3gpuE6ELNS1_3repE0EEENS1_30default_config_static_selectorELNS0_4arch9wavefront6targetE1EEEvSF_ ; -- Begin function _ZN7rocprim17ROCPRIM_400000_NS6detail17trampoline_kernelINS0_14default_configENS1_22reduce_config_selectorIfEEZNS1_11reduce_implILb1ES3_PfS7_fN6thrust23THRUST_200600_302600_NS4plusIfEEEE10hipError_tPvRmT1_T2_T3_mT4_P12ihipStream_tbEUlT_E1_NS1_11comp_targetILNS1_3genE2ELNS1_11target_archE906ELNS1_3gpuE6ELNS1_3repE0EEENS1_30default_config_static_selectorELNS0_4arch9wavefront6targetE1EEEvSF_
	.globl	_ZN7rocprim17ROCPRIM_400000_NS6detail17trampoline_kernelINS0_14default_configENS1_22reduce_config_selectorIfEEZNS1_11reduce_implILb1ES3_PfS7_fN6thrust23THRUST_200600_302600_NS4plusIfEEEE10hipError_tPvRmT1_T2_T3_mT4_P12ihipStream_tbEUlT_E1_NS1_11comp_targetILNS1_3genE2ELNS1_11target_archE906ELNS1_3gpuE6ELNS1_3repE0EEENS1_30default_config_static_selectorELNS0_4arch9wavefront6targetE1EEEvSF_
	.p2align	8
	.type	_ZN7rocprim17ROCPRIM_400000_NS6detail17trampoline_kernelINS0_14default_configENS1_22reduce_config_selectorIfEEZNS1_11reduce_implILb1ES3_PfS7_fN6thrust23THRUST_200600_302600_NS4plusIfEEEE10hipError_tPvRmT1_T2_T3_mT4_P12ihipStream_tbEUlT_E1_NS1_11comp_targetILNS1_3genE2ELNS1_11target_archE906ELNS1_3gpuE6ELNS1_3repE0EEENS1_30default_config_static_selectorELNS0_4arch9wavefront6targetE1EEEvSF_,@function
_ZN7rocprim17ROCPRIM_400000_NS6detail17trampoline_kernelINS0_14default_configENS1_22reduce_config_selectorIfEEZNS1_11reduce_implILb1ES3_PfS7_fN6thrust23THRUST_200600_302600_NS4plusIfEEEE10hipError_tPvRmT1_T2_T3_mT4_P12ihipStream_tbEUlT_E1_NS1_11comp_targetILNS1_3genE2ELNS1_11target_archE906ELNS1_3gpuE6ELNS1_3repE0EEENS1_30default_config_static_selectorELNS0_4arch9wavefront6targetE1EEEvSF_: ; @_ZN7rocprim17ROCPRIM_400000_NS6detail17trampoline_kernelINS0_14default_configENS1_22reduce_config_selectorIfEEZNS1_11reduce_implILb1ES3_PfS7_fN6thrust23THRUST_200600_302600_NS4plusIfEEEE10hipError_tPvRmT1_T2_T3_mT4_P12ihipStream_tbEUlT_E1_NS1_11comp_targetILNS1_3genE2ELNS1_11target_archE906ELNS1_3gpuE6ELNS1_3repE0EEENS1_30default_config_static_selectorELNS0_4arch9wavefront6targetE1EEEvSF_
; %bb.0:
	.section	.rodata,"a",@progbits
	.p2align	6, 0x0
	.amdhsa_kernel _ZN7rocprim17ROCPRIM_400000_NS6detail17trampoline_kernelINS0_14default_configENS1_22reduce_config_selectorIfEEZNS1_11reduce_implILb1ES3_PfS7_fN6thrust23THRUST_200600_302600_NS4plusIfEEEE10hipError_tPvRmT1_T2_T3_mT4_P12ihipStream_tbEUlT_E1_NS1_11comp_targetILNS1_3genE2ELNS1_11target_archE906ELNS1_3gpuE6ELNS1_3repE0EEENS1_30default_config_static_selectorELNS0_4arch9wavefront6targetE1EEEvSF_
		.amdhsa_group_segment_fixed_size 0
		.amdhsa_private_segment_fixed_size 0
		.amdhsa_kernarg_size 40
		.amdhsa_user_sgpr_count 6
		.amdhsa_user_sgpr_private_segment_buffer 1
		.amdhsa_user_sgpr_dispatch_ptr 0
		.amdhsa_user_sgpr_queue_ptr 0
		.amdhsa_user_sgpr_kernarg_segment_ptr 1
		.amdhsa_user_sgpr_dispatch_id 0
		.amdhsa_user_sgpr_flat_scratch_init 0
		.amdhsa_user_sgpr_kernarg_preload_length 0
		.amdhsa_user_sgpr_kernarg_preload_offset 0
		.amdhsa_user_sgpr_private_segment_size 0
		.amdhsa_uses_dynamic_stack 0
		.amdhsa_system_sgpr_private_segment_wavefront_offset 0
		.amdhsa_system_sgpr_workgroup_id_x 1
		.amdhsa_system_sgpr_workgroup_id_y 0
		.amdhsa_system_sgpr_workgroup_id_z 0
		.amdhsa_system_sgpr_workgroup_info 0
		.amdhsa_system_vgpr_workitem_id 0
		.amdhsa_next_free_vgpr 1
		.amdhsa_next_free_sgpr 0
		.amdhsa_accum_offset 4
		.amdhsa_reserve_vcc 0
		.amdhsa_reserve_flat_scratch 0
		.amdhsa_float_round_mode_32 0
		.amdhsa_float_round_mode_16_64 0
		.amdhsa_float_denorm_mode_32 3
		.amdhsa_float_denorm_mode_16_64 3
		.amdhsa_dx10_clamp 1
		.amdhsa_ieee_mode 1
		.amdhsa_fp16_overflow 0
		.amdhsa_tg_split 0
		.amdhsa_exception_fp_ieee_invalid_op 0
		.amdhsa_exception_fp_denorm_src 0
		.amdhsa_exception_fp_ieee_div_zero 0
		.amdhsa_exception_fp_ieee_overflow 0
		.amdhsa_exception_fp_ieee_underflow 0
		.amdhsa_exception_fp_ieee_inexact 0
		.amdhsa_exception_int_div_zero 0
	.end_amdhsa_kernel
	.section	.text._ZN7rocprim17ROCPRIM_400000_NS6detail17trampoline_kernelINS0_14default_configENS1_22reduce_config_selectorIfEEZNS1_11reduce_implILb1ES3_PfS7_fN6thrust23THRUST_200600_302600_NS4plusIfEEEE10hipError_tPvRmT1_T2_T3_mT4_P12ihipStream_tbEUlT_E1_NS1_11comp_targetILNS1_3genE2ELNS1_11target_archE906ELNS1_3gpuE6ELNS1_3repE0EEENS1_30default_config_static_selectorELNS0_4arch9wavefront6targetE1EEEvSF_,"axG",@progbits,_ZN7rocprim17ROCPRIM_400000_NS6detail17trampoline_kernelINS0_14default_configENS1_22reduce_config_selectorIfEEZNS1_11reduce_implILb1ES3_PfS7_fN6thrust23THRUST_200600_302600_NS4plusIfEEEE10hipError_tPvRmT1_T2_T3_mT4_P12ihipStream_tbEUlT_E1_NS1_11comp_targetILNS1_3genE2ELNS1_11target_archE906ELNS1_3gpuE6ELNS1_3repE0EEENS1_30default_config_static_selectorELNS0_4arch9wavefront6targetE1EEEvSF_,comdat
.Lfunc_end13:
	.size	_ZN7rocprim17ROCPRIM_400000_NS6detail17trampoline_kernelINS0_14default_configENS1_22reduce_config_selectorIfEEZNS1_11reduce_implILb1ES3_PfS7_fN6thrust23THRUST_200600_302600_NS4plusIfEEEE10hipError_tPvRmT1_T2_T3_mT4_P12ihipStream_tbEUlT_E1_NS1_11comp_targetILNS1_3genE2ELNS1_11target_archE906ELNS1_3gpuE6ELNS1_3repE0EEENS1_30default_config_static_selectorELNS0_4arch9wavefront6targetE1EEEvSF_, .Lfunc_end13-_ZN7rocprim17ROCPRIM_400000_NS6detail17trampoline_kernelINS0_14default_configENS1_22reduce_config_selectorIfEEZNS1_11reduce_implILb1ES3_PfS7_fN6thrust23THRUST_200600_302600_NS4plusIfEEEE10hipError_tPvRmT1_T2_T3_mT4_P12ihipStream_tbEUlT_E1_NS1_11comp_targetILNS1_3genE2ELNS1_11target_archE906ELNS1_3gpuE6ELNS1_3repE0EEENS1_30default_config_static_selectorELNS0_4arch9wavefront6targetE1EEEvSF_
                                        ; -- End function
	.section	.AMDGPU.csdata,"",@progbits
; Kernel info:
; codeLenInByte = 0
; NumSgprs: 4
; NumVgprs: 0
; NumAgprs: 0
; TotalNumVgprs: 0
; ScratchSize: 0
; MemoryBound: 0
; FloatMode: 240
; IeeeMode: 1
; LDSByteSize: 0 bytes/workgroup (compile time only)
; SGPRBlocks: 0
; VGPRBlocks: 0
; NumSGPRsForWavesPerEU: 4
; NumVGPRsForWavesPerEU: 1
; AccumOffset: 4
; Occupancy: 8
; WaveLimiterHint : 0
; COMPUTE_PGM_RSRC2:SCRATCH_EN: 0
; COMPUTE_PGM_RSRC2:USER_SGPR: 6
; COMPUTE_PGM_RSRC2:TRAP_HANDLER: 0
; COMPUTE_PGM_RSRC2:TGID_X_EN: 1
; COMPUTE_PGM_RSRC2:TGID_Y_EN: 0
; COMPUTE_PGM_RSRC2:TGID_Z_EN: 0
; COMPUTE_PGM_RSRC2:TIDIG_COMP_CNT: 0
; COMPUTE_PGM_RSRC3_GFX90A:ACCUM_OFFSET: 0
; COMPUTE_PGM_RSRC3_GFX90A:TG_SPLIT: 0
	.section	.text._ZN7rocprim17ROCPRIM_400000_NS6detail17trampoline_kernelINS0_14default_configENS1_22reduce_config_selectorIfEEZNS1_11reduce_implILb1ES3_PfS7_fN6thrust23THRUST_200600_302600_NS4plusIfEEEE10hipError_tPvRmT1_T2_T3_mT4_P12ihipStream_tbEUlT_E1_NS1_11comp_targetILNS1_3genE10ELNS1_11target_archE1201ELNS1_3gpuE5ELNS1_3repE0EEENS1_30default_config_static_selectorELNS0_4arch9wavefront6targetE1EEEvSF_,"axG",@progbits,_ZN7rocprim17ROCPRIM_400000_NS6detail17trampoline_kernelINS0_14default_configENS1_22reduce_config_selectorIfEEZNS1_11reduce_implILb1ES3_PfS7_fN6thrust23THRUST_200600_302600_NS4plusIfEEEE10hipError_tPvRmT1_T2_T3_mT4_P12ihipStream_tbEUlT_E1_NS1_11comp_targetILNS1_3genE10ELNS1_11target_archE1201ELNS1_3gpuE5ELNS1_3repE0EEENS1_30default_config_static_selectorELNS0_4arch9wavefront6targetE1EEEvSF_,comdat
	.protected	_ZN7rocprim17ROCPRIM_400000_NS6detail17trampoline_kernelINS0_14default_configENS1_22reduce_config_selectorIfEEZNS1_11reduce_implILb1ES3_PfS7_fN6thrust23THRUST_200600_302600_NS4plusIfEEEE10hipError_tPvRmT1_T2_T3_mT4_P12ihipStream_tbEUlT_E1_NS1_11comp_targetILNS1_3genE10ELNS1_11target_archE1201ELNS1_3gpuE5ELNS1_3repE0EEENS1_30default_config_static_selectorELNS0_4arch9wavefront6targetE1EEEvSF_ ; -- Begin function _ZN7rocprim17ROCPRIM_400000_NS6detail17trampoline_kernelINS0_14default_configENS1_22reduce_config_selectorIfEEZNS1_11reduce_implILb1ES3_PfS7_fN6thrust23THRUST_200600_302600_NS4plusIfEEEE10hipError_tPvRmT1_T2_T3_mT4_P12ihipStream_tbEUlT_E1_NS1_11comp_targetILNS1_3genE10ELNS1_11target_archE1201ELNS1_3gpuE5ELNS1_3repE0EEENS1_30default_config_static_selectorELNS0_4arch9wavefront6targetE1EEEvSF_
	.globl	_ZN7rocprim17ROCPRIM_400000_NS6detail17trampoline_kernelINS0_14default_configENS1_22reduce_config_selectorIfEEZNS1_11reduce_implILb1ES3_PfS7_fN6thrust23THRUST_200600_302600_NS4plusIfEEEE10hipError_tPvRmT1_T2_T3_mT4_P12ihipStream_tbEUlT_E1_NS1_11comp_targetILNS1_3genE10ELNS1_11target_archE1201ELNS1_3gpuE5ELNS1_3repE0EEENS1_30default_config_static_selectorELNS0_4arch9wavefront6targetE1EEEvSF_
	.p2align	8
	.type	_ZN7rocprim17ROCPRIM_400000_NS6detail17trampoline_kernelINS0_14default_configENS1_22reduce_config_selectorIfEEZNS1_11reduce_implILb1ES3_PfS7_fN6thrust23THRUST_200600_302600_NS4plusIfEEEE10hipError_tPvRmT1_T2_T3_mT4_P12ihipStream_tbEUlT_E1_NS1_11comp_targetILNS1_3genE10ELNS1_11target_archE1201ELNS1_3gpuE5ELNS1_3repE0EEENS1_30default_config_static_selectorELNS0_4arch9wavefront6targetE1EEEvSF_,@function
_ZN7rocprim17ROCPRIM_400000_NS6detail17trampoline_kernelINS0_14default_configENS1_22reduce_config_selectorIfEEZNS1_11reduce_implILb1ES3_PfS7_fN6thrust23THRUST_200600_302600_NS4plusIfEEEE10hipError_tPvRmT1_T2_T3_mT4_P12ihipStream_tbEUlT_E1_NS1_11comp_targetILNS1_3genE10ELNS1_11target_archE1201ELNS1_3gpuE5ELNS1_3repE0EEENS1_30default_config_static_selectorELNS0_4arch9wavefront6targetE1EEEvSF_: ; @_ZN7rocprim17ROCPRIM_400000_NS6detail17trampoline_kernelINS0_14default_configENS1_22reduce_config_selectorIfEEZNS1_11reduce_implILb1ES3_PfS7_fN6thrust23THRUST_200600_302600_NS4plusIfEEEE10hipError_tPvRmT1_T2_T3_mT4_P12ihipStream_tbEUlT_E1_NS1_11comp_targetILNS1_3genE10ELNS1_11target_archE1201ELNS1_3gpuE5ELNS1_3repE0EEENS1_30default_config_static_selectorELNS0_4arch9wavefront6targetE1EEEvSF_
; %bb.0:
	.section	.rodata,"a",@progbits
	.p2align	6, 0x0
	.amdhsa_kernel _ZN7rocprim17ROCPRIM_400000_NS6detail17trampoline_kernelINS0_14default_configENS1_22reduce_config_selectorIfEEZNS1_11reduce_implILb1ES3_PfS7_fN6thrust23THRUST_200600_302600_NS4plusIfEEEE10hipError_tPvRmT1_T2_T3_mT4_P12ihipStream_tbEUlT_E1_NS1_11comp_targetILNS1_3genE10ELNS1_11target_archE1201ELNS1_3gpuE5ELNS1_3repE0EEENS1_30default_config_static_selectorELNS0_4arch9wavefront6targetE1EEEvSF_
		.amdhsa_group_segment_fixed_size 0
		.amdhsa_private_segment_fixed_size 0
		.amdhsa_kernarg_size 40
		.amdhsa_user_sgpr_count 6
		.amdhsa_user_sgpr_private_segment_buffer 1
		.amdhsa_user_sgpr_dispatch_ptr 0
		.amdhsa_user_sgpr_queue_ptr 0
		.amdhsa_user_sgpr_kernarg_segment_ptr 1
		.amdhsa_user_sgpr_dispatch_id 0
		.amdhsa_user_sgpr_flat_scratch_init 0
		.amdhsa_user_sgpr_kernarg_preload_length 0
		.amdhsa_user_sgpr_kernarg_preload_offset 0
		.amdhsa_user_sgpr_private_segment_size 0
		.amdhsa_uses_dynamic_stack 0
		.amdhsa_system_sgpr_private_segment_wavefront_offset 0
		.amdhsa_system_sgpr_workgroup_id_x 1
		.amdhsa_system_sgpr_workgroup_id_y 0
		.amdhsa_system_sgpr_workgroup_id_z 0
		.amdhsa_system_sgpr_workgroup_info 0
		.amdhsa_system_vgpr_workitem_id 0
		.amdhsa_next_free_vgpr 1
		.amdhsa_next_free_sgpr 0
		.amdhsa_accum_offset 4
		.amdhsa_reserve_vcc 0
		.amdhsa_reserve_flat_scratch 0
		.amdhsa_float_round_mode_32 0
		.amdhsa_float_round_mode_16_64 0
		.amdhsa_float_denorm_mode_32 3
		.amdhsa_float_denorm_mode_16_64 3
		.amdhsa_dx10_clamp 1
		.amdhsa_ieee_mode 1
		.amdhsa_fp16_overflow 0
		.amdhsa_tg_split 0
		.amdhsa_exception_fp_ieee_invalid_op 0
		.amdhsa_exception_fp_denorm_src 0
		.amdhsa_exception_fp_ieee_div_zero 0
		.amdhsa_exception_fp_ieee_overflow 0
		.amdhsa_exception_fp_ieee_underflow 0
		.amdhsa_exception_fp_ieee_inexact 0
		.amdhsa_exception_int_div_zero 0
	.end_amdhsa_kernel
	.section	.text._ZN7rocprim17ROCPRIM_400000_NS6detail17trampoline_kernelINS0_14default_configENS1_22reduce_config_selectorIfEEZNS1_11reduce_implILb1ES3_PfS7_fN6thrust23THRUST_200600_302600_NS4plusIfEEEE10hipError_tPvRmT1_T2_T3_mT4_P12ihipStream_tbEUlT_E1_NS1_11comp_targetILNS1_3genE10ELNS1_11target_archE1201ELNS1_3gpuE5ELNS1_3repE0EEENS1_30default_config_static_selectorELNS0_4arch9wavefront6targetE1EEEvSF_,"axG",@progbits,_ZN7rocprim17ROCPRIM_400000_NS6detail17trampoline_kernelINS0_14default_configENS1_22reduce_config_selectorIfEEZNS1_11reduce_implILb1ES3_PfS7_fN6thrust23THRUST_200600_302600_NS4plusIfEEEE10hipError_tPvRmT1_T2_T3_mT4_P12ihipStream_tbEUlT_E1_NS1_11comp_targetILNS1_3genE10ELNS1_11target_archE1201ELNS1_3gpuE5ELNS1_3repE0EEENS1_30default_config_static_selectorELNS0_4arch9wavefront6targetE1EEEvSF_,comdat
.Lfunc_end14:
	.size	_ZN7rocprim17ROCPRIM_400000_NS6detail17trampoline_kernelINS0_14default_configENS1_22reduce_config_selectorIfEEZNS1_11reduce_implILb1ES3_PfS7_fN6thrust23THRUST_200600_302600_NS4plusIfEEEE10hipError_tPvRmT1_T2_T3_mT4_P12ihipStream_tbEUlT_E1_NS1_11comp_targetILNS1_3genE10ELNS1_11target_archE1201ELNS1_3gpuE5ELNS1_3repE0EEENS1_30default_config_static_selectorELNS0_4arch9wavefront6targetE1EEEvSF_, .Lfunc_end14-_ZN7rocprim17ROCPRIM_400000_NS6detail17trampoline_kernelINS0_14default_configENS1_22reduce_config_selectorIfEEZNS1_11reduce_implILb1ES3_PfS7_fN6thrust23THRUST_200600_302600_NS4plusIfEEEE10hipError_tPvRmT1_T2_T3_mT4_P12ihipStream_tbEUlT_E1_NS1_11comp_targetILNS1_3genE10ELNS1_11target_archE1201ELNS1_3gpuE5ELNS1_3repE0EEENS1_30default_config_static_selectorELNS0_4arch9wavefront6targetE1EEEvSF_
                                        ; -- End function
	.section	.AMDGPU.csdata,"",@progbits
; Kernel info:
; codeLenInByte = 0
; NumSgprs: 4
; NumVgprs: 0
; NumAgprs: 0
; TotalNumVgprs: 0
; ScratchSize: 0
; MemoryBound: 0
; FloatMode: 240
; IeeeMode: 1
; LDSByteSize: 0 bytes/workgroup (compile time only)
; SGPRBlocks: 0
; VGPRBlocks: 0
; NumSGPRsForWavesPerEU: 4
; NumVGPRsForWavesPerEU: 1
; AccumOffset: 4
; Occupancy: 8
; WaveLimiterHint : 0
; COMPUTE_PGM_RSRC2:SCRATCH_EN: 0
; COMPUTE_PGM_RSRC2:USER_SGPR: 6
; COMPUTE_PGM_RSRC2:TRAP_HANDLER: 0
; COMPUTE_PGM_RSRC2:TGID_X_EN: 1
; COMPUTE_PGM_RSRC2:TGID_Y_EN: 0
; COMPUTE_PGM_RSRC2:TGID_Z_EN: 0
; COMPUTE_PGM_RSRC2:TIDIG_COMP_CNT: 0
; COMPUTE_PGM_RSRC3_GFX90A:ACCUM_OFFSET: 0
; COMPUTE_PGM_RSRC3_GFX90A:TG_SPLIT: 0
	.section	.text._ZN7rocprim17ROCPRIM_400000_NS6detail17trampoline_kernelINS0_14default_configENS1_22reduce_config_selectorIfEEZNS1_11reduce_implILb1ES3_PfS7_fN6thrust23THRUST_200600_302600_NS4plusIfEEEE10hipError_tPvRmT1_T2_T3_mT4_P12ihipStream_tbEUlT_E1_NS1_11comp_targetILNS1_3genE10ELNS1_11target_archE1200ELNS1_3gpuE4ELNS1_3repE0EEENS1_30default_config_static_selectorELNS0_4arch9wavefront6targetE1EEEvSF_,"axG",@progbits,_ZN7rocprim17ROCPRIM_400000_NS6detail17trampoline_kernelINS0_14default_configENS1_22reduce_config_selectorIfEEZNS1_11reduce_implILb1ES3_PfS7_fN6thrust23THRUST_200600_302600_NS4plusIfEEEE10hipError_tPvRmT1_T2_T3_mT4_P12ihipStream_tbEUlT_E1_NS1_11comp_targetILNS1_3genE10ELNS1_11target_archE1200ELNS1_3gpuE4ELNS1_3repE0EEENS1_30default_config_static_selectorELNS0_4arch9wavefront6targetE1EEEvSF_,comdat
	.protected	_ZN7rocprim17ROCPRIM_400000_NS6detail17trampoline_kernelINS0_14default_configENS1_22reduce_config_selectorIfEEZNS1_11reduce_implILb1ES3_PfS7_fN6thrust23THRUST_200600_302600_NS4plusIfEEEE10hipError_tPvRmT1_T2_T3_mT4_P12ihipStream_tbEUlT_E1_NS1_11comp_targetILNS1_3genE10ELNS1_11target_archE1200ELNS1_3gpuE4ELNS1_3repE0EEENS1_30default_config_static_selectorELNS0_4arch9wavefront6targetE1EEEvSF_ ; -- Begin function _ZN7rocprim17ROCPRIM_400000_NS6detail17trampoline_kernelINS0_14default_configENS1_22reduce_config_selectorIfEEZNS1_11reduce_implILb1ES3_PfS7_fN6thrust23THRUST_200600_302600_NS4plusIfEEEE10hipError_tPvRmT1_T2_T3_mT4_P12ihipStream_tbEUlT_E1_NS1_11comp_targetILNS1_3genE10ELNS1_11target_archE1200ELNS1_3gpuE4ELNS1_3repE0EEENS1_30default_config_static_selectorELNS0_4arch9wavefront6targetE1EEEvSF_
	.globl	_ZN7rocprim17ROCPRIM_400000_NS6detail17trampoline_kernelINS0_14default_configENS1_22reduce_config_selectorIfEEZNS1_11reduce_implILb1ES3_PfS7_fN6thrust23THRUST_200600_302600_NS4plusIfEEEE10hipError_tPvRmT1_T2_T3_mT4_P12ihipStream_tbEUlT_E1_NS1_11comp_targetILNS1_3genE10ELNS1_11target_archE1200ELNS1_3gpuE4ELNS1_3repE0EEENS1_30default_config_static_selectorELNS0_4arch9wavefront6targetE1EEEvSF_
	.p2align	8
	.type	_ZN7rocprim17ROCPRIM_400000_NS6detail17trampoline_kernelINS0_14default_configENS1_22reduce_config_selectorIfEEZNS1_11reduce_implILb1ES3_PfS7_fN6thrust23THRUST_200600_302600_NS4plusIfEEEE10hipError_tPvRmT1_T2_T3_mT4_P12ihipStream_tbEUlT_E1_NS1_11comp_targetILNS1_3genE10ELNS1_11target_archE1200ELNS1_3gpuE4ELNS1_3repE0EEENS1_30default_config_static_selectorELNS0_4arch9wavefront6targetE1EEEvSF_,@function
_ZN7rocprim17ROCPRIM_400000_NS6detail17trampoline_kernelINS0_14default_configENS1_22reduce_config_selectorIfEEZNS1_11reduce_implILb1ES3_PfS7_fN6thrust23THRUST_200600_302600_NS4plusIfEEEE10hipError_tPvRmT1_T2_T3_mT4_P12ihipStream_tbEUlT_E1_NS1_11comp_targetILNS1_3genE10ELNS1_11target_archE1200ELNS1_3gpuE4ELNS1_3repE0EEENS1_30default_config_static_selectorELNS0_4arch9wavefront6targetE1EEEvSF_: ; @_ZN7rocprim17ROCPRIM_400000_NS6detail17trampoline_kernelINS0_14default_configENS1_22reduce_config_selectorIfEEZNS1_11reduce_implILb1ES3_PfS7_fN6thrust23THRUST_200600_302600_NS4plusIfEEEE10hipError_tPvRmT1_T2_T3_mT4_P12ihipStream_tbEUlT_E1_NS1_11comp_targetILNS1_3genE10ELNS1_11target_archE1200ELNS1_3gpuE4ELNS1_3repE0EEENS1_30default_config_static_selectorELNS0_4arch9wavefront6targetE1EEEvSF_
; %bb.0:
	.section	.rodata,"a",@progbits
	.p2align	6, 0x0
	.amdhsa_kernel _ZN7rocprim17ROCPRIM_400000_NS6detail17trampoline_kernelINS0_14default_configENS1_22reduce_config_selectorIfEEZNS1_11reduce_implILb1ES3_PfS7_fN6thrust23THRUST_200600_302600_NS4plusIfEEEE10hipError_tPvRmT1_T2_T3_mT4_P12ihipStream_tbEUlT_E1_NS1_11comp_targetILNS1_3genE10ELNS1_11target_archE1200ELNS1_3gpuE4ELNS1_3repE0EEENS1_30default_config_static_selectorELNS0_4arch9wavefront6targetE1EEEvSF_
		.amdhsa_group_segment_fixed_size 0
		.amdhsa_private_segment_fixed_size 0
		.amdhsa_kernarg_size 40
		.amdhsa_user_sgpr_count 6
		.amdhsa_user_sgpr_private_segment_buffer 1
		.amdhsa_user_sgpr_dispatch_ptr 0
		.amdhsa_user_sgpr_queue_ptr 0
		.amdhsa_user_sgpr_kernarg_segment_ptr 1
		.amdhsa_user_sgpr_dispatch_id 0
		.amdhsa_user_sgpr_flat_scratch_init 0
		.amdhsa_user_sgpr_kernarg_preload_length 0
		.amdhsa_user_sgpr_kernarg_preload_offset 0
		.amdhsa_user_sgpr_private_segment_size 0
		.amdhsa_uses_dynamic_stack 0
		.amdhsa_system_sgpr_private_segment_wavefront_offset 0
		.amdhsa_system_sgpr_workgroup_id_x 1
		.amdhsa_system_sgpr_workgroup_id_y 0
		.amdhsa_system_sgpr_workgroup_id_z 0
		.amdhsa_system_sgpr_workgroup_info 0
		.amdhsa_system_vgpr_workitem_id 0
		.amdhsa_next_free_vgpr 1
		.amdhsa_next_free_sgpr 0
		.amdhsa_accum_offset 4
		.amdhsa_reserve_vcc 0
		.amdhsa_reserve_flat_scratch 0
		.amdhsa_float_round_mode_32 0
		.amdhsa_float_round_mode_16_64 0
		.amdhsa_float_denorm_mode_32 3
		.amdhsa_float_denorm_mode_16_64 3
		.amdhsa_dx10_clamp 1
		.amdhsa_ieee_mode 1
		.amdhsa_fp16_overflow 0
		.amdhsa_tg_split 0
		.amdhsa_exception_fp_ieee_invalid_op 0
		.amdhsa_exception_fp_denorm_src 0
		.amdhsa_exception_fp_ieee_div_zero 0
		.amdhsa_exception_fp_ieee_overflow 0
		.amdhsa_exception_fp_ieee_underflow 0
		.amdhsa_exception_fp_ieee_inexact 0
		.amdhsa_exception_int_div_zero 0
	.end_amdhsa_kernel
	.section	.text._ZN7rocprim17ROCPRIM_400000_NS6detail17trampoline_kernelINS0_14default_configENS1_22reduce_config_selectorIfEEZNS1_11reduce_implILb1ES3_PfS7_fN6thrust23THRUST_200600_302600_NS4plusIfEEEE10hipError_tPvRmT1_T2_T3_mT4_P12ihipStream_tbEUlT_E1_NS1_11comp_targetILNS1_3genE10ELNS1_11target_archE1200ELNS1_3gpuE4ELNS1_3repE0EEENS1_30default_config_static_selectorELNS0_4arch9wavefront6targetE1EEEvSF_,"axG",@progbits,_ZN7rocprim17ROCPRIM_400000_NS6detail17trampoline_kernelINS0_14default_configENS1_22reduce_config_selectorIfEEZNS1_11reduce_implILb1ES3_PfS7_fN6thrust23THRUST_200600_302600_NS4plusIfEEEE10hipError_tPvRmT1_T2_T3_mT4_P12ihipStream_tbEUlT_E1_NS1_11comp_targetILNS1_3genE10ELNS1_11target_archE1200ELNS1_3gpuE4ELNS1_3repE0EEENS1_30default_config_static_selectorELNS0_4arch9wavefront6targetE1EEEvSF_,comdat
.Lfunc_end15:
	.size	_ZN7rocprim17ROCPRIM_400000_NS6detail17trampoline_kernelINS0_14default_configENS1_22reduce_config_selectorIfEEZNS1_11reduce_implILb1ES3_PfS7_fN6thrust23THRUST_200600_302600_NS4plusIfEEEE10hipError_tPvRmT1_T2_T3_mT4_P12ihipStream_tbEUlT_E1_NS1_11comp_targetILNS1_3genE10ELNS1_11target_archE1200ELNS1_3gpuE4ELNS1_3repE0EEENS1_30default_config_static_selectorELNS0_4arch9wavefront6targetE1EEEvSF_, .Lfunc_end15-_ZN7rocprim17ROCPRIM_400000_NS6detail17trampoline_kernelINS0_14default_configENS1_22reduce_config_selectorIfEEZNS1_11reduce_implILb1ES3_PfS7_fN6thrust23THRUST_200600_302600_NS4plusIfEEEE10hipError_tPvRmT1_T2_T3_mT4_P12ihipStream_tbEUlT_E1_NS1_11comp_targetILNS1_3genE10ELNS1_11target_archE1200ELNS1_3gpuE4ELNS1_3repE0EEENS1_30default_config_static_selectorELNS0_4arch9wavefront6targetE1EEEvSF_
                                        ; -- End function
	.section	.AMDGPU.csdata,"",@progbits
; Kernel info:
; codeLenInByte = 0
; NumSgprs: 4
; NumVgprs: 0
; NumAgprs: 0
; TotalNumVgprs: 0
; ScratchSize: 0
; MemoryBound: 0
; FloatMode: 240
; IeeeMode: 1
; LDSByteSize: 0 bytes/workgroup (compile time only)
; SGPRBlocks: 0
; VGPRBlocks: 0
; NumSGPRsForWavesPerEU: 4
; NumVGPRsForWavesPerEU: 1
; AccumOffset: 4
; Occupancy: 8
; WaveLimiterHint : 0
; COMPUTE_PGM_RSRC2:SCRATCH_EN: 0
; COMPUTE_PGM_RSRC2:USER_SGPR: 6
; COMPUTE_PGM_RSRC2:TRAP_HANDLER: 0
; COMPUTE_PGM_RSRC2:TGID_X_EN: 1
; COMPUTE_PGM_RSRC2:TGID_Y_EN: 0
; COMPUTE_PGM_RSRC2:TGID_Z_EN: 0
; COMPUTE_PGM_RSRC2:TIDIG_COMP_CNT: 0
; COMPUTE_PGM_RSRC3_GFX90A:ACCUM_OFFSET: 0
; COMPUTE_PGM_RSRC3_GFX90A:TG_SPLIT: 0
	.section	.text._ZN7rocprim17ROCPRIM_400000_NS6detail17trampoline_kernelINS0_14default_configENS1_22reduce_config_selectorIfEEZNS1_11reduce_implILb1ES3_PfS7_fN6thrust23THRUST_200600_302600_NS4plusIfEEEE10hipError_tPvRmT1_T2_T3_mT4_P12ihipStream_tbEUlT_E1_NS1_11comp_targetILNS1_3genE9ELNS1_11target_archE1100ELNS1_3gpuE3ELNS1_3repE0EEENS1_30default_config_static_selectorELNS0_4arch9wavefront6targetE1EEEvSF_,"axG",@progbits,_ZN7rocprim17ROCPRIM_400000_NS6detail17trampoline_kernelINS0_14default_configENS1_22reduce_config_selectorIfEEZNS1_11reduce_implILb1ES3_PfS7_fN6thrust23THRUST_200600_302600_NS4plusIfEEEE10hipError_tPvRmT1_T2_T3_mT4_P12ihipStream_tbEUlT_E1_NS1_11comp_targetILNS1_3genE9ELNS1_11target_archE1100ELNS1_3gpuE3ELNS1_3repE0EEENS1_30default_config_static_selectorELNS0_4arch9wavefront6targetE1EEEvSF_,comdat
	.protected	_ZN7rocprim17ROCPRIM_400000_NS6detail17trampoline_kernelINS0_14default_configENS1_22reduce_config_selectorIfEEZNS1_11reduce_implILb1ES3_PfS7_fN6thrust23THRUST_200600_302600_NS4plusIfEEEE10hipError_tPvRmT1_T2_T3_mT4_P12ihipStream_tbEUlT_E1_NS1_11comp_targetILNS1_3genE9ELNS1_11target_archE1100ELNS1_3gpuE3ELNS1_3repE0EEENS1_30default_config_static_selectorELNS0_4arch9wavefront6targetE1EEEvSF_ ; -- Begin function _ZN7rocprim17ROCPRIM_400000_NS6detail17trampoline_kernelINS0_14default_configENS1_22reduce_config_selectorIfEEZNS1_11reduce_implILb1ES3_PfS7_fN6thrust23THRUST_200600_302600_NS4plusIfEEEE10hipError_tPvRmT1_T2_T3_mT4_P12ihipStream_tbEUlT_E1_NS1_11comp_targetILNS1_3genE9ELNS1_11target_archE1100ELNS1_3gpuE3ELNS1_3repE0EEENS1_30default_config_static_selectorELNS0_4arch9wavefront6targetE1EEEvSF_
	.globl	_ZN7rocprim17ROCPRIM_400000_NS6detail17trampoline_kernelINS0_14default_configENS1_22reduce_config_selectorIfEEZNS1_11reduce_implILb1ES3_PfS7_fN6thrust23THRUST_200600_302600_NS4plusIfEEEE10hipError_tPvRmT1_T2_T3_mT4_P12ihipStream_tbEUlT_E1_NS1_11comp_targetILNS1_3genE9ELNS1_11target_archE1100ELNS1_3gpuE3ELNS1_3repE0EEENS1_30default_config_static_selectorELNS0_4arch9wavefront6targetE1EEEvSF_
	.p2align	8
	.type	_ZN7rocprim17ROCPRIM_400000_NS6detail17trampoline_kernelINS0_14default_configENS1_22reduce_config_selectorIfEEZNS1_11reduce_implILb1ES3_PfS7_fN6thrust23THRUST_200600_302600_NS4plusIfEEEE10hipError_tPvRmT1_T2_T3_mT4_P12ihipStream_tbEUlT_E1_NS1_11comp_targetILNS1_3genE9ELNS1_11target_archE1100ELNS1_3gpuE3ELNS1_3repE0EEENS1_30default_config_static_selectorELNS0_4arch9wavefront6targetE1EEEvSF_,@function
_ZN7rocprim17ROCPRIM_400000_NS6detail17trampoline_kernelINS0_14default_configENS1_22reduce_config_selectorIfEEZNS1_11reduce_implILb1ES3_PfS7_fN6thrust23THRUST_200600_302600_NS4plusIfEEEE10hipError_tPvRmT1_T2_T3_mT4_P12ihipStream_tbEUlT_E1_NS1_11comp_targetILNS1_3genE9ELNS1_11target_archE1100ELNS1_3gpuE3ELNS1_3repE0EEENS1_30default_config_static_selectorELNS0_4arch9wavefront6targetE1EEEvSF_: ; @_ZN7rocprim17ROCPRIM_400000_NS6detail17trampoline_kernelINS0_14default_configENS1_22reduce_config_selectorIfEEZNS1_11reduce_implILb1ES3_PfS7_fN6thrust23THRUST_200600_302600_NS4plusIfEEEE10hipError_tPvRmT1_T2_T3_mT4_P12ihipStream_tbEUlT_E1_NS1_11comp_targetILNS1_3genE9ELNS1_11target_archE1100ELNS1_3gpuE3ELNS1_3repE0EEENS1_30default_config_static_selectorELNS0_4arch9wavefront6targetE1EEEvSF_
; %bb.0:
	.section	.rodata,"a",@progbits
	.p2align	6, 0x0
	.amdhsa_kernel _ZN7rocprim17ROCPRIM_400000_NS6detail17trampoline_kernelINS0_14default_configENS1_22reduce_config_selectorIfEEZNS1_11reduce_implILb1ES3_PfS7_fN6thrust23THRUST_200600_302600_NS4plusIfEEEE10hipError_tPvRmT1_T2_T3_mT4_P12ihipStream_tbEUlT_E1_NS1_11comp_targetILNS1_3genE9ELNS1_11target_archE1100ELNS1_3gpuE3ELNS1_3repE0EEENS1_30default_config_static_selectorELNS0_4arch9wavefront6targetE1EEEvSF_
		.amdhsa_group_segment_fixed_size 0
		.amdhsa_private_segment_fixed_size 0
		.amdhsa_kernarg_size 40
		.amdhsa_user_sgpr_count 6
		.amdhsa_user_sgpr_private_segment_buffer 1
		.amdhsa_user_sgpr_dispatch_ptr 0
		.amdhsa_user_sgpr_queue_ptr 0
		.amdhsa_user_sgpr_kernarg_segment_ptr 1
		.amdhsa_user_sgpr_dispatch_id 0
		.amdhsa_user_sgpr_flat_scratch_init 0
		.amdhsa_user_sgpr_kernarg_preload_length 0
		.amdhsa_user_sgpr_kernarg_preload_offset 0
		.amdhsa_user_sgpr_private_segment_size 0
		.amdhsa_uses_dynamic_stack 0
		.amdhsa_system_sgpr_private_segment_wavefront_offset 0
		.amdhsa_system_sgpr_workgroup_id_x 1
		.amdhsa_system_sgpr_workgroup_id_y 0
		.amdhsa_system_sgpr_workgroup_id_z 0
		.amdhsa_system_sgpr_workgroup_info 0
		.amdhsa_system_vgpr_workitem_id 0
		.amdhsa_next_free_vgpr 1
		.amdhsa_next_free_sgpr 0
		.amdhsa_accum_offset 4
		.amdhsa_reserve_vcc 0
		.amdhsa_reserve_flat_scratch 0
		.amdhsa_float_round_mode_32 0
		.amdhsa_float_round_mode_16_64 0
		.amdhsa_float_denorm_mode_32 3
		.amdhsa_float_denorm_mode_16_64 3
		.amdhsa_dx10_clamp 1
		.amdhsa_ieee_mode 1
		.amdhsa_fp16_overflow 0
		.amdhsa_tg_split 0
		.amdhsa_exception_fp_ieee_invalid_op 0
		.amdhsa_exception_fp_denorm_src 0
		.amdhsa_exception_fp_ieee_div_zero 0
		.amdhsa_exception_fp_ieee_overflow 0
		.amdhsa_exception_fp_ieee_underflow 0
		.amdhsa_exception_fp_ieee_inexact 0
		.amdhsa_exception_int_div_zero 0
	.end_amdhsa_kernel
	.section	.text._ZN7rocprim17ROCPRIM_400000_NS6detail17trampoline_kernelINS0_14default_configENS1_22reduce_config_selectorIfEEZNS1_11reduce_implILb1ES3_PfS7_fN6thrust23THRUST_200600_302600_NS4plusIfEEEE10hipError_tPvRmT1_T2_T3_mT4_P12ihipStream_tbEUlT_E1_NS1_11comp_targetILNS1_3genE9ELNS1_11target_archE1100ELNS1_3gpuE3ELNS1_3repE0EEENS1_30default_config_static_selectorELNS0_4arch9wavefront6targetE1EEEvSF_,"axG",@progbits,_ZN7rocprim17ROCPRIM_400000_NS6detail17trampoline_kernelINS0_14default_configENS1_22reduce_config_selectorIfEEZNS1_11reduce_implILb1ES3_PfS7_fN6thrust23THRUST_200600_302600_NS4plusIfEEEE10hipError_tPvRmT1_T2_T3_mT4_P12ihipStream_tbEUlT_E1_NS1_11comp_targetILNS1_3genE9ELNS1_11target_archE1100ELNS1_3gpuE3ELNS1_3repE0EEENS1_30default_config_static_selectorELNS0_4arch9wavefront6targetE1EEEvSF_,comdat
.Lfunc_end16:
	.size	_ZN7rocprim17ROCPRIM_400000_NS6detail17trampoline_kernelINS0_14default_configENS1_22reduce_config_selectorIfEEZNS1_11reduce_implILb1ES3_PfS7_fN6thrust23THRUST_200600_302600_NS4plusIfEEEE10hipError_tPvRmT1_T2_T3_mT4_P12ihipStream_tbEUlT_E1_NS1_11comp_targetILNS1_3genE9ELNS1_11target_archE1100ELNS1_3gpuE3ELNS1_3repE0EEENS1_30default_config_static_selectorELNS0_4arch9wavefront6targetE1EEEvSF_, .Lfunc_end16-_ZN7rocprim17ROCPRIM_400000_NS6detail17trampoline_kernelINS0_14default_configENS1_22reduce_config_selectorIfEEZNS1_11reduce_implILb1ES3_PfS7_fN6thrust23THRUST_200600_302600_NS4plusIfEEEE10hipError_tPvRmT1_T2_T3_mT4_P12ihipStream_tbEUlT_E1_NS1_11comp_targetILNS1_3genE9ELNS1_11target_archE1100ELNS1_3gpuE3ELNS1_3repE0EEENS1_30default_config_static_selectorELNS0_4arch9wavefront6targetE1EEEvSF_
                                        ; -- End function
	.section	.AMDGPU.csdata,"",@progbits
; Kernel info:
; codeLenInByte = 0
; NumSgprs: 4
; NumVgprs: 0
; NumAgprs: 0
; TotalNumVgprs: 0
; ScratchSize: 0
; MemoryBound: 0
; FloatMode: 240
; IeeeMode: 1
; LDSByteSize: 0 bytes/workgroup (compile time only)
; SGPRBlocks: 0
; VGPRBlocks: 0
; NumSGPRsForWavesPerEU: 4
; NumVGPRsForWavesPerEU: 1
; AccumOffset: 4
; Occupancy: 8
; WaveLimiterHint : 0
; COMPUTE_PGM_RSRC2:SCRATCH_EN: 0
; COMPUTE_PGM_RSRC2:USER_SGPR: 6
; COMPUTE_PGM_RSRC2:TRAP_HANDLER: 0
; COMPUTE_PGM_RSRC2:TGID_X_EN: 1
; COMPUTE_PGM_RSRC2:TGID_Y_EN: 0
; COMPUTE_PGM_RSRC2:TGID_Z_EN: 0
; COMPUTE_PGM_RSRC2:TIDIG_COMP_CNT: 0
; COMPUTE_PGM_RSRC3_GFX90A:ACCUM_OFFSET: 0
; COMPUTE_PGM_RSRC3_GFX90A:TG_SPLIT: 0
	.section	.text._ZN7rocprim17ROCPRIM_400000_NS6detail17trampoline_kernelINS0_14default_configENS1_22reduce_config_selectorIfEEZNS1_11reduce_implILb1ES3_PfS7_fN6thrust23THRUST_200600_302600_NS4plusIfEEEE10hipError_tPvRmT1_T2_T3_mT4_P12ihipStream_tbEUlT_E1_NS1_11comp_targetILNS1_3genE8ELNS1_11target_archE1030ELNS1_3gpuE2ELNS1_3repE0EEENS1_30default_config_static_selectorELNS0_4arch9wavefront6targetE1EEEvSF_,"axG",@progbits,_ZN7rocprim17ROCPRIM_400000_NS6detail17trampoline_kernelINS0_14default_configENS1_22reduce_config_selectorIfEEZNS1_11reduce_implILb1ES3_PfS7_fN6thrust23THRUST_200600_302600_NS4plusIfEEEE10hipError_tPvRmT1_T2_T3_mT4_P12ihipStream_tbEUlT_E1_NS1_11comp_targetILNS1_3genE8ELNS1_11target_archE1030ELNS1_3gpuE2ELNS1_3repE0EEENS1_30default_config_static_selectorELNS0_4arch9wavefront6targetE1EEEvSF_,comdat
	.protected	_ZN7rocprim17ROCPRIM_400000_NS6detail17trampoline_kernelINS0_14default_configENS1_22reduce_config_selectorIfEEZNS1_11reduce_implILb1ES3_PfS7_fN6thrust23THRUST_200600_302600_NS4plusIfEEEE10hipError_tPvRmT1_T2_T3_mT4_P12ihipStream_tbEUlT_E1_NS1_11comp_targetILNS1_3genE8ELNS1_11target_archE1030ELNS1_3gpuE2ELNS1_3repE0EEENS1_30default_config_static_selectorELNS0_4arch9wavefront6targetE1EEEvSF_ ; -- Begin function _ZN7rocprim17ROCPRIM_400000_NS6detail17trampoline_kernelINS0_14default_configENS1_22reduce_config_selectorIfEEZNS1_11reduce_implILb1ES3_PfS7_fN6thrust23THRUST_200600_302600_NS4plusIfEEEE10hipError_tPvRmT1_T2_T3_mT4_P12ihipStream_tbEUlT_E1_NS1_11comp_targetILNS1_3genE8ELNS1_11target_archE1030ELNS1_3gpuE2ELNS1_3repE0EEENS1_30default_config_static_selectorELNS0_4arch9wavefront6targetE1EEEvSF_
	.globl	_ZN7rocprim17ROCPRIM_400000_NS6detail17trampoline_kernelINS0_14default_configENS1_22reduce_config_selectorIfEEZNS1_11reduce_implILb1ES3_PfS7_fN6thrust23THRUST_200600_302600_NS4plusIfEEEE10hipError_tPvRmT1_T2_T3_mT4_P12ihipStream_tbEUlT_E1_NS1_11comp_targetILNS1_3genE8ELNS1_11target_archE1030ELNS1_3gpuE2ELNS1_3repE0EEENS1_30default_config_static_selectorELNS0_4arch9wavefront6targetE1EEEvSF_
	.p2align	8
	.type	_ZN7rocprim17ROCPRIM_400000_NS6detail17trampoline_kernelINS0_14default_configENS1_22reduce_config_selectorIfEEZNS1_11reduce_implILb1ES3_PfS7_fN6thrust23THRUST_200600_302600_NS4plusIfEEEE10hipError_tPvRmT1_T2_T3_mT4_P12ihipStream_tbEUlT_E1_NS1_11comp_targetILNS1_3genE8ELNS1_11target_archE1030ELNS1_3gpuE2ELNS1_3repE0EEENS1_30default_config_static_selectorELNS0_4arch9wavefront6targetE1EEEvSF_,@function
_ZN7rocprim17ROCPRIM_400000_NS6detail17trampoline_kernelINS0_14default_configENS1_22reduce_config_selectorIfEEZNS1_11reduce_implILb1ES3_PfS7_fN6thrust23THRUST_200600_302600_NS4plusIfEEEE10hipError_tPvRmT1_T2_T3_mT4_P12ihipStream_tbEUlT_E1_NS1_11comp_targetILNS1_3genE8ELNS1_11target_archE1030ELNS1_3gpuE2ELNS1_3repE0EEENS1_30default_config_static_selectorELNS0_4arch9wavefront6targetE1EEEvSF_: ; @_ZN7rocprim17ROCPRIM_400000_NS6detail17trampoline_kernelINS0_14default_configENS1_22reduce_config_selectorIfEEZNS1_11reduce_implILb1ES3_PfS7_fN6thrust23THRUST_200600_302600_NS4plusIfEEEE10hipError_tPvRmT1_T2_T3_mT4_P12ihipStream_tbEUlT_E1_NS1_11comp_targetILNS1_3genE8ELNS1_11target_archE1030ELNS1_3gpuE2ELNS1_3repE0EEENS1_30default_config_static_selectorELNS0_4arch9wavefront6targetE1EEEvSF_
; %bb.0:
	.section	.rodata,"a",@progbits
	.p2align	6, 0x0
	.amdhsa_kernel _ZN7rocprim17ROCPRIM_400000_NS6detail17trampoline_kernelINS0_14default_configENS1_22reduce_config_selectorIfEEZNS1_11reduce_implILb1ES3_PfS7_fN6thrust23THRUST_200600_302600_NS4plusIfEEEE10hipError_tPvRmT1_T2_T3_mT4_P12ihipStream_tbEUlT_E1_NS1_11comp_targetILNS1_3genE8ELNS1_11target_archE1030ELNS1_3gpuE2ELNS1_3repE0EEENS1_30default_config_static_selectorELNS0_4arch9wavefront6targetE1EEEvSF_
		.amdhsa_group_segment_fixed_size 0
		.amdhsa_private_segment_fixed_size 0
		.amdhsa_kernarg_size 40
		.amdhsa_user_sgpr_count 6
		.amdhsa_user_sgpr_private_segment_buffer 1
		.amdhsa_user_sgpr_dispatch_ptr 0
		.amdhsa_user_sgpr_queue_ptr 0
		.amdhsa_user_sgpr_kernarg_segment_ptr 1
		.amdhsa_user_sgpr_dispatch_id 0
		.amdhsa_user_sgpr_flat_scratch_init 0
		.amdhsa_user_sgpr_kernarg_preload_length 0
		.amdhsa_user_sgpr_kernarg_preload_offset 0
		.amdhsa_user_sgpr_private_segment_size 0
		.amdhsa_uses_dynamic_stack 0
		.amdhsa_system_sgpr_private_segment_wavefront_offset 0
		.amdhsa_system_sgpr_workgroup_id_x 1
		.amdhsa_system_sgpr_workgroup_id_y 0
		.amdhsa_system_sgpr_workgroup_id_z 0
		.amdhsa_system_sgpr_workgroup_info 0
		.amdhsa_system_vgpr_workitem_id 0
		.amdhsa_next_free_vgpr 1
		.amdhsa_next_free_sgpr 0
		.amdhsa_accum_offset 4
		.amdhsa_reserve_vcc 0
		.amdhsa_reserve_flat_scratch 0
		.amdhsa_float_round_mode_32 0
		.amdhsa_float_round_mode_16_64 0
		.amdhsa_float_denorm_mode_32 3
		.amdhsa_float_denorm_mode_16_64 3
		.amdhsa_dx10_clamp 1
		.amdhsa_ieee_mode 1
		.amdhsa_fp16_overflow 0
		.amdhsa_tg_split 0
		.amdhsa_exception_fp_ieee_invalid_op 0
		.amdhsa_exception_fp_denorm_src 0
		.amdhsa_exception_fp_ieee_div_zero 0
		.amdhsa_exception_fp_ieee_overflow 0
		.amdhsa_exception_fp_ieee_underflow 0
		.amdhsa_exception_fp_ieee_inexact 0
		.amdhsa_exception_int_div_zero 0
	.end_amdhsa_kernel
	.section	.text._ZN7rocprim17ROCPRIM_400000_NS6detail17trampoline_kernelINS0_14default_configENS1_22reduce_config_selectorIfEEZNS1_11reduce_implILb1ES3_PfS7_fN6thrust23THRUST_200600_302600_NS4plusIfEEEE10hipError_tPvRmT1_T2_T3_mT4_P12ihipStream_tbEUlT_E1_NS1_11comp_targetILNS1_3genE8ELNS1_11target_archE1030ELNS1_3gpuE2ELNS1_3repE0EEENS1_30default_config_static_selectorELNS0_4arch9wavefront6targetE1EEEvSF_,"axG",@progbits,_ZN7rocprim17ROCPRIM_400000_NS6detail17trampoline_kernelINS0_14default_configENS1_22reduce_config_selectorIfEEZNS1_11reduce_implILb1ES3_PfS7_fN6thrust23THRUST_200600_302600_NS4plusIfEEEE10hipError_tPvRmT1_T2_T3_mT4_P12ihipStream_tbEUlT_E1_NS1_11comp_targetILNS1_3genE8ELNS1_11target_archE1030ELNS1_3gpuE2ELNS1_3repE0EEENS1_30default_config_static_selectorELNS0_4arch9wavefront6targetE1EEEvSF_,comdat
.Lfunc_end17:
	.size	_ZN7rocprim17ROCPRIM_400000_NS6detail17trampoline_kernelINS0_14default_configENS1_22reduce_config_selectorIfEEZNS1_11reduce_implILb1ES3_PfS7_fN6thrust23THRUST_200600_302600_NS4plusIfEEEE10hipError_tPvRmT1_T2_T3_mT4_P12ihipStream_tbEUlT_E1_NS1_11comp_targetILNS1_3genE8ELNS1_11target_archE1030ELNS1_3gpuE2ELNS1_3repE0EEENS1_30default_config_static_selectorELNS0_4arch9wavefront6targetE1EEEvSF_, .Lfunc_end17-_ZN7rocprim17ROCPRIM_400000_NS6detail17trampoline_kernelINS0_14default_configENS1_22reduce_config_selectorIfEEZNS1_11reduce_implILb1ES3_PfS7_fN6thrust23THRUST_200600_302600_NS4plusIfEEEE10hipError_tPvRmT1_T2_T3_mT4_P12ihipStream_tbEUlT_E1_NS1_11comp_targetILNS1_3genE8ELNS1_11target_archE1030ELNS1_3gpuE2ELNS1_3repE0EEENS1_30default_config_static_selectorELNS0_4arch9wavefront6targetE1EEEvSF_
                                        ; -- End function
	.section	.AMDGPU.csdata,"",@progbits
; Kernel info:
; codeLenInByte = 0
; NumSgprs: 4
; NumVgprs: 0
; NumAgprs: 0
; TotalNumVgprs: 0
; ScratchSize: 0
; MemoryBound: 0
; FloatMode: 240
; IeeeMode: 1
; LDSByteSize: 0 bytes/workgroup (compile time only)
; SGPRBlocks: 0
; VGPRBlocks: 0
; NumSGPRsForWavesPerEU: 4
; NumVGPRsForWavesPerEU: 1
; AccumOffset: 4
; Occupancy: 8
; WaveLimiterHint : 0
; COMPUTE_PGM_RSRC2:SCRATCH_EN: 0
; COMPUTE_PGM_RSRC2:USER_SGPR: 6
; COMPUTE_PGM_RSRC2:TRAP_HANDLER: 0
; COMPUTE_PGM_RSRC2:TGID_X_EN: 1
; COMPUTE_PGM_RSRC2:TGID_Y_EN: 0
; COMPUTE_PGM_RSRC2:TGID_Z_EN: 0
; COMPUTE_PGM_RSRC2:TIDIG_COMP_CNT: 0
; COMPUTE_PGM_RSRC3_GFX90A:ACCUM_OFFSET: 0
; COMPUTE_PGM_RSRC3_GFX90A:TG_SPLIT: 0
	.section	.text._ZN7rocprim17ROCPRIM_400000_NS6detail17trampoline_kernelINS0_14default_configENS1_22reduce_config_selectorIfEEZNS1_11reduce_implILb1ES3_N6thrust23THRUST_200600_302600_NS11hip_rocprim26transform_input_iterator_tIfNS8_17counting_iteratorIiNS8_11use_defaultESC_SC_EE11estimate_piEEPffNS8_4plusIfEEEE10hipError_tPvRmT1_T2_T3_mT4_P12ihipStream_tbEUlT_E0_NS1_11comp_targetILNS1_3genE0ELNS1_11target_archE4294967295ELNS1_3gpuE0ELNS1_3repE0EEENS1_30default_config_static_selectorELNS0_4arch9wavefront6targetE1EEEvSM_,"axG",@progbits,_ZN7rocprim17ROCPRIM_400000_NS6detail17trampoline_kernelINS0_14default_configENS1_22reduce_config_selectorIfEEZNS1_11reduce_implILb1ES3_N6thrust23THRUST_200600_302600_NS11hip_rocprim26transform_input_iterator_tIfNS8_17counting_iteratorIiNS8_11use_defaultESC_SC_EE11estimate_piEEPffNS8_4plusIfEEEE10hipError_tPvRmT1_T2_T3_mT4_P12ihipStream_tbEUlT_E0_NS1_11comp_targetILNS1_3genE0ELNS1_11target_archE4294967295ELNS1_3gpuE0ELNS1_3repE0EEENS1_30default_config_static_selectorELNS0_4arch9wavefront6targetE1EEEvSM_,comdat
	.protected	_ZN7rocprim17ROCPRIM_400000_NS6detail17trampoline_kernelINS0_14default_configENS1_22reduce_config_selectorIfEEZNS1_11reduce_implILb1ES3_N6thrust23THRUST_200600_302600_NS11hip_rocprim26transform_input_iterator_tIfNS8_17counting_iteratorIiNS8_11use_defaultESC_SC_EE11estimate_piEEPffNS8_4plusIfEEEE10hipError_tPvRmT1_T2_T3_mT4_P12ihipStream_tbEUlT_E0_NS1_11comp_targetILNS1_3genE0ELNS1_11target_archE4294967295ELNS1_3gpuE0ELNS1_3repE0EEENS1_30default_config_static_selectorELNS0_4arch9wavefront6targetE1EEEvSM_ ; -- Begin function _ZN7rocprim17ROCPRIM_400000_NS6detail17trampoline_kernelINS0_14default_configENS1_22reduce_config_selectorIfEEZNS1_11reduce_implILb1ES3_N6thrust23THRUST_200600_302600_NS11hip_rocprim26transform_input_iterator_tIfNS8_17counting_iteratorIiNS8_11use_defaultESC_SC_EE11estimate_piEEPffNS8_4plusIfEEEE10hipError_tPvRmT1_T2_T3_mT4_P12ihipStream_tbEUlT_E0_NS1_11comp_targetILNS1_3genE0ELNS1_11target_archE4294967295ELNS1_3gpuE0ELNS1_3repE0EEENS1_30default_config_static_selectorELNS0_4arch9wavefront6targetE1EEEvSM_
	.globl	_ZN7rocprim17ROCPRIM_400000_NS6detail17trampoline_kernelINS0_14default_configENS1_22reduce_config_selectorIfEEZNS1_11reduce_implILb1ES3_N6thrust23THRUST_200600_302600_NS11hip_rocprim26transform_input_iterator_tIfNS8_17counting_iteratorIiNS8_11use_defaultESC_SC_EE11estimate_piEEPffNS8_4plusIfEEEE10hipError_tPvRmT1_T2_T3_mT4_P12ihipStream_tbEUlT_E0_NS1_11comp_targetILNS1_3genE0ELNS1_11target_archE4294967295ELNS1_3gpuE0ELNS1_3repE0EEENS1_30default_config_static_selectorELNS0_4arch9wavefront6targetE1EEEvSM_
	.p2align	8
	.type	_ZN7rocprim17ROCPRIM_400000_NS6detail17trampoline_kernelINS0_14default_configENS1_22reduce_config_selectorIfEEZNS1_11reduce_implILb1ES3_N6thrust23THRUST_200600_302600_NS11hip_rocprim26transform_input_iterator_tIfNS8_17counting_iteratorIiNS8_11use_defaultESC_SC_EE11estimate_piEEPffNS8_4plusIfEEEE10hipError_tPvRmT1_T2_T3_mT4_P12ihipStream_tbEUlT_E0_NS1_11comp_targetILNS1_3genE0ELNS1_11target_archE4294967295ELNS1_3gpuE0ELNS1_3repE0EEENS1_30default_config_static_selectorELNS0_4arch9wavefront6targetE1EEEvSM_,@function
_ZN7rocprim17ROCPRIM_400000_NS6detail17trampoline_kernelINS0_14default_configENS1_22reduce_config_selectorIfEEZNS1_11reduce_implILb1ES3_N6thrust23THRUST_200600_302600_NS11hip_rocprim26transform_input_iterator_tIfNS8_17counting_iteratorIiNS8_11use_defaultESC_SC_EE11estimate_piEEPffNS8_4plusIfEEEE10hipError_tPvRmT1_T2_T3_mT4_P12ihipStream_tbEUlT_E0_NS1_11comp_targetILNS1_3genE0ELNS1_11target_archE4294967295ELNS1_3gpuE0ELNS1_3repE0EEENS1_30default_config_static_selectorELNS0_4arch9wavefront6targetE1EEEvSM_: ; @_ZN7rocprim17ROCPRIM_400000_NS6detail17trampoline_kernelINS0_14default_configENS1_22reduce_config_selectorIfEEZNS1_11reduce_implILb1ES3_N6thrust23THRUST_200600_302600_NS11hip_rocprim26transform_input_iterator_tIfNS8_17counting_iteratorIiNS8_11use_defaultESC_SC_EE11estimate_piEEPffNS8_4plusIfEEEE10hipError_tPvRmT1_T2_T3_mT4_P12ihipStream_tbEUlT_E0_NS1_11comp_targetILNS1_3genE0ELNS1_11target_archE4294967295ELNS1_3gpuE0ELNS1_3repE0EEENS1_30default_config_static_selectorELNS0_4arch9wavefront6targetE1EEEvSM_
; %bb.0:
	.section	.rodata,"a",@progbits
	.p2align	6, 0x0
	.amdhsa_kernel _ZN7rocprim17ROCPRIM_400000_NS6detail17trampoline_kernelINS0_14default_configENS1_22reduce_config_selectorIfEEZNS1_11reduce_implILb1ES3_N6thrust23THRUST_200600_302600_NS11hip_rocprim26transform_input_iterator_tIfNS8_17counting_iteratorIiNS8_11use_defaultESC_SC_EE11estimate_piEEPffNS8_4plusIfEEEE10hipError_tPvRmT1_T2_T3_mT4_P12ihipStream_tbEUlT_E0_NS1_11comp_targetILNS1_3genE0ELNS1_11target_archE4294967295ELNS1_3gpuE0ELNS1_3repE0EEENS1_30default_config_static_selectorELNS0_4arch9wavefront6targetE1EEEvSM_
		.amdhsa_group_segment_fixed_size 0
		.amdhsa_private_segment_fixed_size 0
		.amdhsa_kernarg_size 56
		.amdhsa_user_sgpr_count 6
		.amdhsa_user_sgpr_private_segment_buffer 1
		.amdhsa_user_sgpr_dispatch_ptr 0
		.amdhsa_user_sgpr_queue_ptr 0
		.amdhsa_user_sgpr_kernarg_segment_ptr 1
		.amdhsa_user_sgpr_dispatch_id 0
		.amdhsa_user_sgpr_flat_scratch_init 0
		.amdhsa_user_sgpr_kernarg_preload_length 0
		.amdhsa_user_sgpr_kernarg_preload_offset 0
		.amdhsa_user_sgpr_private_segment_size 0
		.amdhsa_uses_dynamic_stack 0
		.amdhsa_system_sgpr_private_segment_wavefront_offset 0
		.amdhsa_system_sgpr_workgroup_id_x 1
		.amdhsa_system_sgpr_workgroup_id_y 0
		.amdhsa_system_sgpr_workgroup_id_z 0
		.amdhsa_system_sgpr_workgroup_info 0
		.amdhsa_system_vgpr_workitem_id 0
		.amdhsa_next_free_vgpr 1
		.amdhsa_next_free_sgpr 0
		.amdhsa_accum_offset 4
		.amdhsa_reserve_vcc 0
		.amdhsa_reserve_flat_scratch 0
		.amdhsa_float_round_mode_32 0
		.amdhsa_float_round_mode_16_64 0
		.amdhsa_float_denorm_mode_32 3
		.amdhsa_float_denorm_mode_16_64 3
		.amdhsa_dx10_clamp 1
		.amdhsa_ieee_mode 1
		.amdhsa_fp16_overflow 0
		.amdhsa_tg_split 0
		.amdhsa_exception_fp_ieee_invalid_op 0
		.amdhsa_exception_fp_denorm_src 0
		.amdhsa_exception_fp_ieee_div_zero 0
		.amdhsa_exception_fp_ieee_overflow 0
		.amdhsa_exception_fp_ieee_underflow 0
		.amdhsa_exception_fp_ieee_inexact 0
		.amdhsa_exception_int_div_zero 0
	.end_amdhsa_kernel
	.section	.text._ZN7rocprim17ROCPRIM_400000_NS6detail17trampoline_kernelINS0_14default_configENS1_22reduce_config_selectorIfEEZNS1_11reduce_implILb1ES3_N6thrust23THRUST_200600_302600_NS11hip_rocprim26transform_input_iterator_tIfNS8_17counting_iteratorIiNS8_11use_defaultESC_SC_EE11estimate_piEEPffNS8_4plusIfEEEE10hipError_tPvRmT1_T2_T3_mT4_P12ihipStream_tbEUlT_E0_NS1_11comp_targetILNS1_3genE0ELNS1_11target_archE4294967295ELNS1_3gpuE0ELNS1_3repE0EEENS1_30default_config_static_selectorELNS0_4arch9wavefront6targetE1EEEvSM_,"axG",@progbits,_ZN7rocprim17ROCPRIM_400000_NS6detail17trampoline_kernelINS0_14default_configENS1_22reduce_config_selectorIfEEZNS1_11reduce_implILb1ES3_N6thrust23THRUST_200600_302600_NS11hip_rocprim26transform_input_iterator_tIfNS8_17counting_iteratorIiNS8_11use_defaultESC_SC_EE11estimate_piEEPffNS8_4plusIfEEEE10hipError_tPvRmT1_T2_T3_mT4_P12ihipStream_tbEUlT_E0_NS1_11comp_targetILNS1_3genE0ELNS1_11target_archE4294967295ELNS1_3gpuE0ELNS1_3repE0EEENS1_30default_config_static_selectorELNS0_4arch9wavefront6targetE1EEEvSM_,comdat
.Lfunc_end18:
	.size	_ZN7rocprim17ROCPRIM_400000_NS6detail17trampoline_kernelINS0_14default_configENS1_22reduce_config_selectorIfEEZNS1_11reduce_implILb1ES3_N6thrust23THRUST_200600_302600_NS11hip_rocprim26transform_input_iterator_tIfNS8_17counting_iteratorIiNS8_11use_defaultESC_SC_EE11estimate_piEEPffNS8_4plusIfEEEE10hipError_tPvRmT1_T2_T3_mT4_P12ihipStream_tbEUlT_E0_NS1_11comp_targetILNS1_3genE0ELNS1_11target_archE4294967295ELNS1_3gpuE0ELNS1_3repE0EEENS1_30default_config_static_selectorELNS0_4arch9wavefront6targetE1EEEvSM_, .Lfunc_end18-_ZN7rocprim17ROCPRIM_400000_NS6detail17trampoline_kernelINS0_14default_configENS1_22reduce_config_selectorIfEEZNS1_11reduce_implILb1ES3_N6thrust23THRUST_200600_302600_NS11hip_rocprim26transform_input_iterator_tIfNS8_17counting_iteratorIiNS8_11use_defaultESC_SC_EE11estimate_piEEPffNS8_4plusIfEEEE10hipError_tPvRmT1_T2_T3_mT4_P12ihipStream_tbEUlT_E0_NS1_11comp_targetILNS1_3genE0ELNS1_11target_archE4294967295ELNS1_3gpuE0ELNS1_3repE0EEENS1_30default_config_static_selectorELNS0_4arch9wavefront6targetE1EEEvSM_
                                        ; -- End function
	.section	.AMDGPU.csdata,"",@progbits
; Kernel info:
; codeLenInByte = 0
; NumSgprs: 4
; NumVgprs: 0
; NumAgprs: 0
; TotalNumVgprs: 0
; ScratchSize: 0
; MemoryBound: 0
; FloatMode: 240
; IeeeMode: 1
; LDSByteSize: 0 bytes/workgroup (compile time only)
; SGPRBlocks: 0
; VGPRBlocks: 0
; NumSGPRsForWavesPerEU: 4
; NumVGPRsForWavesPerEU: 1
; AccumOffset: 4
; Occupancy: 8
; WaveLimiterHint : 0
; COMPUTE_PGM_RSRC2:SCRATCH_EN: 0
; COMPUTE_PGM_RSRC2:USER_SGPR: 6
; COMPUTE_PGM_RSRC2:TRAP_HANDLER: 0
; COMPUTE_PGM_RSRC2:TGID_X_EN: 1
; COMPUTE_PGM_RSRC2:TGID_Y_EN: 0
; COMPUTE_PGM_RSRC2:TGID_Z_EN: 0
; COMPUTE_PGM_RSRC2:TIDIG_COMP_CNT: 0
; COMPUTE_PGM_RSRC3_GFX90A:ACCUM_OFFSET: 0
; COMPUTE_PGM_RSRC3_GFX90A:TG_SPLIT: 0
	.section	.text._ZN7rocprim17ROCPRIM_400000_NS6detail17trampoline_kernelINS0_14default_configENS1_22reduce_config_selectorIfEEZNS1_11reduce_implILb1ES3_N6thrust23THRUST_200600_302600_NS11hip_rocprim26transform_input_iterator_tIfNS8_17counting_iteratorIiNS8_11use_defaultESC_SC_EE11estimate_piEEPffNS8_4plusIfEEEE10hipError_tPvRmT1_T2_T3_mT4_P12ihipStream_tbEUlT_E0_NS1_11comp_targetILNS1_3genE5ELNS1_11target_archE942ELNS1_3gpuE9ELNS1_3repE0EEENS1_30default_config_static_selectorELNS0_4arch9wavefront6targetE1EEEvSM_,"axG",@progbits,_ZN7rocprim17ROCPRIM_400000_NS6detail17trampoline_kernelINS0_14default_configENS1_22reduce_config_selectorIfEEZNS1_11reduce_implILb1ES3_N6thrust23THRUST_200600_302600_NS11hip_rocprim26transform_input_iterator_tIfNS8_17counting_iteratorIiNS8_11use_defaultESC_SC_EE11estimate_piEEPffNS8_4plusIfEEEE10hipError_tPvRmT1_T2_T3_mT4_P12ihipStream_tbEUlT_E0_NS1_11comp_targetILNS1_3genE5ELNS1_11target_archE942ELNS1_3gpuE9ELNS1_3repE0EEENS1_30default_config_static_selectorELNS0_4arch9wavefront6targetE1EEEvSM_,comdat
	.protected	_ZN7rocprim17ROCPRIM_400000_NS6detail17trampoline_kernelINS0_14default_configENS1_22reduce_config_selectorIfEEZNS1_11reduce_implILb1ES3_N6thrust23THRUST_200600_302600_NS11hip_rocprim26transform_input_iterator_tIfNS8_17counting_iteratorIiNS8_11use_defaultESC_SC_EE11estimate_piEEPffNS8_4plusIfEEEE10hipError_tPvRmT1_T2_T3_mT4_P12ihipStream_tbEUlT_E0_NS1_11comp_targetILNS1_3genE5ELNS1_11target_archE942ELNS1_3gpuE9ELNS1_3repE0EEENS1_30default_config_static_selectorELNS0_4arch9wavefront6targetE1EEEvSM_ ; -- Begin function _ZN7rocprim17ROCPRIM_400000_NS6detail17trampoline_kernelINS0_14default_configENS1_22reduce_config_selectorIfEEZNS1_11reduce_implILb1ES3_N6thrust23THRUST_200600_302600_NS11hip_rocprim26transform_input_iterator_tIfNS8_17counting_iteratorIiNS8_11use_defaultESC_SC_EE11estimate_piEEPffNS8_4plusIfEEEE10hipError_tPvRmT1_T2_T3_mT4_P12ihipStream_tbEUlT_E0_NS1_11comp_targetILNS1_3genE5ELNS1_11target_archE942ELNS1_3gpuE9ELNS1_3repE0EEENS1_30default_config_static_selectorELNS0_4arch9wavefront6targetE1EEEvSM_
	.globl	_ZN7rocprim17ROCPRIM_400000_NS6detail17trampoline_kernelINS0_14default_configENS1_22reduce_config_selectorIfEEZNS1_11reduce_implILb1ES3_N6thrust23THRUST_200600_302600_NS11hip_rocprim26transform_input_iterator_tIfNS8_17counting_iteratorIiNS8_11use_defaultESC_SC_EE11estimate_piEEPffNS8_4plusIfEEEE10hipError_tPvRmT1_T2_T3_mT4_P12ihipStream_tbEUlT_E0_NS1_11comp_targetILNS1_3genE5ELNS1_11target_archE942ELNS1_3gpuE9ELNS1_3repE0EEENS1_30default_config_static_selectorELNS0_4arch9wavefront6targetE1EEEvSM_
	.p2align	8
	.type	_ZN7rocprim17ROCPRIM_400000_NS6detail17trampoline_kernelINS0_14default_configENS1_22reduce_config_selectorIfEEZNS1_11reduce_implILb1ES3_N6thrust23THRUST_200600_302600_NS11hip_rocprim26transform_input_iterator_tIfNS8_17counting_iteratorIiNS8_11use_defaultESC_SC_EE11estimate_piEEPffNS8_4plusIfEEEE10hipError_tPvRmT1_T2_T3_mT4_P12ihipStream_tbEUlT_E0_NS1_11comp_targetILNS1_3genE5ELNS1_11target_archE942ELNS1_3gpuE9ELNS1_3repE0EEENS1_30default_config_static_selectorELNS0_4arch9wavefront6targetE1EEEvSM_,@function
_ZN7rocprim17ROCPRIM_400000_NS6detail17trampoline_kernelINS0_14default_configENS1_22reduce_config_selectorIfEEZNS1_11reduce_implILb1ES3_N6thrust23THRUST_200600_302600_NS11hip_rocprim26transform_input_iterator_tIfNS8_17counting_iteratorIiNS8_11use_defaultESC_SC_EE11estimate_piEEPffNS8_4plusIfEEEE10hipError_tPvRmT1_T2_T3_mT4_P12ihipStream_tbEUlT_E0_NS1_11comp_targetILNS1_3genE5ELNS1_11target_archE942ELNS1_3gpuE9ELNS1_3repE0EEENS1_30default_config_static_selectorELNS0_4arch9wavefront6targetE1EEEvSM_: ; @_ZN7rocprim17ROCPRIM_400000_NS6detail17trampoline_kernelINS0_14default_configENS1_22reduce_config_selectorIfEEZNS1_11reduce_implILb1ES3_N6thrust23THRUST_200600_302600_NS11hip_rocprim26transform_input_iterator_tIfNS8_17counting_iteratorIiNS8_11use_defaultESC_SC_EE11estimate_piEEPffNS8_4plusIfEEEE10hipError_tPvRmT1_T2_T3_mT4_P12ihipStream_tbEUlT_E0_NS1_11comp_targetILNS1_3genE5ELNS1_11target_archE942ELNS1_3gpuE9ELNS1_3repE0EEENS1_30default_config_static_selectorELNS0_4arch9wavefront6targetE1EEEvSM_
; %bb.0:
	.section	.rodata,"a",@progbits
	.p2align	6, 0x0
	.amdhsa_kernel _ZN7rocprim17ROCPRIM_400000_NS6detail17trampoline_kernelINS0_14default_configENS1_22reduce_config_selectorIfEEZNS1_11reduce_implILb1ES3_N6thrust23THRUST_200600_302600_NS11hip_rocprim26transform_input_iterator_tIfNS8_17counting_iteratorIiNS8_11use_defaultESC_SC_EE11estimate_piEEPffNS8_4plusIfEEEE10hipError_tPvRmT1_T2_T3_mT4_P12ihipStream_tbEUlT_E0_NS1_11comp_targetILNS1_3genE5ELNS1_11target_archE942ELNS1_3gpuE9ELNS1_3repE0EEENS1_30default_config_static_selectorELNS0_4arch9wavefront6targetE1EEEvSM_
		.amdhsa_group_segment_fixed_size 0
		.amdhsa_private_segment_fixed_size 0
		.amdhsa_kernarg_size 56
		.amdhsa_user_sgpr_count 6
		.amdhsa_user_sgpr_private_segment_buffer 1
		.amdhsa_user_sgpr_dispatch_ptr 0
		.amdhsa_user_sgpr_queue_ptr 0
		.amdhsa_user_sgpr_kernarg_segment_ptr 1
		.amdhsa_user_sgpr_dispatch_id 0
		.amdhsa_user_sgpr_flat_scratch_init 0
		.amdhsa_user_sgpr_kernarg_preload_length 0
		.amdhsa_user_sgpr_kernarg_preload_offset 0
		.amdhsa_user_sgpr_private_segment_size 0
		.amdhsa_uses_dynamic_stack 0
		.amdhsa_system_sgpr_private_segment_wavefront_offset 0
		.amdhsa_system_sgpr_workgroup_id_x 1
		.amdhsa_system_sgpr_workgroup_id_y 0
		.amdhsa_system_sgpr_workgroup_id_z 0
		.amdhsa_system_sgpr_workgroup_info 0
		.amdhsa_system_vgpr_workitem_id 0
		.amdhsa_next_free_vgpr 1
		.amdhsa_next_free_sgpr 0
		.amdhsa_accum_offset 4
		.amdhsa_reserve_vcc 0
		.amdhsa_reserve_flat_scratch 0
		.amdhsa_float_round_mode_32 0
		.amdhsa_float_round_mode_16_64 0
		.amdhsa_float_denorm_mode_32 3
		.amdhsa_float_denorm_mode_16_64 3
		.amdhsa_dx10_clamp 1
		.amdhsa_ieee_mode 1
		.amdhsa_fp16_overflow 0
		.amdhsa_tg_split 0
		.amdhsa_exception_fp_ieee_invalid_op 0
		.amdhsa_exception_fp_denorm_src 0
		.amdhsa_exception_fp_ieee_div_zero 0
		.amdhsa_exception_fp_ieee_overflow 0
		.amdhsa_exception_fp_ieee_underflow 0
		.amdhsa_exception_fp_ieee_inexact 0
		.amdhsa_exception_int_div_zero 0
	.end_amdhsa_kernel
	.section	.text._ZN7rocprim17ROCPRIM_400000_NS6detail17trampoline_kernelINS0_14default_configENS1_22reduce_config_selectorIfEEZNS1_11reduce_implILb1ES3_N6thrust23THRUST_200600_302600_NS11hip_rocprim26transform_input_iterator_tIfNS8_17counting_iteratorIiNS8_11use_defaultESC_SC_EE11estimate_piEEPffNS8_4plusIfEEEE10hipError_tPvRmT1_T2_T3_mT4_P12ihipStream_tbEUlT_E0_NS1_11comp_targetILNS1_3genE5ELNS1_11target_archE942ELNS1_3gpuE9ELNS1_3repE0EEENS1_30default_config_static_selectorELNS0_4arch9wavefront6targetE1EEEvSM_,"axG",@progbits,_ZN7rocprim17ROCPRIM_400000_NS6detail17trampoline_kernelINS0_14default_configENS1_22reduce_config_selectorIfEEZNS1_11reduce_implILb1ES3_N6thrust23THRUST_200600_302600_NS11hip_rocprim26transform_input_iterator_tIfNS8_17counting_iteratorIiNS8_11use_defaultESC_SC_EE11estimate_piEEPffNS8_4plusIfEEEE10hipError_tPvRmT1_T2_T3_mT4_P12ihipStream_tbEUlT_E0_NS1_11comp_targetILNS1_3genE5ELNS1_11target_archE942ELNS1_3gpuE9ELNS1_3repE0EEENS1_30default_config_static_selectorELNS0_4arch9wavefront6targetE1EEEvSM_,comdat
.Lfunc_end19:
	.size	_ZN7rocprim17ROCPRIM_400000_NS6detail17trampoline_kernelINS0_14default_configENS1_22reduce_config_selectorIfEEZNS1_11reduce_implILb1ES3_N6thrust23THRUST_200600_302600_NS11hip_rocprim26transform_input_iterator_tIfNS8_17counting_iteratorIiNS8_11use_defaultESC_SC_EE11estimate_piEEPffNS8_4plusIfEEEE10hipError_tPvRmT1_T2_T3_mT4_P12ihipStream_tbEUlT_E0_NS1_11comp_targetILNS1_3genE5ELNS1_11target_archE942ELNS1_3gpuE9ELNS1_3repE0EEENS1_30default_config_static_selectorELNS0_4arch9wavefront6targetE1EEEvSM_, .Lfunc_end19-_ZN7rocprim17ROCPRIM_400000_NS6detail17trampoline_kernelINS0_14default_configENS1_22reduce_config_selectorIfEEZNS1_11reduce_implILb1ES3_N6thrust23THRUST_200600_302600_NS11hip_rocprim26transform_input_iterator_tIfNS8_17counting_iteratorIiNS8_11use_defaultESC_SC_EE11estimate_piEEPffNS8_4plusIfEEEE10hipError_tPvRmT1_T2_T3_mT4_P12ihipStream_tbEUlT_E0_NS1_11comp_targetILNS1_3genE5ELNS1_11target_archE942ELNS1_3gpuE9ELNS1_3repE0EEENS1_30default_config_static_selectorELNS0_4arch9wavefront6targetE1EEEvSM_
                                        ; -- End function
	.section	.AMDGPU.csdata,"",@progbits
; Kernel info:
; codeLenInByte = 0
; NumSgprs: 4
; NumVgprs: 0
; NumAgprs: 0
; TotalNumVgprs: 0
; ScratchSize: 0
; MemoryBound: 0
; FloatMode: 240
; IeeeMode: 1
; LDSByteSize: 0 bytes/workgroup (compile time only)
; SGPRBlocks: 0
; VGPRBlocks: 0
; NumSGPRsForWavesPerEU: 4
; NumVGPRsForWavesPerEU: 1
; AccumOffset: 4
; Occupancy: 8
; WaveLimiterHint : 0
; COMPUTE_PGM_RSRC2:SCRATCH_EN: 0
; COMPUTE_PGM_RSRC2:USER_SGPR: 6
; COMPUTE_PGM_RSRC2:TRAP_HANDLER: 0
; COMPUTE_PGM_RSRC2:TGID_X_EN: 1
; COMPUTE_PGM_RSRC2:TGID_Y_EN: 0
; COMPUTE_PGM_RSRC2:TGID_Z_EN: 0
; COMPUTE_PGM_RSRC2:TIDIG_COMP_CNT: 0
; COMPUTE_PGM_RSRC3_GFX90A:ACCUM_OFFSET: 0
; COMPUTE_PGM_RSRC3_GFX90A:TG_SPLIT: 0
	.section	.text._ZN7rocprim17ROCPRIM_400000_NS6detail17trampoline_kernelINS0_14default_configENS1_22reduce_config_selectorIfEEZNS1_11reduce_implILb1ES3_N6thrust23THRUST_200600_302600_NS11hip_rocprim26transform_input_iterator_tIfNS8_17counting_iteratorIiNS8_11use_defaultESC_SC_EE11estimate_piEEPffNS8_4plusIfEEEE10hipError_tPvRmT1_T2_T3_mT4_P12ihipStream_tbEUlT_E0_NS1_11comp_targetILNS1_3genE4ELNS1_11target_archE910ELNS1_3gpuE8ELNS1_3repE0EEENS1_30default_config_static_selectorELNS0_4arch9wavefront6targetE1EEEvSM_,"axG",@progbits,_ZN7rocprim17ROCPRIM_400000_NS6detail17trampoline_kernelINS0_14default_configENS1_22reduce_config_selectorIfEEZNS1_11reduce_implILb1ES3_N6thrust23THRUST_200600_302600_NS11hip_rocprim26transform_input_iterator_tIfNS8_17counting_iteratorIiNS8_11use_defaultESC_SC_EE11estimate_piEEPffNS8_4plusIfEEEE10hipError_tPvRmT1_T2_T3_mT4_P12ihipStream_tbEUlT_E0_NS1_11comp_targetILNS1_3genE4ELNS1_11target_archE910ELNS1_3gpuE8ELNS1_3repE0EEENS1_30default_config_static_selectorELNS0_4arch9wavefront6targetE1EEEvSM_,comdat
	.protected	_ZN7rocprim17ROCPRIM_400000_NS6detail17trampoline_kernelINS0_14default_configENS1_22reduce_config_selectorIfEEZNS1_11reduce_implILb1ES3_N6thrust23THRUST_200600_302600_NS11hip_rocprim26transform_input_iterator_tIfNS8_17counting_iteratorIiNS8_11use_defaultESC_SC_EE11estimate_piEEPffNS8_4plusIfEEEE10hipError_tPvRmT1_T2_T3_mT4_P12ihipStream_tbEUlT_E0_NS1_11comp_targetILNS1_3genE4ELNS1_11target_archE910ELNS1_3gpuE8ELNS1_3repE0EEENS1_30default_config_static_selectorELNS0_4arch9wavefront6targetE1EEEvSM_ ; -- Begin function _ZN7rocprim17ROCPRIM_400000_NS6detail17trampoline_kernelINS0_14default_configENS1_22reduce_config_selectorIfEEZNS1_11reduce_implILb1ES3_N6thrust23THRUST_200600_302600_NS11hip_rocprim26transform_input_iterator_tIfNS8_17counting_iteratorIiNS8_11use_defaultESC_SC_EE11estimate_piEEPffNS8_4plusIfEEEE10hipError_tPvRmT1_T2_T3_mT4_P12ihipStream_tbEUlT_E0_NS1_11comp_targetILNS1_3genE4ELNS1_11target_archE910ELNS1_3gpuE8ELNS1_3repE0EEENS1_30default_config_static_selectorELNS0_4arch9wavefront6targetE1EEEvSM_
	.globl	_ZN7rocprim17ROCPRIM_400000_NS6detail17trampoline_kernelINS0_14default_configENS1_22reduce_config_selectorIfEEZNS1_11reduce_implILb1ES3_N6thrust23THRUST_200600_302600_NS11hip_rocprim26transform_input_iterator_tIfNS8_17counting_iteratorIiNS8_11use_defaultESC_SC_EE11estimate_piEEPffNS8_4plusIfEEEE10hipError_tPvRmT1_T2_T3_mT4_P12ihipStream_tbEUlT_E0_NS1_11comp_targetILNS1_3genE4ELNS1_11target_archE910ELNS1_3gpuE8ELNS1_3repE0EEENS1_30default_config_static_selectorELNS0_4arch9wavefront6targetE1EEEvSM_
	.p2align	8
	.type	_ZN7rocprim17ROCPRIM_400000_NS6detail17trampoline_kernelINS0_14default_configENS1_22reduce_config_selectorIfEEZNS1_11reduce_implILb1ES3_N6thrust23THRUST_200600_302600_NS11hip_rocprim26transform_input_iterator_tIfNS8_17counting_iteratorIiNS8_11use_defaultESC_SC_EE11estimate_piEEPffNS8_4plusIfEEEE10hipError_tPvRmT1_T2_T3_mT4_P12ihipStream_tbEUlT_E0_NS1_11comp_targetILNS1_3genE4ELNS1_11target_archE910ELNS1_3gpuE8ELNS1_3repE0EEENS1_30default_config_static_selectorELNS0_4arch9wavefront6targetE1EEEvSM_,@function
_ZN7rocprim17ROCPRIM_400000_NS6detail17trampoline_kernelINS0_14default_configENS1_22reduce_config_selectorIfEEZNS1_11reduce_implILb1ES3_N6thrust23THRUST_200600_302600_NS11hip_rocprim26transform_input_iterator_tIfNS8_17counting_iteratorIiNS8_11use_defaultESC_SC_EE11estimate_piEEPffNS8_4plusIfEEEE10hipError_tPvRmT1_T2_T3_mT4_P12ihipStream_tbEUlT_E0_NS1_11comp_targetILNS1_3genE4ELNS1_11target_archE910ELNS1_3gpuE8ELNS1_3repE0EEENS1_30default_config_static_selectorELNS0_4arch9wavefront6targetE1EEEvSM_: ; @_ZN7rocprim17ROCPRIM_400000_NS6detail17trampoline_kernelINS0_14default_configENS1_22reduce_config_selectorIfEEZNS1_11reduce_implILb1ES3_N6thrust23THRUST_200600_302600_NS11hip_rocprim26transform_input_iterator_tIfNS8_17counting_iteratorIiNS8_11use_defaultESC_SC_EE11estimate_piEEPffNS8_4plusIfEEEE10hipError_tPvRmT1_T2_T3_mT4_P12ihipStream_tbEUlT_E0_NS1_11comp_targetILNS1_3genE4ELNS1_11target_archE910ELNS1_3gpuE8ELNS1_3repE0EEENS1_30default_config_static_selectorELNS0_4arch9wavefront6targetE1EEEvSM_
; %bb.0:
	s_load_dwordx8 s[16:23], s[4:5], 0x8
	s_load_dword s2, s[4:5], 0x0
	s_load_dwordx2 s[24:25], s[4:5], 0x28
	s_lshl_b32 s14, s6, 10
	s_mov_b32 s7, 0
	s_waitcnt lgkmcnt(0)
	s_lshr_b64 s[0:1], s[18:19], 10
	s_add_i32 s33, s2, s14
	s_add_i32 s33, s33, s16
	s_cmp_lg_u64 s[0:1], s[6:7]
	s_cbranch_scc0 .LBB20_6
; %bb.1:
	v_add_u32_e32 v1, s33, v0
	s_movk_i32 s0, 0x1388
	v_mul_lo_u32 v2, v1, s0
	v_cmp_ne_u32_e32 vcc, 0, v2
	v_mov_b32_e32 v4, 1
	s_and_saveexec_b64 s[2:3], vcc
	s_cbranch_execz .LBB20_8
; %bb.2:
	v_mov_b32_e32 v3, 0
	v_mov_b32_e32 v6, 1
	s_mov_b64 s[10:11], 0xbc8f
	s_mov_b64 s[8:9], 0
	v_mov_b32_e32 v7, 0
	s_brev_b32 s15, -2
	s_mov_b32 s16, 0x7ffffffe
	v_mov_b32_e32 v1, 0xfffff800
	s_movk_i32 s17, 0x401
	v_pk_mov_b32 v[4:5], v[2:3], v[2:3] op_sel:[0,1]
	s_branch .LBB20_4
.LBB20_3:                               ;   in Loop: Header=BB20_4 Depth=1
	s_or_b64 exec, exec, s[12:13]
	s_mul_i32 s0, s10, s11
	s_mul_hi_u32 s1, s10, s10
	s_add_i32 s1, s1, s0
	s_add_i32 s0, s1, s0
	s_mul_i32 s1, s10, s10
	s_add_u32 s10, 0x402, s17
	s_addc_u32 s11, 0, 0
	v_add_co_u32_e32 v3, vcc, s10, v1
	s_cmp_lg_u64 vcc, 0
	v_readfirstlane_b32 s12, v3
	s_addc_u32 s10, s11, 1
	s_mul_hi_u32 s13, s12, 0x80000001
	s_mul_i32 s11, s10, 0x80000001
	s_sub_i32 s13, s13, s12
	s_add_i32 s13, s13, s11
	s_mul_i32 s27, s12, 0x80000001
	s_mul_hi_u32 s11, s12, s13
	s_mul_i32 s26, s12, s13
	s_mul_hi_u32 s12, s12, s27
	s_add_u32 s12, s12, s26
	s_addc_u32 s11, 0, s11
	s_mul_hi_u32 s28, s10, s27
	s_mul_i32 s27, s10, s27
	s_add_u32 s12, s12, s27
	s_mul_hi_u32 s26, s10, s13
	s_addc_u32 s11, s11, s28
	s_addc_u32 s12, s26, 0
	s_mul_i32 s13, s10, s13
	s_add_u32 s11, s11, s13
	s_addc_u32 s12, 0, s12
	v_add_co_u32_e32 v3, vcc, s11, v3
	s_cmp_lg_u64 vcc, 0
	s_addc_u32 s10, s10, s12
	v_readfirstlane_b32 s13, v3
	s_mul_i32 s12, s1, s10
	s_mul_hi_u32 s26, s1, s13
	s_mul_hi_u32 s11, s1, s10
	s_add_u32 s12, s26, s12
	s_addc_u32 s11, 0, s11
	s_mul_hi_u32 s27, s0, s13
	s_mul_i32 s13, s0, s13
	s_add_u32 s12, s12, s13
	s_mul_hi_u32 s26, s0, s10
	s_addc_u32 s11, s11, s27
	s_addc_u32 s12, s26, 0
	s_mul_i32 s10, s0, s10
	s_add_u32 s10, s11, s10
	s_addc_u32 s11, 0, s12
	s_mul_hi_u32 s12, s10, 0x7fffffff
	s_mul_i32 s10, s10, 0x7fffffff
	s_mul_i32 s11, s11, 0x7fffffff
	v_mov_b32_e32 v3, s10
	s_add_i32 s12, s12, s11
	v_sub_co_u32_e32 v3, vcc, s1, v3
	s_cmp_lg_u64 vcc, 0
	s_subb_u32 s0, s0, s12
	v_subrev_co_u32_e32 v10, vcc, s15, v3
	s_cmp_lg_u64 vcc, 0
	s_subb_u32 s1, s0, 0
	v_subrev_co_u32_e32 v11, vcc, s15, v10
	s_cmp_lg_u64 vcc, 0
	s_subb_u32 s10, s1, 0
	v_readfirstlane_b32 s11, v10
	s_cmp_gt_u32 s11, 0x7ffffffe
	s_cselect_b32 s12, -1, 0
	s_cmp_eq_u32 s1, 0
	s_cselect_b32 s12, s12, -1
	s_cmp_lg_u32 s12, 0
	s_cselect_b32 s1, s10, s1
	v_readfirstlane_b32 s10, v11
	v_readfirstlane_b32 s12, v3
	s_cselect_b32 s10, s10, s11
	s_cmp_gt_u32 s12, 0x7ffffffe
	s_cselect_b32 s11, -1, 0
	s_cmp_eq_u32 s0, 0
	s_cselect_b32 s11, s11, -1
	v_lshrrev_b64 v[8:9], 1, v[4:5]
	s_cmp_lg_u32 s11, 0
	v_cmp_gt_u64_e32 vcc, 2, v[4:5]
	s_cselect_b32 s11, s1, s0
	s_cselect_b32 s10, s10, s12
	s_or_b64 s[8:9], vcc, s[8:9]
	v_pk_mov_b32 v[4:5], v[8:9], v[8:9] op_sel:[0,1]
	s_andn2_b64 exec, exec, s[8:9]
	s_cbranch_execz .LBB20_7
.LBB20_4:                               ; =>This Inner Loop Header: Depth=1
	v_and_b32_e32 v3, 1, v4
	v_cmp_eq_u32_e32 vcc, 1, v3
	s_and_saveexec_b64 s[12:13], vcc
	s_cbranch_execz .LBB20_3
; %bb.5:                                ;   in Loop: Header=BB20_4 Depth=1
	v_mul_lo_u32 v3, s11, v6
	v_mul_lo_u32 v8, s10, v7
	v_mad_u64_u32 v[6:7], s[0:1], s10, v6, 0
	s_add_u32 s0, 0x402, s17
	v_add3_u32 v3, v7, v8, v3
	s_addc_u32 s1, 0, 0
	v_add_co_u32_e32 v7, vcc, s0, v1
	s_cmp_lg_u64 vcc, 0
	v_readfirstlane_b32 s26, v7
	s_addc_u32 s0, s1, 1
	s_mul_hi_u32 s27, s26, 0x80000001
	s_mul_i32 s1, s0, 0x80000001
	s_sub_i32 s27, s27, s26
	s_add_i32 s27, s27, s1
	s_mul_i32 s29, s26, 0x80000001
	s_mul_hi_u32 s1, s26, s27
	s_mul_i32 s28, s26, s27
	s_mul_hi_u32 s26, s26, s29
	s_add_u32 s26, s26, s28
	s_addc_u32 s1, 0, s1
	s_mul_hi_u32 s30, s0, s29
	s_mul_i32 s29, s0, s29
	s_add_u32 s26, s26, s29
	s_mul_hi_u32 s28, s0, s27
	s_addc_u32 s1, s1, s30
	s_addc_u32 s26, s28, 0
	s_mul_i32 s27, s0, s27
	s_add_u32 s1, s1, s27
	s_addc_u32 s26, 0, s26
	v_add_co_u32_e32 v7, vcc, s1, v7
	s_cmp_lg_u64 vcc, 0
	s_addc_u32 s26, s0, s26
	v_mad_u64_u32 v[8:9], s[0:1], v6, s26, 0
	v_mul_hi_u32 v10, v6, v7
	v_add_co_u32_e32 v12, vcc, v10, v8
	v_addc_co_u32_e32 v13, vcc, 0, v9, vcc
	v_mad_u64_u32 v[10:11], s[0:1], v3, v7, 0
	v_add_co_u32_e32 v7, vcc, v12, v10
	v_mad_u64_u32 v[8:9], s[0:1], v3, s26, 0
	v_addc_co_u32_e32 v7, vcc, v13, v11, vcc
	v_addc_co_u32_e32 v9, vcc, 0, v9, vcc
	v_add_co_u32_e32 v7, vcc, v7, v8
	v_addc_co_u32_e32 v11, vcc, 0, v9, vcc
	v_mad_u64_u32 v[8:9], s[0:1], v7, s15, 0
	v_mov_b32_e32 v10, v9
	v_mad_u64_u32 v[10:11], s[0:1], v11, s15, v[10:11]
	v_sub_co_u32_e32 v6, vcc, v6, v8
	v_subb_co_u32_e32 v3, vcc, v3, v10, vcc
	v_subrev_co_u32_e32 v8, vcc, s15, v6
	v_subbrev_co_u32_e32 v7, vcc, 0, v3, vcc
	v_subrev_co_u32_e32 v9, vcc, s15, v8
	v_subbrev_co_u32_e32 v10, vcc, 0, v7, vcc
	v_cmp_lt_u32_e32 vcc, s16, v8
	v_cndmask_b32_e64 v11, 0, -1, vcc
	v_cmp_eq_u32_e32 vcc, 0, v7
	v_cndmask_b32_e32 v11, -1, v11, vcc
	v_cmp_ne_u32_e32 vcc, 0, v11
	v_cmp_lt_u32_e64 s[0:1], s16, v6
	v_cndmask_b32_e32 v7, v7, v10, vcc
	v_cndmask_b32_e64 v10, 0, -1, s[0:1]
	v_cmp_eq_u32_e64 s[0:1], 0, v3
	v_cndmask_b32_e64 v10, -1, v10, s[0:1]
	v_cmp_ne_u32_e64 s[0:1], 0, v10
	v_cndmask_b32_e64 v7, v3, v7, s[0:1]
	v_cndmask_b32_e32 v3, v8, v9, vcc
	v_cndmask_b32_e64 v6, v6, v3, s[0:1]
	s_branch .LBB20_3
.LBB20_6:
                                        ; implicit-def: $vgpr2
	s_load_dword s38, s[4:5], 0x30
	s_cbranch_execnz .LBB20_71
	s_branch .LBB20_156
.LBB20_7:
	s_or_b64 exec, exec, s[8:9]
	s_movk_i32 s0, 0x401
	s_add_u32 s0, 0x402, s0
	v_mov_b32_e32 v1, 0xfffff800
	s_addc_u32 s1, 0, 0
	v_add_co_u32_e32 v1, vcc, s0, v1
	s_cmp_lg_u64 vcc, 0
	v_readfirstlane_b32 s8, v1
	s_addc_u32 s0, s1, 1
	s_mul_hi_u32 s9, s8, 0x80000001
	s_mul_i32 s1, s0, 0x80000001
	s_sub_i32 s9, s9, s8
	s_add_i32 s9, s9, s1
	s_mul_i32 s11, s8, 0x80000001
	s_mul_hi_u32 s1, s8, s9
	s_mul_i32 s10, s8, s9
	s_mul_hi_u32 s8, s8, s11
	s_add_u32 s8, s8, s10
	s_addc_u32 s1, 0, s1
	s_mul_hi_u32 s12, s0, s11
	s_mul_i32 s11, s0, s11
	s_add_u32 s8, s8, s11
	s_mul_hi_u32 s10, s0, s9
	s_addc_u32 s1, s1, s12
	s_addc_u32 s8, s10, 0
	s_mul_i32 s9, s0, s9
	s_add_u32 s1, s1, s9
	s_addc_u32 s8, 0, s8
	v_add_co_u32_e32 v1, vcc, s1, v1
	s_cmp_lg_u64 vcc, 0
	s_addc_u32 s8, s0, s8
	v_mad_u64_u32 v[4:5], s[0:1], v6, s8, 0
	v_mul_hi_u32 v3, v6, v1
	v_add_co_u32_e32 v3, vcc, v3, v4
	v_addc_co_u32_e32 v10, vcc, 0, v5, vcc
	v_mad_u64_u32 v[8:9], s[0:1], v7, v1, 0
	v_add_co_u32_e32 v1, vcc, v3, v8
	v_mad_u64_u32 v[4:5], s[0:1], v7, s8, 0
	v_addc_co_u32_e32 v1, vcc, v10, v9, vcc
	v_addc_co_u32_e32 v3, vcc, 0, v5, vcc
	v_add_co_u32_e32 v1, vcc, v1, v4
	s_brev_b32 s8, -2
	v_mad_u64_u32 v[4:5], s[0:1], v1, s8, 0
	v_addc_co_u32_e32 v3, vcc, 0, v3, vcc
	v_mov_b32_e32 v8, v5
	v_mad_u64_u32 v[8:9], s[0:1], v3, s8, v[8:9]
	v_sub_co_u32_e32 v1, vcc, v6, v4
	v_subb_co_u32_e32 v3, vcc, v7, v8, vcc
	v_subrev_co_u32_e32 v4, vcc, 0x7fffffff, v1
	v_subbrev_co_u32_e32 v5, vcc, 0, v3, vcc
	s_mov_b32 s0, 0x7ffffffe
	v_cmp_lt_u32_e32 vcc, s0, v4
	v_cndmask_b32_e64 v6, 0, -1, vcc
	v_cmp_eq_u32_e32 vcc, 0, v5
	v_cndmask_b32_e32 v5, -1, v6, vcc
	v_add_u32_e32 v6, 0x80000001, v4
	v_cmp_ne_u32_e32 vcc, 0, v5
	v_cndmask_b32_e32 v4, v4, v6, vcc
	v_cmp_lt_u32_e32 vcc, s0, v1
	v_cndmask_b32_e64 v5, 0, -1, vcc
	v_cmp_eq_u32_e32 vcc, 0, v3
	v_cndmask_b32_e32 v3, -1, v5, vcc
	v_cmp_ne_u32_e32 vcc, 0, v3
	v_cndmask_b32_e32 v4, v1, v4, vcc
.LBB20_8:
	s_or_b64 exec, exec, s[2:3]
	s_movk_i32 s2, 0x1388
	v_mov_b32_e32 v1, 0
	s_mov_b32 s3, 0xbc8f1391
	s_mov_b32 s8, 0xbc8f
	s_brev_b32 s9, 12
	s_mov_b32 s10, 0xf800000
	v_mov_b32_e32 v3, 0x260
.LBB20_9:                               ; =>This Inner Loop Header: Depth=1
	v_mul_hi_u32 v5, v4, s3
	v_lshrrev_b32_e32 v5, 15, v5
	v_mul_u32_u24_e32 v7, 0xadc8, v5
	v_sub_u32_e32 v4, v4, v7
	v_mul_u32_u24_e32 v5, 0xd47, v5
	v_mul_lo_u32 v4, v4, s8
	v_xor_b32_e32 v7, 0x7fffffff, v5
	v_sub_u32_e32 v8, 0, v5
	v_cmp_lt_u32_e32 vcc, v4, v5
	v_cndmask_b32_e32 v5, v8, v7, vcc
	v_add_u32_e32 v4, v5, v4
	v_mul_hi_u32 v7, v4, s3
	v_lshrrev_b32_e32 v7, 15, v7
	v_mul_u32_u24_e32 v8, 0xadc8, v7
	v_add_u32_e32 v5, -1, v4
	v_sub_u32_e32 v4, v4, v8
	v_mul_u32_u24_e32 v7, 0xd47, v7
	v_mul_lo_u32 v4, v4, s8
	v_xor_b32_e32 v8, 0x7fffffff, v7
	v_sub_u32_e32 v9, 0, v7
	v_cmp_lt_u32_e32 vcc, v4, v7
	v_cndmask_b32_e32 v7, v9, v8, vcc
	v_add_u32_e32 v4, v7, v4
	v_mul_hi_u32 v8, v4, s3
	v_add_u32_e32 v7, -1, v4
	v_lshrrev_b32_e32 v8, 15, v8
	v_cvt_f32_u32_e32 v7, v7
	v_mul_u32_u24_e32 v9, 0xadc8, v8
	v_cvt_f32_u32_e32 v5, v5
	v_sub_u32_e32 v4, v4, v9
	v_mul_u32_u24_e32 v8, 0xd47, v8
	v_mul_lo_u32 v4, v4, s8
	v_xor_b32_e32 v9, 0x7fffffff, v8
	v_sub_u32_e32 v10, 0, v8
	v_cmp_lt_u32_e32 vcc, v4, v8
	v_fma_f32 v7, v7, s9, 0
	v_cndmask_b32_e32 v8, v10, v9, vcc
	v_fma_f32 v5, v5, s9, 0
	v_mul_f32_e32 v7, v7, v7
	v_add_u32_e32 v4, v8, v4
	v_fmac_f32_e32 v7, v5, v5
	v_mul_hi_u32 v8, v4, s3
	v_mul_f32_e32 v9, 0x4f800000, v7
	v_lshrrev_b32_e32 v8, 15, v8
	v_cmp_gt_f32_e32 vcc, s10, v7
	v_cndmask_b32_e32 v7, v7, v9, vcc
	v_mul_u32_u24_e32 v9, 0xadc8, v8
	v_add_u32_e32 v5, -1, v4
	v_sqrt_f32_e32 v10, v7
	v_sub_u32_e32 v4, v4, v9
	v_mul_u32_u24_e32 v8, 0xd47, v8
	v_mul_lo_u32 v4, v4, s8
	v_xor_b32_e32 v9, 0x7fffffff, v8
	v_sub_u32_e32 v11, 0, v8
	v_cmp_lt_u32_e64 s[0:1], v4, v8
	v_cndmask_b32_e64 v8, v11, v9, s[0:1]
	v_add_u32_e32 v4, v8, v4
	v_add_u32_e32 v8, -1, v10
	v_add_u32_e32 v9, 1, v10
	v_add_u32_e32 v11, -1, v4
	v_fma_f32 v12, -v8, v10, v7
	v_fma_f32 v13, -v9, v10, v7
	v_cvt_f32_u32_e32 v11, v11
	v_cmp_ge_f32_e64 s[0:1], 0, v12
	v_cvt_f32_u32_e32 v5, v5
	v_cndmask_b32_e64 v8, v10, v8, s[0:1]
	v_cmp_lt_f32_e64 s[0:1], 0, v13
	v_cndmask_b32_e64 v8, v8, v9, s[0:1]
	v_mul_f32_e32 v9, 0x37800000, v8
	v_cndmask_b32_e32 v8, v8, v9, vcc
	v_fma_f32 v9, v11, s9, 0
	v_cmp_class_f32_e32 vcc, v7, v3
	v_fma_f32 v5, v5, s9, 0
	v_cndmask_b32_e32 v7, v8, v7, vcc
	v_mul_f32_e32 v8, v9, v9
	v_add_f32_e32 v6, 1.0, v1
	v_cmp_nge_f32_e32 vcc, 1.0, v7
	v_fmac_f32_e32 v8, v5, v5
	v_cndmask_b32_e32 v1, v6, v1, vcc
	v_mul_f32_e32 v5, 0x4f800000, v8
	v_cmp_gt_f32_e32 vcc, s10, v8
	v_cndmask_b32_e32 v5, v8, v5, vcc
	v_sqrt_f32_e32 v7, v5
	s_add_i32 s2, s2, -2
	v_add_f32_e32 v6, 1.0, v1
	s_cmp_lg_u32 s2, 0
	v_add_u32_e32 v8, -1, v7
	v_add_u32_e32 v9, 1, v7
	v_fma_f32 v10, -v8, v7, v5
	v_fma_f32 v11, -v9, v7, v5
	v_cmp_ge_f32_e64 s[0:1], 0, v10
	v_cndmask_b32_e64 v7, v7, v8, s[0:1]
	v_cmp_lt_f32_e64 s[0:1], 0, v11
	v_cndmask_b32_e64 v7, v7, v9, s[0:1]
	v_mul_f32_e32 v8, 0x37800000, v7
	v_cndmask_b32_e32 v7, v7, v8, vcc
	v_cmp_class_f32_e32 vcc, v5, v3
	v_cndmask_b32_e32 v5, v7, v5, vcc
	v_cmp_nge_f32_e32 vcc, 1.0, v5
	v_cndmask_b32_e32 v1, v6, v1, vcc
	s_cbranch_scc1 .LBB20_9
; %bb.10:
	v_add_u32_e32 v4, 0x9c400, v2
	v_cmp_ne_u32_e32 vcc, 0, v4
	v_mov_b32_e32 v5, 1
	s_and_saveexec_b64 s[2:3], vcc
	s_cbranch_execz .LBB20_16
; %bb.11:
	v_mov_b32_e32 v6, 1
	v_mov_b32_e32 v5, 0
	s_mov_b64 s[10:11], 0xbc8f
	s_mov_b64 s[8:9], 0
	v_mov_b32_e32 v7, 0
	s_brev_b32 s15, -2
	s_mov_b32 s16, 0x7ffffffe
	v_mov_b32_e32 v3, 0xfffff800
	s_movk_i32 s17, 0x401
	s_branch .LBB20_13
.LBB20_12:                              ;   in Loop: Header=BB20_13 Depth=1
	s_or_b64 exec, exec, s[12:13]
	s_mul_i32 s0, s10, s11
	s_mul_hi_u32 s1, s10, s10
	s_add_i32 s1, s1, s0
	s_add_i32 s0, s1, s0
	s_mul_i32 s1, s10, s10
	s_add_u32 s10, 0x402, s17
	s_addc_u32 s11, 0, 0
	v_add_co_u32_e32 v10, vcc, s10, v3
	s_cmp_lg_u64 vcc, 0
	v_readfirstlane_b32 s12, v10
	s_addc_u32 s10, s11, 1
	s_mul_hi_u32 s13, s12, 0x80000001
	s_mul_i32 s11, s10, 0x80000001
	s_sub_i32 s13, s13, s12
	s_add_i32 s13, s13, s11
	s_mul_i32 s27, s12, 0x80000001
	s_mul_hi_u32 s11, s12, s13
	s_mul_i32 s26, s12, s13
	s_mul_hi_u32 s12, s12, s27
	s_add_u32 s12, s12, s26
	s_addc_u32 s11, 0, s11
	s_mul_hi_u32 s28, s10, s27
	s_mul_i32 s27, s10, s27
	s_add_u32 s12, s12, s27
	s_mul_hi_u32 s26, s10, s13
	s_addc_u32 s11, s11, s28
	s_addc_u32 s12, s26, 0
	s_mul_i32 s13, s10, s13
	s_add_u32 s11, s11, s13
	s_addc_u32 s12, 0, s12
	v_add_co_u32_e32 v10, vcc, s11, v10
	s_cmp_lg_u64 vcc, 0
	s_addc_u32 s10, s10, s12
	v_readfirstlane_b32 s13, v10
	s_mul_i32 s12, s1, s10
	s_mul_hi_u32 s26, s1, s13
	s_mul_hi_u32 s11, s1, s10
	s_add_u32 s12, s26, s12
	s_addc_u32 s11, 0, s11
	s_mul_hi_u32 s27, s0, s13
	s_mul_i32 s13, s0, s13
	s_add_u32 s12, s12, s13
	s_mul_hi_u32 s26, s0, s10
	s_addc_u32 s11, s11, s27
	s_addc_u32 s12, s26, 0
	s_mul_i32 s10, s0, s10
	s_add_u32 s10, s11, s10
	s_addc_u32 s11, 0, s12
	s_mul_hi_u32 s12, s10, 0x7fffffff
	s_mul_i32 s10, s10, 0x7fffffff
	s_mul_i32 s11, s11, 0x7fffffff
	v_mov_b32_e32 v10, s10
	s_add_i32 s12, s12, s11
	v_sub_co_u32_e32 v10, vcc, s1, v10
	s_cmp_lg_u64 vcc, 0
	s_subb_u32 s0, s0, s12
	v_subrev_co_u32_e32 v11, vcc, s15, v10
	s_cmp_lg_u64 vcc, 0
	s_subb_u32 s1, s0, 0
	v_subrev_co_u32_e32 v12, vcc, s15, v11
	s_cmp_lg_u64 vcc, 0
	s_subb_u32 s10, s1, 0
	v_readfirstlane_b32 s11, v11
	s_cmp_gt_u32 s11, 0x7ffffffe
	s_cselect_b32 s12, -1, 0
	s_cmp_eq_u32 s1, 0
	s_cselect_b32 s12, s12, -1
	s_cmp_lg_u32 s12, 0
	s_cselect_b32 s1, s10, s1
	v_readfirstlane_b32 s10, v12
	v_readfirstlane_b32 s12, v10
	s_cselect_b32 s10, s10, s11
	s_cmp_gt_u32 s12, 0x7ffffffe
	s_cselect_b32 s11, -1, 0
	s_cmp_eq_u32 s0, 0
	s_cselect_b32 s11, s11, -1
	v_lshrrev_b64 v[8:9], 1, v[4:5]
	s_cmp_lg_u32 s11, 0
	v_cmp_gt_u64_e32 vcc, 2, v[4:5]
	s_cselect_b32 s11, s1, s0
	s_cselect_b32 s10, s10, s12
	s_or_b64 s[8:9], vcc, s[8:9]
	v_pk_mov_b32 v[4:5], v[8:9], v[8:9] op_sel:[0,1]
	s_andn2_b64 exec, exec, s[8:9]
	s_cbranch_execz .LBB20_15
.LBB20_13:                              ; =>This Inner Loop Header: Depth=1
	v_and_b32_e32 v8, 1, v4
	v_cmp_eq_u32_e32 vcc, 1, v8
	s_and_saveexec_b64 s[12:13], vcc
	s_cbranch_execz .LBB20_12
; %bb.14:                               ;   in Loop: Header=BB20_13 Depth=1
	v_mul_lo_u32 v8, s11, v6
	v_mul_lo_u32 v9, s10, v7
	v_mad_u64_u32 v[6:7], s[0:1], s10, v6, 0
	s_add_u32 s0, 0x402, s17
	v_add3_u32 v7, v7, v9, v8
	s_addc_u32 s1, 0, 0
	v_add_co_u32_e32 v8, vcc, s0, v3
	s_cmp_lg_u64 vcc, 0
	v_readfirstlane_b32 s26, v8
	s_addc_u32 s0, s1, 1
	s_mul_hi_u32 s27, s26, 0x80000001
	s_mul_i32 s1, s0, 0x80000001
	s_sub_i32 s27, s27, s26
	s_add_i32 s27, s27, s1
	s_mul_i32 s29, s26, 0x80000001
	s_mul_hi_u32 s1, s26, s27
	s_mul_i32 s28, s26, s27
	s_mul_hi_u32 s26, s26, s29
	s_add_u32 s26, s26, s28
	s_addc_u32 s1, 0, s1
	s_mul_hi_u32 s30, s0, s29
	s_mul_i32 s29, s0, s29
	s_add_u32 s26, s26, s29
	s_mul_hi_u32 s28, s0, s27
	s_addc_u32 s1, s1, s30
	s_addc_u32 s26, s28, 0
	s_mul_i32 s27, s0, s27
	s_add_u32 s1, s1, s27
	s_addc_u32 s26, 0, s26
	v_add_co_u32_e32 v10, vcc, s1, v8
	s_cmp_lg_u64 vcc, 0
	s_addc_u32 s26, s0, s26
	v_mad_u64_u32 v[8:9], s[0:1], v6, s26, 0
	v_mul_hi_u32 v11, v6, v10
	v_add_co_u32_e32 v12, vcc, v11, v8
	v_addc_co_u32_e32 v13, vcc, 0, v9, vcc
	v_mad_u64_u32 v[10:11], s[0:1], v7, v10, 0
	v_add_co_u32_e32 v10, vcc, v12, v10
	v_mad_u64_u32 v[8:9], s[0:1], v7, s26, 0
	v_addc_co_u32_e32 v10, vcc, v13, v11, vcc
	v_addc_co_u32_e32 v9, vcc, 0, v9, vcc
	v_add_co_u32_e32 v8, vcc, v10, v8
	v_addc_co_u32_e32 v11, vcc, 0, v9, vcc
	v_mad_u64_u32 v[8:9], s[0:1], v8, s15, 0
	v_mov_b32_e32 v10, v9
	v_mad_u64_u32 v[10:11], s[0:1], v11, s15, v[10:11]
	v_sub_co_u32_e32 v6, vcc, v6, v8
	v_subb_co_u32_e32 v7, vcc, v7, v10, vcc
	v_subrev_co_u32_e32 v8, vcc, s15, v6
	v_subbrev_co_u32_e32 v9, vcc, 0, v7, vcc
	v_subrev_co_u32_e32 v10, vcc, s15, v8
	v_subbrev_co_u32_e32 v11, vcc, 0, v9, vcc
	v_cmp_lt_u32_e32 vcc, s16, v8
	v_cndmask_b32_e64 v12, 0, -1, vcc
	v_cmp_eq_u32_e32 vcc, 0, v9
	v_cndmask_b32_e32 v12, -1, v12, vcc
	v_cmp_ne_u32_e32 vcc, 0, v12
	v_cmp_lt_u32_e64 s[0:1], s16, v6
	v_cndmask_b32_e32 v9, v9, v11, vcc
	v_cndmask_b32_e64 v11, 0, -1, s[0:1]
	v_cmp_eq_u32_e64 s[0:1], 0, v7
	v_cndmask_b32_e64 v11, -1, v11, s[0:1]
	v_cmp_ne_u32_e64 s[0:1], 0, v11
	v_cndmask_b32_e32 v8, v8, v10, vcc
	v_cndmask_b32_e64 v7, v7, v9, s[0:1]
	v_cndmask_b32_e64 v6, v6, v8, s[0:1]
	s_branch .LBB20_12
.LBB20_15:
	s_or_b64 exec, exec, s[8:9]
	s_movk_i32 s0, 0x401
	s_add_u32 s0, 0x402, s0
	v_mov_b32_e32 v3, 0xfffff800
	s_addc_u32 s1, 0, 0
	v_add_co_u32_e32 v3, vcc, s0, v3
	s_cmp_lg_u64 vcc, 0
	v_readfirstlane_b32 s8, v3
	s_addc_u32 s0, s1, 1
	s_mul_hi_u32 s9, s8, 0x80000001
	s_mul_i32 s1, s0, 0x80000001
	s_sub_i32 s9, s9, s8
	s_add_i32 s9, s9, s1
	s_mul_i32 s11, s8, 0x80000001
	s_mul_hi_u32 s1, s8, s9
	s_mul_i32 s10, s8, s9
	s_mul_hi_u32 s8, s8, s11
	s_add_u32 s8, s8, s10
	s_addc_u32 s1, 0, s1
	s_mul_hi_u32 s12, s0, s11
	s_mul_i32 s11, s0, s11
	s_add_u32 s8, s8, s11
	s_mul_hi_u32 s10, s0, s9
	s_addc_u32 s1, s1, s12
	s_addc_u32 s8, s10, 0
	s_mul_i32 s9, s0, s9
	s_add_u32 s1, s1, s9
	s_addc_u32 s8, 0, s8
	v_add_co_u32_e32 v3, vcc, s1, v3
	s_cmp_lg_u64 vcc, 0
	s_addc_u32 s8, s0, s8
	v_mad_u64_u32 v[4:5], s[0:1], v6, s8, 0
	v_mul_hi_u32 v8, v6, v3
	v_add_co_u32_e32 v10, vcc, v8, v4
	v_addc_co_u32_e32 v11, vcc, 0, v5, vcc
	v_mad_u64_u32 v[8:9], s[0:1], v7, v3, 0
	v_add_co_u32_e32 v3, vcc, v10, v8
	v_mad_u64_u32 v[4:5], s[0:1], v7, s8, 0
	v_addc_co_u32_e32 v3, vcc, v11, v9, vcc
	v_addc_co_u32_e32 v5, vcc, 0, v5, vcc
	v_add_co_u32_e32 v3, vcc, v3, v4
	s_brev_b32 s8, -2
	v_addc_co_u32_e32 v9, vcc, 0, v5, vcc
	v_mad_u64_u32 v[4:5], s[0:1], v3, s8, 0
	v_mov_b32_e32 v8, v5
	v_mad_u64_u32 v[8:9], s[0:1], v9, s8, v[8:9]
	v_sub_co_u32_e32 v3, vcc, v6, v4
	v_subb_co_u32_e32 v4, vcc, v7, v8, vcc
	v_subrev_co_u32_e32 v5, vcc, 0x7fffffff, v3
	v_subbrev_co_u32_e32 v6, vcc, 0, v4, vcc
	s_mov_b32 s0, 0x7ffffffe
	v_cmp_lt_u32_e32 vcc, s0, v5
	v_cndmask_b32_e64 v7, 0, -1, vcc
	v_cmp_eq_u32_e32 vcc, 0, v6
	v_cndmask_b32_e32 v6, -1, v7, vcc
	v_add_u32_e32 v7, 0x80000001, v5
	v_cmp_ne_u32_e32 vcc, 0, v6
	v_cndmask_b32_e32 v5, v5, v7, vcc
	v_cmp_lt_u32_e32 vcc, s0, v3
	v_cndmask_b32_e64 v6, 0, -1, vcc
	v_cmp_eq_u32_e32 vcc, 0, v4
	v_cndmask_b32_e32 v4, -1, v6, vcc
	v_cmp_ne_u32_e32 vcc, 0, v4
	v_cndmask_b32_e32 v5, v3, v5, vcc
.LBB20_16:
	s_or_b64 exec, exec, s[2:3]
	s_movk_i32 s2, 0x1388
	v_mov_b32_e32 v8, 0
	s_mov_b32 s3, 0xbc8f1391
	s_mov_b32 s8, 0xbc8f
	s_brev_b32 s9, 12
	s_mov_b32 s10, 0xf800000
	v_mov_b32_e32 v3, 0x260
.LBB20_17:                              ; =>This Inner Loop Header: Depth=1
	v_mul_hi_u32 v4, v5, s3
	v_lshrrev_b32_e32 v4, 15, v4
	v_mul_u32_u24_e32 v7, 0xadc8, v4
	v_sub_u32_e32 v5, v5, v7
	v_mul_u32_u24_e32 v4, 0xd47, v4
	v_mul_lo_u32 v5, v5, s8
	v_xor_b32_e32 v7, 0x7fffffff, v4
	v_sub_u32_e32 v9, 0, v4
	v_cmp_lt_u32_e32 vcc, v5, v4
	v_cndmask_b32_e32 v4, v9, v7, vcc
	v_add_u32_e32 v4, v4, v5
	v_mul_hi_u32 v7, v4, s3
	v_lshrrev_b32_e32 v7, 15, v7
	v_mul_u32_u24_e32 v9, 0xadc8, v7
	v_add_u32_e32 v5, -1, v4
	v_sub_u32_e32 v4, v4, v9
	v_mul_u32_u24_e32 v7, 0xd47, v7
	v_mul_lo_u32 v4, v4, s8
	v_xor_b32_e32 v9, 0x7fffffff, v7
	v_sub_u32_e32 v10, 0, v7
	v_cmp_lt_u32_e32 vcc, v4, v7
	v_cndmask_b32_e32 v7, v10, v9, vcc
	v_add_u32_e32 v4, v7, v4
	v_mul_hi_u32 v9, v4, s3
	v_add_u32_e32 v7, -1, v4
	v_lshrrev_b32_e32 v9, 15, v9
	v_cvt_f32_u32_e32 v7, v7
	v_mul_u32_u24_e32 v10, 0xadc8, v9
	v_cvt_f32_u32_e32 v5, v5
	v_sub_u32_e32 v4, v4, v10
	v_mul_u32_u24_e32 v9, 0xd47, v9
	v_mul_lo_u32 v4, v4, s8
	v_xor_b32_e32 v10, 0x7fffffff, v9
	v_sub_u32_e32 v11, 0, v9
	v_cmp_lt_u32_e32 vcc, v4, v9
	v_fma_f32 v7, v7, s9, 0
	v_cndmask_b32_e32 v9, v11, v10, vcc
	v_fma_f32 v5, v5, s9, 0
	v_mul_f32_e32 v7, v7, v7
	v_add_u32_e32 v4, v9, v4
	v_fmac_f32_e32 v7, v5, v5
	v_mul_hi_u32 v9, v4, s3
	v_add_u32_e32 v5, -1, v4
	v_mul_f32_e32 v10, 0x4f800000, v7
	v_lshrrev_b32_e32 v9, 15, v9
	v_cmp_gt_f32_e32 vcc, s10, v7
	v_cvt_f32_u32_e32 v5, v5
	v_cndmask_b32_e32 v7, v7, v10, vcc
	v_mul_u32_u24_e32 v10, 0xadc8, v9
	v_sqrt_f32_e32 v11, v7
	v_sub_u32_e32 v4, v4, v10
	v_mul_u32_u24_e32 v9, 0xd47, v9
	v_mul_lo_u32 v4, v4, s8
	v_xor_b32_e32 v10, 0x7fffffff, v9
	v_sub_u32_e32 v12, 0, v9
	v_cmp_lt_u32_e64 s[0:1], v4, v9
	v_fma_f32 v13, v5, s9, 0
	v_cndmask_b32_e64 v5, v12, v10, s[0:1]
	v_add_u32_e32 v5, v5, v4
	v_add_u32_e32 v4, -1, v11
	v_add_u32_e32 v9, 1, v11
	v_add_u32_e32 v10, -1, v5
	v_fma_f32 v12, -v4, v11, v7
	v_fma_f32 v14, -v9, v11, v7
	v_cvt_f32_u32_e32 v10, v10
	v_cmp_ge_f32_e64 s[0:1], 0, v12
	v_cndmask_b32_e64 v4, v11, v4, s[0:1]
	v_cmp_lt_f32_e64 s[0:1], 0, v14
	v_cndmask_b32_e64 v4, v4, v9, s[0:1]
	v_mul_f32_e32 v9, 0x37800000, v4
	v_cndmask_b32_e32 v4, v4, v9, vcc
	v_fma_f32 v9, v10, s9, 0
	v_cmp_class_f32_e32 vcc, v7, v3
	v_cndmask_b32_e32 v4, v4, v7, vcc
	v_mul_f32_e32 v7, v9, v9
	v_add_f32_e32 v6, 1.0, v8
	v_cmp_nge_f32_e32 vcc, 1.0, v4
	v_fmac_f32_e32 v7, v13, v13
	v_cndmask_b32_e32 v4, v6, v8, vcc
	v_mul_f32_e32 v6, 0x4f800000, v7
	v_cmp_gt_f32_e32 vcc, s10, v7
	v_cndmask_b32_e32 v6, v7, v6, vcc
	v_sqrt_f32_e32 v7, v6
	s_add_i32 s2, s2, -2
	v_add_f32_e32 v8, 1.0, v4
	s_cmp_lg_u32 s2, 0
	v_add_u32_e32 v9, -1, v7
	v_add_u32_e32 v10, 1, v7
	v_fma_f32 v11, -v9, v7, v6
	v_fma_f32 v12, -v10, v7, v6
	v_cmp_ge_f32_e64 s[0:1], 0, v11
	v_cndmask_b32_e64 v7, v7, v9, s[0:1]
	v_cmp_lt_f32_e64 s[0:1], 0, v12
	v_cndmask_b32_e64 v7, v7, v10, s[0:1]
	v_mul_f32_e32 v9, 0x37800000, v7
	v_cndmask_b32_e32 v7, v7, v9, vcc
	v_cmp_class_f32_e32 vcc, v6, v3
	v_cndmask_b32_e32 v6, v7, v6, vcc
	v_cmp_nge_f32_e32 vcc, 1.0, v6
	v_cndmask_b32_e32 v8, v8, v4, vcc
	s_cbranch_scc1 .LBB20_17
; %bb.18:
	v_add_u32_e32 v4, 0x138800, v2
	v_cmp_ne_u32_e32 vcc, 0, v4
	v_mov_b32_e32 v5, 1
	s_and_saveexec_b64 s[2:3], vcc
	s_cbranch_execz .LBB20_24
; %bb.19:
	v_mov_b32_e32 v6, 1
	v_mov_b32_e32 v5, 0
	s_mov_b64 s[10:11], 0xbc8f
	s_mov_b64 s[8:9], 0
	v_mov_b32_e32 v7, 0
	s_brev_b32 s15, -2
	s_mov_b32 s16, 0x7ffffffe
	v_mov_b32_e32 v3, 0xfffff800
	s_movk_i32 s17, 0x401
	s_branch .LBB20_21
.LBB20_20:                              ;   in Loop: Header=BB20_21 Depth=1
	s_or_b64 exec, exec, s[12:13]
	s_mul_i32 s0, s10, s11
	s_mul_hi_u32 s1, s10, s10
	s_add_i32 s1, s1, s0
	s_add_i32 s0, s1, s0
	s_mul_i32 s1, s10, s10
	s_add_u32 s10, 0x402, s17
	s_addc_u32 s11, 0, 0
	v_add_co_u32_e32 v9, vcc, s10, v3
	s_cmp_lg_u64 vcc, 0
	v_readfirstlane_b32 s12, v9
	s_addc_u32 s10, s11, 1
	s_mul_hi_u32 s13, s12, 0x80000001
	s_mul_i32 s11, s10, 0x80000001
	s_sub_i32 s13, s13, s12
	s_add_i32 s13, s13, s11
	s_mul_i32 s27, s12, 0x80000001
	s_mul_hi_u32 s11, s12, s13
	s_mul_i32 s26, s12, s13
	s_mul_hi_u32 s12, s12, s27
	s_add_u32 s12, s12, s26
	s_addc_u32 s11, 0, s11
	s_mul_hi_u32 s28, s10, s27
	s_mul_i32 s27, s10, s27
	s_add_u32 s12, s12, s27
	s_mul_hi_u32 s26, s10, s13
	s_addc_u32 s11, s11, s28
	s_addc_u32 s12, s26, 0
	s_mul_i32 s13, s10, s13
	s_add_u32 s11, s11, s13
	s_addc_u32 s12, 0, s12
	v_add_co_u32_e32 v9, vcc, s11, v9
	s_cmp_lg_u64 vcc, 0
	s_addc_u32 s10, s10, s12
	v_readfirstlane_b32 s13, v9
	s_mul_i32 s12, s1, s10
	s_mul_hi_u32 s26, s1, s13
	s_mul_hi_u32 s11, s1, s10
	s_add_u32 s12, s26, s12
	s_addc_u32 s11, 0, s11
	s_mul_hi_u32 s27, s0, s13
	s_mul_i32 s13, s0, s13
	s_add_u32 s12, s12, s13
	s_mul_hi_u32 s26, s0, s10
	s_addc_u32 s11, s11, s27
	s_addc_u32 s12, s26, 0
	s_mul_i32 s10, s0, s10
	s_add_u32 s10, s11, s10
	s_addc_u32 s11, 0, s12
	s_mul_hi_u32 s12, s10, 0x7fffffff
	s_mul_i32 s10, s10, 0x7fffffff
	s_mul_i32 s11, s11, 0x7fffffff
	v_mov_b32_e32 v9, s10
	s_add_i32 s12, s12, s11
	v_sub_co_u32_e32 v9, vcc, s1, v9
	s_cmp_lg_u64 vcc, 0
	s_subb_u32 s0, s0, s12
	v_subrev_co_u32_e32 v12, vcc, s15, v9
	s_cmp_lg_u64 vcc, 0
	s_subb_u32 s1, s0, 0
	v_subrev_co_u32_e32 v13, vcc, s15, v12
	s_cmp_lg_u64 vcc, 0
	s_subb_u32 s10, s1, 0
	v_readfirstlane_b32 s11, v12
	s_cmp_gt_u32 s11, 0x7ffffffe
	s_cselect_b32 s12, -1, 0
	s_cmp_eq_u32 s1, 0
	s_cselect_b32 s12, s12, -1
	s_cmp_lg_u32 s12, 0
	s_cselect_b32 s1, s10, s1
	v_readfirstlane_b32 s10, v13
	v_readfirstlane_b32 s12, v9
	s_cselect_b32 s10, s10, s11
	s_cmp_gt_u32 s12, 0x7ffffffe
	s_cselect_b32 s11, -1, 0
	s_cmp_eq_u32 s0, 0
	s_cselect_b32 s11, s11, -1
	v_lshrrev_b64 v[10:11], 1, v[4:5]
	s_cmp_lg_u32 s11, 0
	v_cmp_gt_u64_e32 vcc, 2, v[4:5]
	s_cselect_b32 s11, s1, s0
	s_cselect_b32 s10, s10, s12
	s_or_b64 s[8:9], vcc, s[8:9]
	v_pk_mov_b32 v[4:5], v[10:11], v[10:11] op_sel:[0,1]
	s_andn2_b64 exec, exec, s[8:9]
	s_cbranch_execz .LBB20_23
.LBB20_21:                              ; =>This Inner Loop Header: Depth=1
	v_and_b32_e32 v9, 1, v4
	v_cmp_eq_u32_e32 vcc, 1, v9
	s_and_saveexec_b64 s[12:13], vcc
	s_cbranch_execz .LBB20_20
; %bb.22:                               ;   in Loop: Header=BB20_21 Depth=1
	v_mul_lo_u32 v9, s11, v6
	v_mul_lo_u32 v10, s10, v7
	v_mad_u64_u32 v[6:7], s[0:1], s10, v6, 0
	s_add_u32 s0, 0x402, s17
	v_add3_u32 v7, v7, v10, v9
	s_addc_u32 s1, 0, 0
	v_add_co_u32_e32 v9, vcc, s0, v3
	s_cmp_lg_u64 vcc, 0
	v_readfirstlane_b32 s26, v9
	s_addc_u32 s0, s1, 1
	s_mul_hi_u32 s27, s26, 0x80000001
	s_mul_i32 s1, s0, 0x80000001
	s_sub_i32 s27, s27, s26
	s_add_i32 s27, s27, s1
	s_mul_i32 s29, s26, 0x80000001
	s_mul_hi_u32 s1, s26, s27
	s_mul_i32 s28, s26, s27
	s_mul_hi_u32 s26, s26, s29
	s_add_u32 s26, s26, s28
	s_addc_u32 s1, 0, s1
	s_mul_hi_u32 s30, s0, s29
	s_mul_i32 s29, s0, s29
	s_add_u32 s26, s26, s29
	s_mul_hi_u32 s28, s0, s27
	s_addc_u32 s1, s1, s30
	s_addc_u32 s26, s28, 0
	s_mul_i32 s27, s0, s27
	s_add_u32 s1, s1, s27
	s_addc_u32 s26, 0, s26
	v_add_co_u32_e32 v9, vcc, s1, v9
	s_cmp_lg_u64 vcc, 0
	s_addc_u32 s26, s0, s26
	v_mad_u64_u32 v[10:11], s[0:1], v6, s26, 0
	v_mul_hi_u32 v12, v6, v9
	v_add_co_u32_e32 v14, vcc, v12, v10
	v_addc_co_u32_e32 v15, vcc, 0, v11, vcc
	v_mad_u64_u32 v[12:13], s[0:1], v7, v9, 0
	v_add_co_u32_e32 v9, vcc, v14, v12
	v_mad_u64_u32 v[10:11], s[0:1], v7, s26, 0
	v_addc_co_u32_e32 v9, vcc, v15, v13, vcc
	v_addc_co_u32_e32 v11, vcc, 0, v11, vcc
	v_add_co_u32_e32 v9, vcc, v9, v10
	v_addc_co_u32_e32 v13, vcc, 0, v11, vcc
	v_mad_u64_u32 v[10:11], s[0:1], v9, s15, 0
	v_mov_b32_e32 v12, v11
	v_mad_u64_u32 v[12:13], s[0:1], v13, s15, v[12:13]
	v_sub_co_u32_e32 v6, vcc, v6, v10
	v_subb_co_u32_e32 v7, vcc, v7, v12, vcc
	v_subrev_co_u32_e32 v9, vcc, s15, v6
	v_subbrev_co_u32_e32 v10, vcc, 0, v7, vcc
	v_subrev_co_u32_e32 v11, vcc, s15, v9
	v_subbrev_co_u32_e32 v12, vcc, 0, v10, vcc
	v_cmp_lt_u32_e32 vcc, s16, v9
	v_cndmask_b32_e64 v13, 0, -1, vcc
	v_cmp_eq_u32_e32 vcc, 0, v10
	v_cndmask_b32_e32 v13, -1, v13, vcc
	v_cmp_ne_u32_e32 vcc, 0, v13
	v_cmp_lt_u32_e64 s[0:1], s16, v6
	v_cndmask_b32_e32 v10, v10, v12, vcc
	v_cndmask_b32_e64 v12, 0, -1, s[0:1]
	v_cmp_eq_u32_e64 s[0:1], 0, v7
	v_cndmask_b32_e64 v12, -1, v12, s[0:1]
	v_cmp_ne_u32_e64 s[0:1], 0, v12
	v_cndmask_b32_e32 v9, v9, v11, vcc
	v_cndmask_b32_e64 v7, v7, v10, s[0:1]
	v_cndmask_b32_e64 v6, v6, v9, s[0:1]
	s_branch .LBB20_20
.LBB20_23:
	s_or_b64 exec, exec, s[8:9]
	s_movk_i32 s0, 0x401
	s_add_u32 s0, 0x402, s0
	v_mov_b32_e32 v3, 0xfffff800
	s_addc_u32 s1, 0, 0
	v_add_co_u32_e32 v3, vcc, s0, v3
	s_cmp_lg_u64 vcc, 0
	v_readfirstlane_b32 s8, v3
	s_addc_u32 s0, s1, 1
	s_mul_hi_u32 s9, s8, 0x80000001
	s_mul_i32 s1, s0, 0x80000001
	s_sub_i32 s9, s9, s8
	s_add_i32 s9, s9, s1
	s_mul_i32 s11, s8, 0x80000001
	s_mul_hi_u32 s1, s8, s9
	s_mul_i32 s10, s8, s9
	s_mul_hi_u32 s8, s8, s11
	s_add_u32 s8, s8, s10
	s_addc_u32 s1, 0, s1
	s_mul_hi_u32 s12, s0, s11
	s_mul_i32 s11, s0, s11
	s_add_u32 s8, s8, s11
	s_mul_hi_u32 s10, s0, s9
	s_addc_u32 s1, s1, s12
	s_addc_u32 s8, s10, 0
	s_mul_i32 s9, s0, s9
	s_add_u32 s1, s1, s9
	s_addc_u32 s8, 0, s8
	v_add_co_u32_e32 v3, vcc, s1, v3
	s_cmp_lg_u64 vcc, 0
	s_addc_u32 s8, s0, s8
	v_mad_u64_u32 v[4:5], s[0:1], v6, s8, 0
	v_mul_hi_u32 v9, v6, v3
	v_add_co_u32_e32 v9, vcc, v9, v4
	v_addc_co_u32_e32 v12, vcc, 0, v5, vcc
	v_mad_u64_u32 v[10:11], s[0:1], v7, v3, 0
	v_add_co_u32_e32 v3, vcc, v9, v10
	v_mad_u64_u32 v[4:5], s[0:1], v7, s8, 0
	v_addc_co_u32_e32 v3, vcc, v12, v11, vcc
	v_addc_co_u32_e32 v5, vcc, 0, v5, vcc
	v_add_co_u32_e32 v3, vcc, v3, v4
	s_brev_b32 s8, -2
	v_addc_co_u32_e32 v9, vcc, 0, v5, vcc
	v_mad_u64_u32 v[4:5], s[0:1], v3, s8, 0
	v_mov_b32_e32 v10, v5
	v_mad_u64_u32 v[10:11], s[0:1], v9, s8, v[10:11]
	v_sub_co_u32_e32 v3, vcc, v6, v4
	v_subb_co_u32_e32 v4, vcc, v7, v10, vcc
	v_subrev_co_u32_e32 v5, vcc, 0x7fffffff, v3
	v_subbrev_co_u32_e32 v6, vcc, 0, v4, vcc
	s_mov_b32 s0, 0x7ffffffe
	v_cmp_lt_u32_e32 vcc, s0, v5
	v_cndmask_b32_e64 v7, 0, -1, vcc
	v_cmp_eq_u32_e32 vcc, 0, v6
	v_cndmask_b32_e32 v6, -1, v7, vcc
	v_add_u32_e32 v7, 0x80000001, v5
	v_cmp_ne_u32_e32 vcc, 0, v6
	v_cndmask_b32_e32 v5, v5, v7, vcc
	v_cmp_lt_u32_e32 vcc, s0, v3
	v_cndmask_b32_e64 v6, 0, -1, vcc
	v_cmp_eq_u32_e32 vcc, 0, v4
	v_cndmask_b32_e32 v4, -1, v6, vcc
	v_cmp_ne_u32_e32 vcc, 0, v4
	v_cndmask_b32_e32 v5, v3, v5, vcc
.LBB20_24:
	s_or_b64 exec, exec, s[2:3]
	s_movk_i32 s2, 0x1388
	v_mov_b32_e32 v9, 0
	s_mov_b32 s3, 0xbc8f1391
	s_mov_b32 s8, 0xbc8f
	s_brev_b32 s9, 12
	s_mov_b32 s10, 0xf800000
	v_mov_b32_e32 v3, 0x260
.LBB20_25:                              ; =>This Inner Loop Header: Depth=1
	v_mul_hi_u32 v4, v5, s3
	v_lshrrev_b32_e32 v4, 15, v4
	v_mul_u32_u24_e32 v7, 0xadc8, v4
	v_sub_u32_e32 v5, v5, v7
	v_mul_u32_u24_e32 v4, 0xd47, v4
	v_mul_lo_u32 v5, v5, s8
	v_xor_b32_e32 v7, 0x7fffffff, v4
	v_sub_u32_e32 v10, 0, v4
	v_cmp_lt_u32_e32 vcc, v5, v4
	v_cndmask_b32_e32 v4, v10, v7, vcc
	v_add_u32_e32 v4, v4, v5
	v_mul_hi_u32 v7, v4, s3
	v_lshrrev_b32_e32 v7, 15, v7
	v_mul_u32_u24_e32 v10, 0xadc8, v7
	v_add_u32_e32 v5, -1, v4
	v_sub_u32_e32 v4, v4, v10
	v_mul_u32_u24_e32 v7, 0xd47, v7
	v_mul_lo_u32 v4, v4, s8
	v_xor_b32_e32 v10, 0x7fffffff, v7
	v_sub_u32_e32 v11, 0, v7
	v_cmp_lt_u32_e32 vcc, v4, v7
	v_cndmask_b32_e32 v7, v11, v10, vcc
	v_add_u32_e32 v4, v7, v4
	v_mul_hi_u32 v10, v4, s3
	v_add_u32_e32 v7, -1, v4
	v_lshrrev_b32_e32 v10, 15, v10
	v_cvt_f32_u32_e32 v7, v7
	v_mul_u32_u24_e32 v11, 0xadc8, v10
	v_cvt_f32_u32_e32 v5, v5
	v_sub_u32_e32 v4, v4, v11
	v_mul_u32_u24_e32 v10, 0xd47, v10
	v_mul_lo_u32 v4, v4, s8
	v_xor_b32_e32 v11, 0x7fffffff, v10
	v_sub_u32_e32 v12, 0, v10
	v_cmp_lt_u32_e32 vcc, v4, v10
	v_fma_f32 v7, v7, s9, 0
	v_cndmask_b32_e32 v10, v12, v11, vcc
	v_fma_f32 v5, v5, s9, 0
	v_mul_f32_e32 v7, v7, v7
	v_add_u32_e32 v4, v10, v4
	v_fmac_f32_e32 v7, v5, v5
	v_mul_hi_u32 v10, v4, s3
	v_add_u32_e32 v5, -1, v4
	v_mul_f32_e32 v11, 0x4f800000, v7
	v_lshrrev_b32_e32 v10, 15, v10
	v_cmp_gt_f32_e32 vcc, s10, v7
	v_cvt_f32_u32_e32 v5, v5
	v_cndmask_b32_e32 v7, v7, v11, vcc
	v_mul_u32_u24_e32 v11, 0xadc8, v10
	v_sqrt_f32_e32 v12, v7
	v_sub_u32_e32 v4, v4, v11
	v_mul_u32_u24_e32 v10, 0xd47, v10
	v_mul_lo_u32 v4, v4, s8
	v_xor_b32_e32 v11, 0x7fffffff, v10
	v_sub_u32_e32 v13, 0, v10
	v_cmp_lt_u32_e64 s[0:1], v4, v10
	v_fma_f32 v14, v5, s9, 0
	v_cndmask_b32_e64 v5, v13, v11, s[0:1]
	v_add_u32_e32 v5, v5, v4
	v_add_u32_e32 v4, -1, v12
	v_add_u32_e32 v10, 1, v12
	v_add_u32_e32 v11, -1, v5
	v_fma_f32 v13, -v4, v12, v7
	v_fma_f32 v15, -v10, v12, v7
	v_cvt_f32_u32_e32 v11, v11
	v_cmp_ge_f32_e64 s[0:1], 0, v13
	v_cndmask_b32_e64 v4, v12, v4, s[0:1]
	v_cmp_lt_f32_e64 s[0:1], 0, v15
	v_cndmask_b32_e64 v4, v4, v10, s[0:1]
	v_mul_f32_e32 v10, 0x37800000, v4
	v_cndmask_b32_e32 v4, v4, v10, vcc
	v_fma_f32 v10, v11, s9, 0
	v_cmp_class_f32_e32 vcc, v7, v3
	v_cndmask_b32_e32 v4, v4, v7, vcc
	v_mul_f32_e32 v7, v10, v10
	v_add_f32_e32 v6, 1.0, v9
	v_cmp_nge_f32_e32 vcc, 1.0, v4
	v_fmac_f32_e32 v7, v14, v14
	v_cndmask_b32_e32 v4, v6, v9, vcc
	v_mul_f32_e32 v6, 0x4f800000, v7
	v_cmp_gt_f32_e32 vcc, s10, v7
	v_cndmask_b32_e32 v6, v7, v6, vcc
	v_sqrt_f32_e32 v7, v6
	s_add_i32 s2, s2, -2
	v_add_f32_e32 v9, 1.0, v4
	s_cmp_lg_u32 s2, 0
	v_add_u32_e32 v10, -1, v7
	v_add_u32_e32 v11, 1, v7
	v_fma_f32 v12, -v10, v7, v6
	v_fma_f32 v13, -v11, v7, v6
	v_cmp_ge_f32_e64 s[0:1], 0, v12
	v_cndmask_b32_e64 v7, v7, v10, s[0:1]
	v_cmp_lt_f32_e64 s[0:1], 0, v13
	v_cndmask_b32_e64 v7, v7, v11, s[0:1]
	v_mul_f32_e32 v10, 0x37800000, v7
	v_cndmask_b32_e32 v7, v7, v10, vcc
	v_cmp_class_f32_e32 vcc, v6, v3
	v_cndmask_b32_e32 v6, v7, v6, vcc
	v_cmp_nge_f32_e32 vcc, 1.0, v6
	v_cndmask_b32_e32 v9, v9, v4, vcc
	s_cbranch_scc1 .LBB20_25
; %bb.26:
	v_add_u32_e32 v4, 0x1d4c00, v2
	v_cmp_ne_u32_e32 vcc, 0, v4
	v_mov_b32_e32 v5, 1
	s_and_saveexec_b64 s[2:3], vcc
	s_cbranch_execz .LBB20_32
; %bb.27:
	v_mov_b32_e32 v6, 1
	v_mov_b32_e32 v5, 0
	s_mov_b64 s[10:11], 0xbc8f
	s_mov_b64 s[8:9], 0
	v_mov_b32_e32 v7, 0
	s_brev_b32 s15, -2
	s_mov_b32 s16, 0x7ffffffe
	v_mov_b32_e32 v3, 0xfffff800
	s_movk_i32 s17, 0x401
	s_branch .LBB20_29
.LBB20_28:                              ;   in Loop: Header=BB20_29 Depth=1
	s_or_b64 exec, exec, s[12:13]
	s_mul_i32 s0, s10, s11
	s_mul_hi_u32 s1, s10, s10
	s_add_i32 s1, s1, s0
	s_add_i32 s0, s1, s0
	s_mul_i32 s1, s10, s10
	s_add_u32 s10, 0x402, s17
	s_addc_u32 s11, 0, 0
	v_add_co_u32_e32 v12, vcc, s10, v3
	s_cmp_lg_u64 vcc, 0
	v_readfirstlane_b32 s12, v12
	s_addc_u32 s10, s11, 1
	s_mul_hi_u32 s13, s12, 0x80000001
	s_mul_i32 s11, s10, 0x80000001
	s_sub_i32 s13, s13, s12
	s_add_i32 s13, s13, s11
	s_mul_i32 s27, s12, 0x80000001
	s_mul_hi_u32 s11, s12, s13
	s_mul_i32 s26, s12, s13
	s_mul_hi_u32 s12, s12, s27
	s_add_u32 s12, s12, s26
	s_addc_u32 s11, 0, s11
	s_mul_hi_u32 s28, s10, s27
	s_mul_i32 s27, s10, s27
	s_add_u32 s12, s12, s27
	s_mul_hi_u32 s26, s10, s13
	s_addc_u32 s11, s11, s28
	s_addc_u32 s12, s26, 0
	s_mul_i32 s13, s10, s13
	s_add_u32 s11, s11, s13
	s_addc_u32 s12, 0, s12
	v_add_co_u32_e32 v12, vcc, s11, v12
	s_cmp_lg_u64 vcc, 0
	s_addc_u32 s10, s10, s12
	v_readfirstlane_b32 s13, v12
	s_mul_i32 s12, s1, s10
	s_mul_hi_u32 s26, s1, s13
	s_mul_hi_u32 s11, s1, s10
	s_add_u32 s12, s26, s12
	s_addc_u32 s11, 0, s11
	s_mul_hi_u32 s27, s0, s13
	s_mul_i32 s13, s0, s13
	s_add_u32 s12, s12, s13
	s_mul_hi_u32 s26, s0, s10
	s_addc_u32 s11, s11, s27
	s_addc_u32 s12, s26, 0
	s_mul_i32 s10, s0, s10
	s_add_u32 s10, s11, s10
	s_addc_u32 s11, 0, s12
	s_mul_hi_u32 s12, s10, 0x7fffffff
	s_mul_i32 s10, s10, 0x7fffffff
	s_mul_i32 s11, s11, 0x7fffffff
	v_mov_b32_e32 v12, s10
	s_add_i32 s12, s12, s11
	v_sub_co_u32_e32 v12, vcc, s1, v12
	s_cmp_lg_u64 vcc, 0
	s_subb_u32 s0, s0, s12
	v_subrev_co_u32_e32 v13, vcc, s15, v12
	s_cmp_lg_u64 vcc, 0
	s_subb_u32 s1, s0, 0
	v_subrev_co_u32_e32 v14, vcc, s15, v13
	s_cmp_lg_u64 vcc, 0
	s_subb_u32 s10, s1, 0
	v_readfirstlane_b32 s11, v13
	s_cmp_gt_u32 s11, 0x7ffffffe
	s_cselect_b32 s12, -1, 0
	s_cmp_eq_u32 s1, 0
	s_cselect_b32 s12, s12, -1
	s_cmp_lg_u32 s12, 0
	s_cselect_b32 s1, s10, s1
	v_readfirstlane_b32 s10, v14
	v_readfirstlane_b32 s12, v12
	s_cselect_b32 s10, s10, s11
	s_cmp_gt_u32 s12, 0x7ffffffe
	s_cselect_b32 s11, -1, 0
	s_cmp_eq_u32 s0, 0
	s_cselect_b32 s11, s11, -1
	v_lshrrev_b64 v[10:11], 1, v[4:5]
	s_cmp_lg_u32 s11, 0
	v_cmp_gt_u64_e32 vcc, 2, v[4:5]
	s_cselect_b32 s11, s1, s0
	s_cselect_b32 s10, s10, s12
	s_or_b64 s[8:9], vcc, s[8:9]
	v_pk_mov_b32 v[4:5], v[10:11], v[10:11] op_sel:[0,1]
	s_andn2_b64 exec, exec, s[8:9]
	s_cbranch_execz .LBB20_31
.LBB20_29:                              ; =>This Inner Loop Header: Depth=1
	v_and_b32_e32 v10, 1, v4
	v_cmp_eq_u32_e32 vcc, 1, v10
	s_and_saveexec_b64 s[12:13], vcc
	s_cbranch_execz .LBB20_28
; %bb.30:                               ;   in Loop: Header=BB20_29 Depth=1
	v_mul_lo_u32 v10, s11, v6
	v_mul_lo_u32 v11, s10, v7
	v_mad_u64_u32 v[6:7], s[0:1], s10, v6, 0
	s_add_u32 s0, 0x402, s17
	v_add3_u32 v7, v7, v11, v10
	s_addc_u32 s1, 0, 0
	v_add_co_u32_e32 v10, vcc, s0, v3
	s_cmp_lg_u64 vcc, 0
	v_readfirstlane_b32 s26, v10
	s_addc_u32 s0, s1, 1
	s_mul_hi_u32 s27, s26, 0x80000001
	s_mul_i32 s1, s0, 0x80000001
	s_sub_i32 s27, s27, s26
	s_add_i32 s27, s27, s1
	s_mul_i32 s29, s26, 0x80000001
	s_mul_hi_u32 s1, s26, s27
	s_mul_i32 s28, s26, s27
	s_mul_hi_u32 s26, s26, s29
	s_add_u32 s26, s26, s28
	s_addc_u32 s1, 0, s1
	s_mul_hi_u32 s30, s0, s29
	s_mul_i32 s29, s0, s29
	s_add_u32 s26, s26, s29
	s_mul_hi_u32 s28, s0, s27
	s_addc_u32 s1, s1, s30
	s_addc_u32 s26, s28, 0
	s_mul_i32 s27, s0, s27
	s_add_u32 s1, s1, s27
	s_addc_u32 s26, 0, s26
	v_add_co_u32_e32 v12, vcc, s1, v10
	s_cmp_lg_u64 vcc, 0
	s_addc_u32 s26, s0, s26
	v_mad_u64_u32 v[10:11], s[0:1], v6, s26, 0
	v_mul_hi_u32 v13, v6, v12
	v_add_co_u32_e32 v14, vcc, v13, v10
	v_addc_co_u32_e32 v15, vcc, 0, v11, vcc
	v_mad_u64_u32 v[12:13], s[0:1], v7, v12, 0
	v_add_co_u32_e32 v12, vcc, v14, v12
	v_mad_u64_u32 v[10:11], s[0:1], v7, s26, 0
	v_addc_co_u32_e32 v12, vcc, v15, v13, vcc
	v_addc_co_u32_e32 v11, vcc, 0, v11, vcc
	v_add_co_u32_e32 v10, vcc, v12, v10
	v_addc_co_u32_e32 v13, vcc, 0, v11, vcc
	v_mad_u64_u32 v[10:11], s[0:1], v10, s15, 0
	v_mov_b32_e32 v12, v11
	v_mad_u64_u32 v[12:13], s[0:1], v13, s15, v[12:13]
	v_sub_co_u32_e32 v6, vcc, v6, v10
	v_subb_co_u32_e32 v7, vcc, v7, v12, vcc
	v_subrev_co_u32_e32 v10, vcc, s15, v6
	v_subbrev_co_u32_e32 v11, vcc, 0, v7, vcc
	v_subrev_co_u32_e32 v12, vcc, s15, v10
	v_subbrev_co_u32_e32 v13, vcc, 0, v11, vcc
	v_cmp_lt_u32_e32 vcc, s16, v10
	v_cndmask_b32_e64 v14, 0, -1, vcc
	v_cmp_eq_u32_e32 vcc, 0, v11
	v_cndmask_b32_e32 v14, -1, v14, vcc
	v_cmp_ne_u32_e32 vcc, 0, v14
	v_cmp_lt_u32_e64 s[0:1], s16, v6
	v_cndmask_b32_e32 v11, v11, v13, vcc
	v_cndmask_b32_e64 v13, 0, -1, s[0:1]
	v_cmp_eq_u32_e64 s[0:1], 0, v7
	v_cndmask_b32_e64 v13, -1, v13, s[0:1]
	v_cmp_ne_u32_e64 s[0:1], 0, v13
	v_cndmask_b32_e32 v10, v10, v12, vcc
	v_cndmask_b32_e64 v7, v7, v11, s[0:1]
	v_cndmask_b32_e64 v6, v6, v10, s[0:1]
	s_branch .LBB20_28
.LBB20_31:
	s_or_b64 exec, exec, s[8:9]
	s_movk_i32 s0, 0x401
	s_add_u32 s0, 0x402, s0
	v_mov_b32_e32 v3, 0xfffff800
	s_addc_u32 s1, 0, 0
	v_add_co_u32_e32 v3, vcc, s0, v3
	s_cmp_lg_u64 vcc, 0
	v_readfirstlane_b32 s8, v3
	s_addc_u32 s0, s1, 1
	s_mul_hi_u32 s9, s8, 0x80000001
	s_mul_i32 s1, s0, 0x80000001
	s_sub_i32 s9, s9, s8
	s_add_i32 s9, s9, s1
	s_mul_i32 s11, s8, 0x80000001
	s_mul_hi_u32 s1, s8, s9
	s_mul_i32 s10, s8, s9
	s_mul_hi_u32 s8, s8, s11
	s_add_u32 s8, s8, s10
	s_addc_u32 s1, 0, s1
	s_mul_hi_u32 s12, s0, s11
	s_mul_i32 s11, s0, s11
	s_add_u32 s8, s8, s11
	s_mul_hi_u32 s10, s0, s9
	s_addc_u32 s1, s1, s12
	s_addc_u32 s8, s10, 0
	s_mul_i32 s9, s0, s9
	s_add_u32 s1, s1, s9
	s_addc_u32 s8, 0, s8
	v_add_co_u32_e32 v3, vcc, s1, v3
	s_cmp_lg_u64 vcc, 0
	s_addc_u32 s8, s0, s8
	v_mad_u64_u32 v[4:5], s[0:1], v6, s8, 0
	v_mul_hi_u32 v10, v6, v3
	v_add_co_u32_e32 v12, vcc, v10, v4
	v_addc_co_u32_e32 v13, vcc, 0, v5, vcc
	v_mad_u64_u32 v[10:11], s[0:1], v7, v3, 0
	v_add_co_u32_e32 v3, vcc, v12, v10
	v_mad_u64_u32 v[4:5], s[0:1], v7, s8, 0
	v_addc_co_u32_e32 v3, vcc, v13, v11, vcc
	v_addc_co_u32_e32 v5, vcc, 0, v5, vcc
	v_add_co_u32_e32 v3, vcc, v3, v4
	s_brev_b32 s8, -2
	v_addc_co_u32_e32 v11, vcc, 0, v5, vcc
	v_mad_u64_u32 v[4:5], s[0:1], v3, s8, 0
	v_mov_b32_e32 v10, v5
	v_mad_u64_u32 v[10:11], s[0:1], v11, s8, v[10:11]
	v_sub_co_u32_e32 v3, vcc, v6, v4
	v_subb_co_u32_e32 v4, vcc, v7, v10, vcc
	v_subrev_co_u32_e32 v5, vcc, 0x7fffffff, v3
	v_subbrev_co_u32_e32 v6, vcc, 0, v4, vcc
	s_mov_b32 s0, 0x7ffffffe
	v_cmp_lt_u32_e32 vcc, s0, v5
	v_cndmask_b32_e64 v7, 0, -1, vcc
	v_cmp_eq_u32_e32 vcc, 0, v6
	v_cndmask_b32_e32 v6, -1, v7, vcc
	v_add_u32_e32 v7, 0x80000001, v5
	v_cmp_ne_u32_e32 vcc, 0, v6
	v_cndmask_b32_e32 v5, v5, v7, vcc
	v_cmp_lt_u32_e32 vcc, s0, v3
	v_cndmask_b32_e64 v6, 0, -1, vcc
	v_cmp_eq_u32_e32 vcc, 0, v4
	v_cndmask_b32_e32 v4, -1, v6, vcc
	v_cmp_ne_u32_e32 vcc, 0, v4
	v_cndmask_b32_e32 v5, v3, v5, vcc
.LBB20_32:
	s_or_b64 exec, exec, s[2:3]
	s_movk_i32 s2, 0x1388
	v_mov_b32_e32 v10, 0
	s_mov_b32 s3, 0xbc8f1391
	s_mov_b32 s8, 0xbc8f
	s_brev_b32 s9, 12
	s_mov_b32 s10, 0xf800000
	v_mov_b32_e32 v3, 0x260
.LBB20_33:                              ; =>This Inner Loop Header: Depth=1
	v_mul_hi_u32 v4, v5, s3
	v_lshrrev_b32_e32 v4, 15, v4
	v_mul_u32_u24_e32 v7, 0xadc8, v4
	v_sub_u32_e32 v5, v5, v7
	v_mul_u32_u24_e32 v4, 0xd47, v4
	v_mul_lo_u32 v5, v5, s8
	v_xor_b32_e32 v7, 0x7fffffff, v4
	v_sub_u32_e32 v11, 0, v4
	v_cmp_lt_u32_e32 vcc, v5, v4
	v_cndmask_b32_e32 v4, v11, v7, vcc
	v_add_u32_e32 v4, v4, v5
	v_mul_hi_u32 v7, v4, s3
	v_lshrrev_b32_e32 v7, 15, v7
	v_mul_u32_u24_e32 v11, 0xadc8, v7
	v_add_u32_e32 v5, -1, v4
	v_sub_u32_e32 v4, v4, v11
	v_mul_u32_u24_e32 v7, 0xd47, v7
	v_mul_lo_u32 v4, v4, s8
	v_xor_b32_e32 v11, 0x7fffffff, v7
	v_sub_u32_e32 v12, 0, v7
	v_cmp_lt_u32_e32 vcc, v4, v7
	v_cndmask_b32_e32 v7, v12, v11, vcc
	v_add_u32_e32 v4, v7, v4
	v_mul_hi_u32 v11, v4, s3
	v_add_u32_e32 v7, -1, v4
	v_lshrrev_b32_e32 v11, 15, v11
	v_cvt_f32_u32_e32 v7, v7
	v_mul_u32_u24_e32 v12, 0xadc8, v11
	v_cvt_f32_u32_e32 v5, v5
	v_sub_u32_e32 v4, v4, v12
	v_mul_u32_u24_e32 v11, 0xd47, v11
	v_mul_lo_u32 v4, v4, s8
	v_xor_b32_e32 v12, 0x7fffffff, v11
	v_sub_u32_e32 v13, 0, v11
	v_cmp_lt_u32_e32 vcc, v4, v11
	v_fma_f32 v7, v7, s9, 0
	v_cndmask_b32_e32 v11, v13, v12, vcc
	v_fma_f32 v5, v5, s9, 0
	v_mul_f32_e32 v7, v7, v7
	v_add_u32_e32 v4, v11, v4
	v_fmac_f32_e32 v7, v5, v5
	v_mul_hi_u32 v11, v4, s3
	v_add_u32_e32 v5, -1, v4
	v_mul_f32_e32 v12, 0x4f800000, v7
	v_lshrrev_b32_e32 v11, 15, v11
	v_cmp_gt_f32_e32 vcc, s10, v7
	v_cvt_f32_u32_e32 v5, v5
	v_cndmask_b32_e32 v7, v7, v12, vcc
	v_mul_u32_u24_e32 v12, 0xadc8, v11
	v_sqrt_f32_e32 v13, v7
	v_sub_u32_e32 v4, v4, v12
	v_mul_u32_u24_e32 v11, 0xd47, v11
	v_mul_lo_u32 v4, v4, s8
	v_xor_b32_e32 v12, 0x7fffffff, v11
	v_sub_u32_e32 v14, 0, v11
	v_cmp_lt_u32_e64 s[0:1], v4, v11
	v_fma_f32 v15, v5, s9, 0
	v_cndmask_b32_e64 v5, v14, v12, s[0:1]
	v_add_u32_e32 v5, v5, v4
	v_add_u32_e32 v4, -1, v13
	v_add_u32_e32 v11, 1, v13
	v_add_u32_e32 v12, -1, v5
	v_fma_f32 v14, -v4, v13, v7
	v_fma_f32 v16, -v11, v13, v7
	v_cvt_f32_u32_e32 v12, v12
	v_cmp_ge_f32_e64 s[0:1], 0, v14
	v_cndmask_b32_e64 v4, v13, v4, s[0:1]
	v_cmp_lt_f32_e64 s[0:1], 0, v16
	v_cndmask_b32_e64 v4, v4, v11, s[0:1]
	v_mul_f32_e32 v11, 0x37800000, v4
	v_cndmask_b32_e32 v4, v4, v11, vcc
	v_fma_f32 v11, v12, s9, 0
	v_cmp_class_f32_e32 vcc, v7, v3
	v_cndmask_b32_e32 v4, v4, v7, vcc
	v_mul_f32_e32 v7, v11, v11
	v_add_f32_e32 v6, 1.0, v10
	v_cmp_nge_f32_e32 vcc, 1.0, v4
	v_fmac_f32_e32 v7, v15, v15
	v_cndmask_b32_e32 v4, v6, v10, vcc
	v_mul_f32_e32 v6, 0x4f800000, v7
	v_cmp_gt_f32_e32 vcc, s10, v7
	v_cndmask_b32_e32 v6, v7, v6, vcc
	v_sqrt_f32_e32 v7, v6
	s_add_i32 s2, s2, -2
	v_add_f32_e32 v10, 1.0, v4
	s_cmp_lg_u32 s2, 0
	v_add_u32_e32 v11, -1, v7
	v_add_u32_e32 v12, 1, v7
	v_fma_f32 v13, -v11, v7, v6
	v_fma_f32 v14, -v12, v7, v6
	v_cmp_ge_f32_e64 s[0:1], 0, v13
	v_cndmask_b32_e64 v7, v7, v11, s[0:1]
	v_cmp_lt_f32_e64 s[0:1], 0, v14
	v_cndmask_b32_e64 v7, v7, v12, s[0:1]
	v_mul_f32_e32 v11, 0x37800000, v7
	v_cndmask_b32_e32 v7, v7, v11, vcc
	v_cmp_class_f32_e32 vcc, v6, v3
	v_cndmask_b32_e32 v6, v7, v6, vcc
	v_cmp_nge_f32_e32 vcc, 1.0, v6
	v_cndmask_b32_e32 v10, v10, v4, vcc
	s_cbranch_scc1 .LBB20_33
; %bb.34:
	v_add_u32_e32 v4, 0x271000, v2
	v_cmp_ne_u32_e32 vcc, 0, v4
	v_mov_b32_e32 v5, 1
	s_and_saveexec_b64 s[2:3], vcc
	s_cbranch_execz .LBB20_40
; %bb.35:
	v_mov_b32_e32 v6, 1
	v_mov_b32_e32 v5, 0
	s_mov_b64 s[10:11], 0xbc8f
	s_mov_b64 s[8:9], 0
	v_mov_b32_e32 v7, 0
	s_brev_b32 s15, -2
	s_mov_b32 s16, 0x7ffffffe
	v_mov_b32_e32 v3, 0xfffff800
	s_movk_i32 s17, 0x401
	s_branch .LBB20_37
.LBB20_36:                              ;   in Loop: Header=BB20_37 Depth=1
	s_or_b64 exec, exec, s[12:13]
	s_mul_i32 s0, s10, s11
	s_mul_hi_u32 s1, s10, s10
	s_add_i32 s1, s1, s0
	s_add_i32 s0, s1, s0
	s_mul_i32 s1, s10, s10
	s_add_u32 s10, 0x402, s17
	s_addc_u32 s11, 0, 0
	v_add_co_u32_e32 v11, vcc, s10, v3
	s_cmp_lg_u64 vcc, 0
	v_readfirstlane_b32 s12, v11
	s_addc_u32 s10, s11, 1
	s_mul_hi_u32 s13, s12, 0x80000001
	s_mul_i32 s11, s10, 0x80000001
	s_sub_i32 s13, s13, s12
	s_add_i32 s13, s13, s11
	s_mul_i32 s27, s12, 0x80000001
	s_mul_hi_u32 s11, s12, s13
	s_mul_i32 s26, s12, s13
	s_mul_hi_u32 s12, s12, s27
	s_add_u32 s12, s12, s26
	s_addc_u32 s11, 0, s11
	s_mul_hi_u32 s28, s10, s27
	s_mul_i32 s27, s10, s27
	s_add_u32 s12, s12, s27
	s_mul_hi_u32 s26, s10, s13
	s_addc_u32 s11, s11, s28
	s_addc_u32 s12, s26, 0
	s_mul_i32 s13, s10, s13
	s_add_u32 s11, s11, s13
	s_addc_u32 s12, 0, s12
	v_add_co_u32_e32 v11, vcc, s11, v11
	s_cmp_lg_u64 vcc, 0
	s_addc_u32 s10, s10, s12
	v_readfirstlane_b32 s13, v11
	s_mul_i32 s12, s1, s10
	s_mul_hi_u32 s26, s1, s13
	s_mul_hi_u32 s11, s1, s10
	s_add_u32 s12, s26, s12
	s_addc_u32 s11, 0, s11
	s_mul_hi_u32 s27, s0, s13
	s_mul_i32 s13, s0, s13
	s_add_u32 s12, s12, s13
	s_mul_hi_u32 s26, s0, s10
	s_addc_u32 s11, s11, s27
	s_addc_u32 s12, s26, 0
	s_mul_i32 s10, s0, s10
	s_add_u32 s10, s11, s10
	s_addc_u32 s11, 0, s12
	s_mul_hi_u32 s12, s10, 0x7fffffff
	s_mul_i32 s10, s10, 0x7fffffff
	s_mul_i32 s11, s11, 0x7fffffff
	v_mov_b32_e32 v11, s10
	s_add_i32 s12, s12, s11
	v_sub_co_u32_e32 v11, vcc, s1, v11
	s_cmp_lg_u64 vcc, 0
	s_subb_u32 s0, s0, s12
	v_subrev_co_u32_e32 v14, vcc, s15, v11
	s_cmp_lg_u64 vcc, 0
	s_subb_u32 s1, s0, 0
	v_subrev_co_u32_e32 v15, vcc, s15, v14
	s_cmp_lg_u64 vcc, 0
	s_subb_u32 s10, s1, 0
	v_readfirstlane_b32 s11, v14
	s_cmp_gt_u32 s11, 0x7ffffffe
	s_cselect_b32 s12, -1, 0
	s_cmp_eq_u32 s1, 0
	s_cselect_b32 s12, s12, -1
	s_cmp_lg_u32 s12, 0
	s_cselect_b32 s1, s10, s1
	v_readfirstlane_b32 s10, v15
	v_readfirstlane_b32 s12, v11
	s_cselect_b32 s10, s10, s11
	s_cmp_gt_u32 s12, 0x7ffffffe
	s_cselect_b32 s11, -1, 0
	s_cmp_eq_u32 s0, 0
	s_cselect_b32 s11, s11, -1
	v_lshrrev_b64 v[12:13], 1, v[4:5]
	s_cmp_lg_u32 s11, 0
	v_cmp_gt_u64_e32 vcc, 2, v[4:5]
	s_cselect_b32 s11, s1, s0
	s_cselect_b32 s10, s10, s12
	s_or_b64 s[8:9], vcc, s[8:9]
	v_pk_mov_b32 v[4:5], v[12:13], v[12:13] op_sel:[0,1]
	s_andn2_b64 exec, exec, s[8:9]
	s_cbranch_execz .LBB20_39
.LBB20_37:                              ; =>This Inner Loop Header: Depth=1
	v_and_b32_e32 v11, 1, v4
	v_cmp_eq_u32_e32 vcc, 1, v11
	s_and_saveexec_b64 s[12:13], vcc
	s_cbranch_execz .LBB20_36
; %bb.38:                               ;   in Loop: Header=BB20_37 Depth=1
	v_mul_lo_u32 v11, s11, v6
	v_mul_lo_u32 v12, s10, v7
	v_mad_u64_u32 v[6:7], s[0:1], s10, v6, 0
	s_add_u32 s0, 0x402, s17
	v_add3_u32 v7, v7, v12, v11
	s_addc_u32 s1, 0, 0
	v_add_co_u32_e32 v11, vcc, s0, v3
	s_cmp_lg_u64 vcc, 0
	v_readfirstlane_b32 s26, v11
	s_addc_u32 s0, s1, 1
	s_mul_hi_u32 s27, s26, 0x80000001
	s_mul_i32 s1, s0, 0x80000001
	s_sub_i32 s27, s27, s26
	s_add_i32 s27, s27, s1
	s_mul_i32 s29, s26, 0x80000001
	s_mul_hi_u32 s1, s26, s27
	s_mul_i32 s28, s26, s27
	s_mul_hi_u32 s26, s26, s29
	s_add_u32 s26, s26, s28
	s_addc_u32 s1, 0, s1
	s_mul_hi_u32 s30, s0, s29
	s_mul_i32 s29, s0, s29
	s_add_u32 s26, s26, s29
	s_mul_hi_u32 s28, s0, s27
	s_addc_u32 s1, s1, s30
	s_addc_u32 s26, s28, 0
	s_mul_i32 s27, s0, s27
	s_add_u32 s1, s1, s27
	s_addc_u32 s26, 0, s26
	v_add_co_u32_e32 v11, vcc, s1, v11
	s_cmp_lg_u64 vcc, 0
	s_addc_u32 s26, s0, s26
	v_mad_u64_u32 v[12:13], s[0:1], v6, s26, 0
	v_mul_hi_u32 v14, v6, v11
	v_add_co_u32_e32 v16, vcc, v14, v12
	v_addc_co_u32_e32 v17, vcc, 0, v13, vcc
	v_mad_u64_u32 v[14:15], s[0:1], v7, v11, 0
	v_add_co_u32_e32 v11, vcc, v16, v14
	v_mad_u64_u32 v[12:13], s[0:1], v7, s26, 0
	v_addc_co_u32_e32 v11, vcc, v17, v15, vcc
	v_addc_co_u32_e32 v13, vcc, 0, v13, vcc
	v_add_co_u32_e32 v11, vcc, v11, v12
	v_addc_co_u32_e32 v15, vcc, 0, v13, vcc
	v_mad_u64_u32 v[12:13], s[0:1], v11, s15, 0
	v_mov_b32_e32 v14, v13
	v_mad_u64_u32 v[14:15], s[0:1], v15, s15, v[14:15]
	v_sub_co_u32_e32 v6, vcc, v6, v12
	v_subb_co_u32_e32 v7, vcc, v7, v14, vcc
	v_subrev_co_u32_e32 v11, vcc, s15, v6
	v_subbrev_co_u32_e32 v12, vcc, 0, v7, vcc
	v_subrev_co_u32_e32 v13, vcc, s15, v11
	v_subbrev_co_u32_e32 v14, vcc, 0, v12, vcc
	v_cmp_lt_u32_e32 vcc, s16, v11
	v_cndmask_b32_e64 v15, 0, -1, vcc
	v_cmp_eq_u32_e32 vcc, 0, v12
	v_cndmask_b32_e32 v15, -1, v15, vcc
	v_cmp_ne_u32_e32 vcc, 0, v15
	v_cmp_lt_u32_e64 s[0:1], s16, v6
	v_cndmask_b32_e32 v12, v12, v14, vcc
	v_cndmask_b32_e64 v14, 0, -1, s[0:1]
	v_cmp_eq_u32_e64 s[0:1], 0, v7
	v_cndmask_b32_e64 v14, -1, v14, s[0:1]
	v_cmp_ne_u32_e64 s[0:1], 0, v14
	v_cndmask_b32_e32 v11, v11, v13, vcc
	v_cndmask_b32_e64 v7, v7, v12, s[0:1]
	v_cndmask_b32_e64 v6, v6, v11, s[0:1]
	s_branch .LBB20_36
.LBB20_39:
	s_or_b64 exec, exec, s[8:9]
	s_movk_i32 s0, 0x401
	s_add_u32 s0, 0x402, s0
	v_mov_b32_e32 v3, 0xfffff800
	s_addc_u32 s1, 0, 0
	v_add_co_u32_e32 v3, vcc, s0, v3
	s_cmp_lg_u64 vcc, 0
	v_readfirstlane_b32 s8, v3
	s_addc_u32 s0, s1, 1
	s_mul_hi_u32 s9, s8, 0x80000001
	s_mul_i32 s1, s0, 0x80000001
	s_sub_i32 s9, s9, s8
	s_add_i32 s9, s9, s1
	s_mul_i32 s11, s8, 0x80000001
	s_mul_hi_u32 s1, s8, s9
	s_mul_i32 s10, s8, s9
	s_mul_hi_u32 s8, s8, s11
	s_add_u32 s8, s8, s10
	s_addc_u32 s1, 0, s1
	s_mul_hi_u32 s12, s0, s11
	s_mul_i32 s11, s0, s11
	s_add_u32 s8, s8, s11
	s_mul_hi_u32 s10, s0, s9
	s_addc_u32 s1, s1, s12
	s_addc_u32 s8, s10, 0
	s_mul_i32 s9, s0, s9
	s_add_u32 s1, s1, s9
	s_addc_u32 s8, 0, s8
	v_add_co_u32_e32 v3, vcc, s1, v3
	s_cmp_lg_u64 vcc, 0
	s_addc_u32 s8, s0, s8
	v_mad_u64_u32 v[4:5], s[0:1], v6, s8, 0
	v_mul_hi_u32 v11, v6, v3
	v_add_co_u32_e32 v11, vcc, v11, v4
	v_addc_co_u32_e32 v14, vcc, 0, v5, vcc
	v_mad_u64_u32 v[12:13], s[0:1], v7, v3, 0
	v_add_co_u32_e32 v3, vcc, v11, v12
	v_mad_u64_u32 v[4:5], s[0:1], v7, s8, 0
	v_addc_co_u32_e32 v3, vcc, v14, v13, vcc
	v_addc_co_u32_e32 v5, vcc, 0, v5, vcc
	v_add_co_u32_e32 v3, vcc, v3, v4
	s_brev_b32 s8, -2
	v_addc_co_u32_e32 v11, vcc, 0, v5, vcc
	v_mad_u64_u32 v[4:5], s[0:1], v3, s8, 0
	v_mov_b32_e32 v12, v5
	v_mad_u64_u32 v[12:13], s[0:1], v11, s8, v[12:13]
	v_sub_co_u32_e32 v3, vcc, v6, v4
	v_subb_co_u32_e32 v4, vcc, v7, v12, vcc
	v_subrev_co_u32_e32 v5, vcc, 0x7fffffff, v3
	v_subbrev_co_u32_e32 v6, vcc, 0, v4, vcc
	s_mov_b32 s0, 0x7ffffffe
	v_cmp_lt_u32_e32 vcc, s0, v5
	v_cndmask_b32_e64 v7, 0, -1, vcc
	v_cmp_eq_u32_e32 vcc, 0, v6
	v_cndmask_b32_e32 v6, -1, v7, vcc
	v_add_u32_e32 v7, 0x80000001, v5
	v_cmp_ne_u32_e32 vcc, 0, v6
	v_cndmask_b32_e32 v5, v5, v7, vcc
	v_cmp_lt_u32_e32 vcc, s0, v3
	v_cndmask_b32_e64 v6, 0, -1, vcc
	v_cmp_eq_u32_e32 vcc, 0, v4
	v_cndmask_b32_e32 v4, -1, v6, vcc
	v_cmp_ne_u32_e32 vcc, 0, v4
	v_cndmask_b32_e32 v5, v3, v5, vcc
.LBB20_40:
	s_or_b64 exec, exec, s[2:3]
	s_movk_i32 s2, 0x1388
	v_mov_b32_e32 v11, 0
	s_mov_b32 s3, 0xbc8f1391
	s_mov_b32 s8, 0xbc8f
	s_brev_b32 s9, 12
	s_mov_b32 s10, 0xf800000
	v_mov_b32_e32 v3, 0x260
.LBB20_41:                              ; =>This Inner Loop Header: Depth=1
	v_mul_hi_u32 v4, v5, s3
	v_lshrrev_b32_e32 v4, 15, v4
	v_mul_u32_u24_e32 v7, 0xadc8, v4
	v_sub_u32_e32 v5, v5, v7
	v_mul_u32_u24_e32 v4, 0xd47, v4
	v_mul_lo_u32 v5, v5, s8
	v_xor_b32_e32 v7, 0x7fffffff, v4
	v_sub_u32_e32 v12, 0, v4
	v_cmp_lt_u32_e32 vcc, v5, v4
	v_cndmask_b32_e32 v4, v12, v7, vcc
	v_add_u32_e32 v4, v4, v5
	v_mul_hi_u32 v7, v4, s3
	v_lshrrev_b32_e32 v7, 15, v7
	v_mul_u32_u24_e32 v12, 0xadc8, v7
	v_add_u32_e32 v5, -1, v4
	v_sub_u32_e32 v4, v4, v12
	v_mul_u32_u24_e32 v7, 0xd47, v7
	v_mul_lo_u32 v4, v4, s8
	v_xor_b32_e32 v12, 0x7fffffff, v7
	v_sub_u32_e32 v13, 0, v7
	v_cmp_lt_u32_e32 vcc, v4, v7
	v_cndmask_b32_e32 v7, v13, v12, vcc
	v_add_u32_e32 v4, v7, v4
	v_mul_hi_u32 v12, v4, s3
	v_add_u32_e32 v7, -1, v4
	v_lshrrev_b32_e32 v12, 15, v12
	v_cvt_f32_u32_e32 v7, v7
	v_mul_u32_u24_e32 v13, 0xadc8, v12
	v_cvt_f32_u32_e32 v5, v5
	v_sub_u32_e32 v4, v4, v13
	v_mul_u32_u24_e32 v12, 0xd47, v12
	v_mul_lo_u32 v4, v4, s8
	v_xor_b32_e32 v13, 0x7fffffff, v12
	v_sub_u32_e32 v14, 0, v12
	v_cmp_lt_u32_e32 vcc, v4, v12
	v_fma_f32 v7, v7, s9, 0
	v_cndmask_b32_e32 v12, v14, v13, vcc
	v_fma_f32 v5, v5, s9, 0
	v_mul_f32_e32 v7, v7, v7
	v_add_u32_e32 v4, v12, v4
	v_fmac_f32_e32 v7, v5, v5
	v_mul_hi_u32 v12, v4, s3
	v_add_u32_e32 v5, -1, v4
	v_mul_f32_e32 v13, 0x4f800000, v7
	v_lshrrev_b32_e32 v12, 15, v12
	v_cmp_gt_f32_e32 vcc, s10, v7
	v_cvt_f32_u32_e32 v5, v5
	v_cndmask_b32_e32 v7, v7, v13, vcc
	v_mul_u32_u24_e32 v13, 0xadc8, v12
	v_sqrt_f32_e32 v14, v7
	v_sub_u32_e32 v4, v4, v13
	v_mul_u32_u24_e32 v12, 0xd47, v12
	v_mul_lo_u32 v4, v4, s8
	v_xor_b32_e32 v13, 0x7fffffff, v12
	v_sub_u32_e32 v15, 0, v12
	v_cmp_lt_u32_e64 s[0:1], v4, v12
	v_fma_f32 v16, v5, s9, 0
	v_cndmask_b32_e64 v5, v15, v13, s[0:1]
	v_add_u32_e32 v5, v5, v4
	v_add_u32_e32 v4, -1, v14
	v_add_u32_e32 v12, 1, v14
	v_add_u32_e32 v13, -1, v5
	v_fma_f32 v15, -v4, v14, v7
	v_fma_f32 v17, -v12, v14, v7
	v_cvt_f32_u32_e32 v13, v13
	v_cmp_ge_f32_e64 s[0:1], 0, v15
	v_cndmask_b32_e64 v4, v14, v4, s[0:1]
	v_cmp_lt_f32_e64 s[0:1], 0, v17
	v_cndmask_b32_e64 v4, v4, v12, s[0:1]
	v_mul_f32_e32 v12, 0x37800000, v4
	v_cndmask_b32_e32 v4, v4, v12, vcc
	v_fma_f32 v12, v13, s9, 0
	v_cmp_class_f32_e32 vcc, v7, v3
	v_cndmask_b32_e32 v4, v4, v7, vcc
	v_mul_f32_e32 v7, v12, v12
	v_add_f32_e32 v6, 1.0, v11
	v_cmp_nge_f32_e32 vcc, 1.0, v4
	v_fmac_f32_e32 v7, v16, v16
	v_cndmask_b32_e32 v4, v6, v11, vcc
	v_mul_f32_e32 v6, 0x4f800000, v7
	v_cmp_gt_f32_e32 vcc, s10, v7
	v_cndmask_b32_e32 v6, v7, v6, vcc
	v_sqrt_f32_e32 v7, v6
	s_add_i32 s2, s2, -2
	v_add_f32_e32 v11, 1.0, v4
	s_cmp_lg_u32 s2, 0
	v_add_u32_e32 v12, -1, v7
	v_add_u32_e32 v13, 1, v7
	v_fma_f32 v14, -v12, v7, v6
	v_fma_f32 v15, -v13, v7, v6
	v_cmp_ge_f32_e64 s[0:1], 0, v14
	v_cndmask_b32_e64 v7, v7, v12, s[0:1]
	v_cmp_lt_f32_e64 s[0:1], 0, v15
	v_cndmask_b32_e64 v7, v7, v13, s[0:1]
	v_mul_f32_e32 v12, 0x37800000, v7
	v_cndmask_b32_e32 v7, v7, v12, vcc
	v_cmp_class_f32_e32 vcc, v6, v3
	v_cndmask_b32_e32 v6, v7, v6, vcc
	v_cmp_nge_f32_e32 vcc, 1.0, v6
	v_cndmask_b32_e32 v11, v11, v4, vcc
	s_cbranch_scc1 .LBB20_41
; %bb.42:
	v_add_u32_e32 v4, 0x30d400, v2
	v_cmp_ne_u32_e32 vcc, 0, v4
	v_mov_b32_e32 v5, 1
	s_and_saveexec_b64 s[2:3], vcc
	s_cbranch_execz .LBB20_48
; %bb.43:
	v_mov_b32_e32 v6, 1
	v_mov_b32_e32 v5, 0
	s_mov_b64 s[10:11], 0xbc8f
	s_mov_b64 s[8:9], 0
	v_mov_b32_e32 v7, 0
	s_brev_b32 s15, -2
	s_mov_b32 s16, 0x7ffffffe
	v_mov_b32_e32 v3, 0xfffff800
	s_movk_i32 s17, 0x401
	s_branch .LBB20_45
.LBB20_44:                              ;   in Loop: Header=BB20_45 Depth=1
	s_or_b64 exec, exec, s[12:13]
	s_mul_i32 s0, s10, s11
	s_mul_hi_u32 s1, s10, s10
	s_add_i32 s1, s1, s0
	s_add_i32 s0, s1, s0
	s_mul_i32 s1, s10, s10
	s_add_u32 s10, 0x402, s17
	s_addc_u32 s11, 0, 0
	v_add_co_u32_e32 v14, vcc, s10, v3
	s_cmp_lg_u64 vcc, 0
	v_readfirstlane_b32 s12, v14
	s_addc_u32 s10, s11, 1
	s_mul_hi_u32 s13, s12, 0x80000001
	s_mul_i32 s11, s10, 0x80000001
	s_sub_i32 s13, s13, s12
	s_add_i32 s13, s13, s11
	s_mul_i32 s27, s12, 0x80000001
	s_mul_hi_u32 s11, s12, s13
	s_mul_i32 s26, s12, s13
	s_mul_hi_u32 s12, s12, s27
	s_add_u32 s12, s12, s26
	s_addc_u32 s11, 0, s11
	s_mul_hi_u32 s28, s10, s27
	s_mul_i32 s27, s10, s27
	s_add_u32 s12, s12, s27
	s_mul_hi_u32 s26, s10, s13
	s_addc_u32 s11, s11, s28
	s_addc_u32 s12, s26, 0
	s_mul_i32 s13, s10, s13
	s_add_u32 s11, s11, s13
	s_addc_u32 s12, 0, s12
	v_add_co_u32_e32 v14, vcc, s11, v14
	s_cmp_lg_u64 vcc, 0
	s_addc_u32 s10, s10, s12
	v_readfirstlane_b32 s13, v14
	s_mul_i32 s12, s1, s10
	s_mul_hi_u32 s26, s1, s13
	s_mul_hi_u32 s11, s1, s10
	s_add_u32 s12, s26, s12
	s_addc_u32 s11, 0, s11
	s_mul_hi_u32 s27, s0, s13
	s_mul_i32 s13, s0, s13
	s_add_u32 s12, s12, s13
	s_mul_hi_u32 s26, s0, s10
	s_addc_u32 s11, s11, s27
	s_addc_u32 s12, s26, 0
	s_mul_i32 s10, s0, s10
	s_add_u32 s10, s11, s10
	s_addc_u32 s11, 0, s12
	s_mul_hi_u32 s12, s10, 0x7fffffff
	s_mul_i32 s10, s10, 0x7fffffff
	s_mul_i32 s11, s11, 0x7fffffff
	v_mov_b32_e32 v14, s10
	s_add_i32 s12, s12, s11
	v_sub_co_u32_e32 v14, vcc, s1, v14
	s_cmp_lg_u64 vcc, 0
	s_subb_u32 s0, s0, s12
	v_subrev_co_u32_e32 v15, vcc, s15, v14
	s_cmp_lg_u64 vcc, 0
	s_subb_u32 s1, s0, 0
	v_subrev_co_u32_e32 v16, vcc, s15, v15
	s_cmp_lg_u64 vcc, 0
	s_subb_u32 s10, s1, 0
	v_readfirstlane_b32 s11, v15
	s_cmp_gt_u32 s11, 0x7ffffffe
	s_cselect_b32 s12, -1, 0
	s_cmp_eq_u32 s1, 0
	s_cselect_b32 s12, s12, -1
	s_cmp_lg_u32 s12, 0
	s_cselect_b32 s1, s10, s1
	v_readfirstlane_b32 s10, v16
	v_readfirstlane_b32 s12, v14
	s_cselect_b32 s10, s10, s11
	s_cmp_gt_u32 s12, 0x7ffffffe
	s_cselect_b32 s11, -1, 0
	s_cmp_eq_u32 s0, 0
	s_cselect_b32 s11, s11, -1
	v_lshrrev_b64 v[12:13], 1, v[4:5]
	s_cmp_lg_u32 s11, 0
	v_cmp_gt_u64_e32 vcc, 2, v[4:5]
	s_cselect_b32 s11, s1, s0
	s_cselect_b32 s10, s10, s12
	s_or_b64 s[8:9], vcc, s[8:9]
	v_pk_mov_b32 v[4:5], v[12:13], v[12:13] op_sel:[0,1]
	s_andn2_b64 exec, exec, s[8:9]
	s_cbranch_execz .LBB20_47
.LBB20_45:                              ; =>This Inner Loop Header: Depth=1
	v_and_b32_e32 v12, 1, v4
	v_cmp_eq_u32_e32 vcc, 1, v12
	s_and_saveexec_b64 s[12:13], vcc
	s_cbranch_execz .LBB20_44
; %bb.46:                               ;   in Loop: Header=BB20_45 Depth=1
	v_mul_lo_u32 v12, s11, v6
	v_mul_lo_u32 v13, s10, v7
	v_mad_u64_u32 v[6:7], s[0:1], s10, v6, 0
	s_add_u32 s0, 0x402, s17
	v_add3_u32 v7, v7, v13, v12
	s_addc_u32 s1, 0, 0
	v_add_co_u32_e32 v12, vcc, s0, v3
	s_cmp_lg_u64 vcc, 0
	v_readfirstlane_b32 s26, v12
	s_addc_u32 s0, s1, 1
	s_mul_hi_u32 s27, s26, 0x80000001
	s_mul_i32 s1, s0, 0x80000001
	s_sub_i32 s27, s27, s26
	s_add_i32 s27, s27, s1
	s_mul_i32 s29, s26, 0x80000001
	s_mul_hi_u32 s1, s26, s27
	s_mul_i32 s28, s26, s27
	s_mul_hi_u32 s26, s26, s29
	s_add_u32 s26, s26, s28
	s_addc_u32 s1, 0, s1
	s_mul_hi_u32 s30, s0, s29
	s_mul_i32 s29, s0, s29
	s_add_u32 s26, s26, s29
	s_mul_hi_u32 s28, s0, s27
	s_addc_u32 s1, s1, s30
	s_addc_u32 s26, s28, 0
	s_mul_i32 s27, s0, s27
	s_add_u32 s1, s1, s27
	s_addc_u32 s26, 0, s26
	v_add_co_u32_e32 v14, vcc, s1, v12
	s_cmp_lg_u64 vcc, 0
	s_addc_u32 s26, s0, s26
	v_mad_u64_u32 v[12:13], s[0:1], v6, s26, 0
	v_mul_hi_u32 v15, v6, v14
	v_add_co_u32_e32 v16, vcc, v15, v12
	v_addc_co_u32_e32 v17, vcc, 0, v13, vcc
	v_mad_u64_u32 v[14:15], s[0:1], v7, v14, 0
	v_add_co_u32_e32 v14, vcc, v16, v14
	v_mad_u64_u32 v[12:13], s[0:1], v7, s26, 0
	v_addc_co_u32_e32 v14, vcc, v17, v15, vcc
	v_addc_co_u32_e32 v13, vcc, 0, v13, vcc
	v_add_co_u32_e32 v12, vcc, v14, v12
	v_addc_co_u32_e32 v15, vcc, 0, v13, vcc
	v_mad_u64_u32 v[12:13], s[0:1], v12, s15, 0
	v_mov_b32_e32 v14, v13
	v_mad_u64_u32 v[14:15], s[0:1], v15, s15, v[14:15]
	v_sub_co_u32_e32 v6, vcc, v6, v12
	v_subb_co_u32_e32 v7, vcc, v7, v14, vcc
	v_subrev_co_u32_e32 v12, vcc, s15, v6
	v_subbrev_co_u32_e32 v13, vcc, 0, v7, vcc
	v_subrev_co_u32_e32 v14, vcc, s15, v12
	v_subbrev_co_u32_e32 v15, vcc, 0, v13, vcc
	v_cmp_lt_u32_e32 vcc, s16, v12
	v_cndmask_b32_e64 v16, 0, -1, vcc
	v_cmp_eq_u32_e32 vcc, 0, v13
	v_cndmask_b32_e32 v16, -1, v16, vcc
	v_cmp_ne_u32_e32 vcc, 0, v16
	v_cmp_lt_u32_e64 s[0:1], s16, v6
	v_cndmask_b32_e32 v13, v13, v15, vcc
	v_cndmask_b32_e64 v15, 0, -1, s[0:1]
	v_cmp_eq_u32_e64 s[0:1], 0, v7
	v_cndmask_b32_e64 v15, -1, v15, s[0:1]
	v_cmp_ne_u32_e64 s[0:1], 0, v15
	v_cndmask_b32_e32 v12, v12, v14, vcc
	v_cndmask_b32_e64 v7, v7, v13, s[0:1]
	v_cndmask_b32_e64 v6, v6, v12, s[0:1]
	s_branch .LBB20_44
.LBB20_47:
	s_or_b64 exec, exec, s[8:9]
	s_movk_i32 s0, 0x401
	s_add_u32 s0, 0x402, s0
	v_mov_b32_e32 v3, 0xfffff800
	s_addc_u32 s1, 0, 0
	v_add_co_u32_e32 v3, vcc, s0, v3
	s_cmp_lg_u64 vcc, 0
	v_readfirstlane_b32 s8, v3
	s_addc_u32 s0, s1, 1
	s_mul_hi_u32 s9, s8, 0x80000001
	s_mul_i32 s1, s0, 0x80000001
	s_sub_i32 s9, s9, s8
	s_add_i32 s9, s9, s1
	s_mul_i32 s11, s8, 0x80000001
	s_mul_hi_u32 s1, s8, s9
	s_mul_i32 s10, s8, s9
	s_mul_hi_u32 s8, s8, s11
	s_add_u32 s8, s8, s10
	s_addc_u32 s1, 0, s1
	s_mul_hi_u32 s12, s0, s11
	s_mul_i32 s11, s0, s11
	s_add_u32 s8, s8, s11
	s_mul_hi_u32 s10, s0, s9
	s_addc_u32 s1, s1, s12
	s_addc_u32 s8, s10, 0
	s_mul_i32 s9, s0, s9
	s_add_u32 s1, s1, s9
	s_addc_u32 s8, 0, s8
	v_add_co_u32_e32 v3, vcc, s1, v3
	s_cmp_lg_u64 vcc, 0
	s_addc_u32 s8, s0, s8
	v_mad_u64_u32 v[4:5], s[0:1], v6, s8, 0
	v_mul_hi_u32 v12, v6, v3
	v_add_co_u32_e32 v14, vcc, v12, v4
	v_addc_co_u32_e32 v15, vcc, 0, v5, vcc
	v_mad_u64_u32 v[12:13], s[0:1], v7, v3, 0
	v_add_co_u32_e32 v3, vcc, v14, v12
	v_mad_u64_u32 v[4:5], s[0:1], v7, s8, 0
	v_addc_co_u32_e32 v3, vcc, v15, v13, vcc
	v_addc_co_u32_e32 v5, vcc, 0, v5, vcc
	v_add_co_u32_e32 v3, vcc, v3, v4
	s_brev_b32 s8, -2
	v_addc_co_u32_e32 v13, vcc, 0, v5, vcc
	v_mad_u64_u32 v[4:5], s[0:1], v3, s8, 0
	v_mov_b32_e32 v12, v5
	v_mad_u64_u32 v[12:13], s[0:1], v13, s8, v[12:13]
	v_sub_co_u32_e32 v3, vcc, v6, v4
	v_subb_co_u32_e32 v4, vcc, v7, v12, vcc
	v_subrev_co_u32_e32 v5, vcc, 0x7fffffff, v3
	v_subbrev_co_u32_e32 v6, vcc, 0, v4, vcc
	s_mov_b32 s0, 0x7ffffffe
	v_cmp_lt_u32_e32 vcc, s0, v5
	v_cndmask_b32_e64 v7, 0, -1, vcc
	v_cmp_eq_u32_e32 vcc, 0, v6
	v_cndmask_b32_e32 v6, -1, v7, vcc
	v_add_u32_e32 v7, 0x80000001, v5
	v_cmp_ne_u32_e32 vcc, 0, v6
	v_cndmask_b32_e32 v5, v5, v7, vcc
	v_cmp_lt_u32_e32 vcc, s0, v3
	v_cndmask_b32_e64 v6, 0, -1, vcc
	v_cmp_eq_u32_e32 vcc, 0, v4
	v_cndmask_b32_e32 v4, -1, v6, vcc
	v_cmp_ne_u32_e32 vcc, 0, v4
	v_cndmask_b32_e32 v5, v3, v5, vcc
.LBB20_48:
	s_or_b64 exec, exec, s[2:3]
	s_movk_i32 s2, 0x1388
	v_mov_b32_e32 v12, 0
	s_mov_b32 s3, 0xbc8f1391
	s_mov_b32 s8, 0xbc8f
	s_brev_b32 s9, 12
	s_mov_b32 s10, 0xf800000
	v_mov_b32_e32 v3, 0x260
.LBB20_49:                              ; =>This Inner Loop Header: Depth=1
	v_mul_hi_u32 v4, v5, s3
	v_lshrrev_b32_e32 v4, 15, v4
	v_mul_u32_u24_e32 v7, 0xadc8, v4
	v_sub_u32_e32 v5, v5, v7
	v_mul_u32_u24_e32 v4, 0xd47, v4
	v_mul_lo_u32 v5, v5, s8
	v_xor_b32_e32 v7, 0x7fffffff, v4
	v_sub_u32_e32 v13, 0, v4
	v_cmp_lt_u32_e32 vcc, v5, v4
	v_cndmask_b32_e32 v4, v13, v7, vcc
	v_add_u32_e32 v4, v4, v5
	v_mul_hi_u32 v7, v4, s3
	v_lshrrev_b32_e32 v7, 15, v7
	v_mul_u32_u24_e32 v13, 0xadc8, v7
	v_add_u32_e32 v5, -1, v4
	v_sub_u32_e32 v4, v4, v13
	v_mul_u32_u24_e32 v7, 0xd47, v7
	v_mul_lo_u32 v4, v4, s8
	v_xor_b32_e32 v13, 0x7fffffff, v7
	v_sub_u32_e32 v14, 0, v7
	v_cmp_lt_u32_e32 vcc, v4, v7
	v_cndmask_b32_e32 v7, v14, v13, vcc
	v_add_u32_e32 v4, v7, v4
	v_mul_hi_u32 v13, v4, s3
	v_add_u32_e32 v7, -1, v4
	v_lshrrev_b32_e32 v13, 15, v13
	v_cvt_f32_u32_e32 v7, v7
	v_mul_u32_u24_e32 v14, 0xadc8, v13
	v_cvt_f32_u32_e32 v5, v5
	v_sub_u32_e32 v4, v4, v14
	v_mul_u32_u24_e32 v13, 0xd47, v13
	v_mul_lo_u32 v4, v4, s8
	v_xor_b32_e32 v14, 0x7fffffff, v13
	v_sub_u32_e32 v15, 0, v13
	v_cmp_lt_u32_e32 vcc, v4, v13
	v_fma_f32 v7, v7, s9, 0
	v_cndmask_b32_e32 v13, v15, v14, vcc
	v_fma_f32 v5, v5, s9, 0
	v_mul_f32_e32 v7, v7, v7
	v_add_u32_e32 v4, v13, v4
	v_fmac_f32_e32 v7, v5, v5
	v_mul_hi_u32 v13, v4, s3
	v_add_u32_e32 v5, -1, v4
	v_mul_f32_e32 v14, 0x4f800000, v7
	v_lshrrev_b32_e32 v13, 15, v13
	v_cmp_gt_f32_e32 vcc, s10, v7
	v_cvt_f32_u32_e32 v5, v5
	v_cndmask_b32_e32 v7, v7, v14, vcc
	v_mul_u32_u24_e32 v14, 0xadc8, v13
	v_sqrt_f32_e32 v15, v7
	v_sub_u32_e32 v4, v4, v14
	v_mul_u32_u24_e32 v13, 0xd47, v13
	v_mul_lo_u32 v4, v4, s8
	v_xor_b32_e32 v14, 0x7fffffff, v13
	v_sub_u32_e32 v16, 0, v13
	v_cmp_lt_u32_e64 s[0:1], v4, v13
	v_fma_f32 v17, v5, s9, 0
	v_cndmask_b32_e64 v5, v16, v14, s[0:1]
	v_add_u32_e32 v5, v5, v4
	v_add_u32_e32 v4, -1, v15
	v_add_u32_e32 v13, 1, v15
	v_add_u32_e32 v14, -1, v5
	v_fma_f32 v16, -v4, v15, v7
	v_fma_f32 v18, -v13, v15, v7
	v_cvt_f32_u32_e32 v14, v14
	v_cmp_ge_f32_e64 s[0:1], 0, v16
	v_cndmask_b32_e64 v4, v15, v4, s[0:1]
	v_cmp_lt_f32_e64 s[0:1], 0, v18
	v_cndmask_b32_e64 v4, v4, v13, s[0:1]
	v_mul_f32_e32 v13, 0x37800000, v4
	v_cndmask_b32_e32 v4, v4, v13, vcc
	v_fma_f32 v13, v14, s9, 0
	v_cmp_class_f32_e32 vcc, v7, v3
	v_cndmask_b32_e32 v4, v4, v7, vcc
	v_mul_f32_e32 v7, v13, v13
	v_add_f32_e32 v6, 1.0, v12
	v_cmp_nge_f32_e32 vcc, 1.0, v4
	v_fmac_f32_e32 v7, v17, v17
	v_cndmask_b32_e32 v4, v6, v12, vcc
	v_mul_f32_e32 v6, 0x4f800000, v7
	v_cmp_gt_f32_e32 vcc, s10, v7
	v_cndmask_b32_e32 v6, v7, v6, vcc
	v_sqrt_f32_e32 v7, v6
	s_add_i32 s2, s2, -2
	v_add_f32_e32 v12, 1.0, v4
	s_cmp_lg_u32 s2, 0
	v_add_u32_e32 v13, -1, v7
	v_add_u32_e32 v14, 1, v7
	v_fma_f32 v15, -v13, v7, v6
	v_fma_f32 v16, -v14, v7, v6
	v_cmp_ge_f32_e64 s[0:1], 0, v15
	v_cndmask_b32_e64 v7, v7, v13, s[0:1]
	v_cmp_lt_f32_e64 s[0:1], 0, v16
	v_cndmask_b32_e64 v7, v7, v14, s[0:1]
	v_mul_f32_e32 v13, 0x37800000, v7
	v_cndmask_b32_e32 v7, v7, v13, vcc
	v_cmp_class_f32_e32 vcc, v6, v3
	v_cndmask_b32_e32 v6, v7, v6, vcc
	v_cmp_nge_f32_e32 vcc, 1.0, v6
	v_cndmask_b32_e32 v12, v12, v4, vcc
	s_cbranch_scc1 .LBB20_49
; %bb.50:
	v_add_u32_e32 v4, 0x3a9800, v2
	v_cmp_ne_u32_e32 vcc, 0, v4
	v_mov_b32_e32 v5, 1
	s_and_saveexec_b64 s[2:3], vcc
	s_cbranch_execz .LBB20_56
; %bb.51:
	v_mov_b32_e32 v6, 1
	v_mov_b32_e32 v5, 0
	s_mov_b64 s[10:11], 0xbc8f
	s_mov_b64 s[8:9], 0
	v_mov_b32_e32 v7, 0
	s_brev_b32 s15, -2
	s_mov_b32 s16, 0x7ffffffe
	v_mov_b32_e32 v3, 0xfffff800
	s_movk_i32 s17, 0x401
	s_branch .LBB20_53
.LBB20_52:                              ;   in Loop: Header=BB20_53 Depth=1
	s_or_b64 exec, exec, s[12:13]
	s_mul_i32 s0, s10, s11
	s_mul_hi_u32 s1, s10, s10
	s_add_i32 s1, s1, s0
	s_add_i32 s0, s1, s0
	s_mul_i32 s1, s10, s10
	s_add_u32 s10, 0x402, s17
	s_addc_u32 s11, 0, 0
	v_add_co_u32_e32 v13, vcc, s10, v3
	s_cmp_lg_u64 vcc, 0
	v_readfirstlane_b32 s12, v13
	s_addc_u32 s10, s11, 1
	s_mul_hi_u32 s13, s12, 0x80000001
	s_mul_i32 s11, s10, 0x80000001
	s_sub_i32 s13, s13, s12
	s_add_i32 s13, s13, s11
	s_mul_i32 s27, s12, 0x80000001
	s_mul_hi_u32 s11, s12, s13
	s_mul_i32 s26, s12, s13
	s_mul_hi_u32 s12, s12, s27
	s_add_u32 s12, s12, s26
	s_addc_u32 s11, 0, s11
	s_mul_hi_u32 s28, s10, s27
	s_mul_i32 s27, s10, s27
	s_add_u32 s12, s12, s27
	s_mul_hi_u32 s26, s10, s13
	s_addc_u32 s11, s11, s28
	s_addc_u32 s12, s26, 0
	s_mul_i32 s13, s10, s13
	s_add_u32 s11, s11, s13
	s_addc_u32 s12, 0, s12
	v_add_co_u32_e32 v13, vcc, s11, v13
	s_cmp_lg_u64 vcc, 0
	s_addc_u32 s10, s10, s12
	v_readfirstlane_b32 s13, v13
	s_mul_i32 s12, s1, s10
	s_mul_hi_u32 s26, s1, s13
	s_mul_hi_u32 s11, s1, s10
	s_add_u32 s12, s26, s12
	s_addc_u32 s11, 0, s11
	s_mul_hi_u32 s27, s0, s13
	s_mul_i32 s13, s0, s13
	s_add_u32 s12, s12, s13
	s_mul_hi_u32 s26, s0, s10
	s_addc_u32 s11, s11, s27
	s_addc_u32 s12, s26, 0
	s_mul_i32 s10, s0, s10
	s_add_u32 s10, s11, s10
	s_addc_u32 s11, 0, s12
	s_mul_hi_u32 s12, s10, 0x7fffffff
	s_mul_i32 s10, s10, 0x7fffffff
	s_mul_i32 s11, s11, 0x7fffffff
	v_mov_b32_e32 v13, s10
	s_add_i32 s12, s12, s11
	v_sub_co_u32_e32 v13, vcc, s1, v13
	s_cmp_lg_u64 vcc, 0
	s_subb_u32 s0, s0, s12
	v_subrev_co_u32_e32 v16, vcc, s15, v13
	s_cmp_lg_u64 vcc, 0
	s_subb_u32 s1, s0, 0
	v_subrev_co_u32_e32 v17, vcc, s15, v16
	s_cmp_lg_u64 vcc, 0
	s_subb_u32 s10, s1, 0
	v_readfirstlane_b32 s11, v16
	s_cmp_gt_u32 s11, 0x7ffffffe
	s_cselect_b32 s12, -1, 0
	s_cmp_eq_u32 s1, 0
	s_cselect_b32 s12, s12, -1
	s_cmp_lg_u32 s12, 0
	s_cselect_b32 s1, s10, s1
	v_readfirstlane_b32 s10, v17
	v_readfirstlane_b32 s12, v13
	s_cselect_b32 s10, s10, s11
	s_cmp_gt_u32 s12, 0x7ffffffe
	s_cselect_b32 s11, -1, 0
	s_cmp_eq_u32 s0, 0
	s_cselect_b32 s11, s11, -1
	v_lshrrev_b64 v[14:15], 1, v[4:5]
	s_cmp_lg_u32 s11, 0
	v_cmp_gt_u64_e32 vcc, 2, v[4:5]
	s_cselect_b32 s11, s1, s0
	s_cselect_b32 s10, s10, s12
	s_or_b64 s[8:9], vcc, s[8:9]
	v_pk_mov_b32 v[4:5], v[14:15], v[14:15] op_sel:[0,1]
	s_andn2_b64 exec, exec, s[8:9]
	s_cbranch_execz .LBB20_55
.LBB20_53:                              ; =>This Inner Loop Header: Depth=1
	v_and_b32_e32 v13, 1, v4
	v_cmp_eq_u32_e32 vcc, 1, v13
	s_and_saveexec_b64 s[12:13], vcc
	s_cbranch_execz .LBB20_52
; %bb.54:                               ;   in Loop: Header=BB20_53 Depth=1
	v_mul_lo_u32 v13, s11, v6
	v_mul_lo_u32 v14, s10, v7
	v_mad_u64_u32 v[6:7], s[0:1], s10, v6, 0
	s_add_u32 s0, 0x402, s17
	v_add3_u32 v7, v7, v14, v13
	s_addc_u32 s1, 0, 0
	v_add_co_u32_e32 v13, vcc, s0, v3
	s_cmp_lg_u64 vcc, 0
	v_readfirstlane_b32 s26, v13
	s_addc_u32 s0, s1, 1
	s_mul_hi_u32 s27, s26, 0x80000001
	s_mul_i32 s1, s0, 0x80000001
	s_sub_i32 s27, s27, s26
	s_add_i32 s27, s27, s1
	s_mul_i32 s29, s26, 0x80000001
	s_mul_hi_u32 s1, s26, s27
	s_mul_i32 s28, s26, s27
	s_mul_hi_u32 s26, s26, s29
	s_add_u32 s26, s26, s28
	s_addc_u32 s1, 0, s1
	s_mul_hi_u32 s30, s0, s29
	s_mul_i32 s29, s0, s29
	s_add_u32 s26, s26, s29
	s_mul_hi_u32 s28, s0, s27
	s_addc_u32 s1, s1, s30
	s_addc_u32 s26, s28, 0
	s_mul_i32 s27, s0, s27
	s_add_u32 s1, s1, s27
	s_addc_u32 s26, 0, s26
	v_add_co_u32_e32 v13, vcc, s1, v13
	s_cmp_lg_u64 vcc, 0
	s_addc_u32 s26, s0, s26
	v_mad_u64_u32 v[14:15], s[0:1], v6, s26, 0
	v_mul_hi_u32 v16, v6, v13
	v_add_co_u32_e32 v18, vcc, v16, v14
	v_addc_co_u32_e32 v19, vcc, 0, v15, vcc
	v_mad_u64_u32 v[16:17], s[0:1], v7, v13, 0
	v_add_co_u32_e32 v13, vcc, v18, v16
	v_mad_u64_u32 v[14:15], s[0:1], v7, s26, 0
	v_addc_co_u32_e32 v13, vcc, v19, v17, vcc
	v_addc_co_u32_e32 v15, vcc, 0, v15, vcc
	v_add_co_u32_e32 v13, vcc, v13, v14
	v_addc_co_u32_e32 v17, vcc, 0, v15, vcc
	v_mad_u64_u32 v[14:15], s[0:1], v13, s15, 0
	v_mov_b32_e32 v16, v15
	v_mad_u64_u32 v[16:17], s[0:1], v17, s15, v[16:17]
	v_sub_co_u32_e32 v6, vcc, v6, v14
	v_subb_co_u32_e32 v7, vcc, v7, v16, vcc
	v_subrev_co_u32_e32 v13, vcc, s15, v6
	v_subbrev_co_u32_e32 v14, vcc, 0, v7, vcc
	v_subrev_co_u32_e32 v15, vcc, s15, v13
	v_subbrev_co_u32_e32 v16, vcc, 0, v14, vcc
	v_cmp_lt_u32_e32 vcc, s16, v13
	v_cndmask_b32_e64 v17, 0, -1, vcc
	v_cmp_eq_u32_e32 vcc, 0, v14
	v_cndmask_b32_e32 v17, -1, v17, vcc
	v_cmp_ne_u32_e32 vcc, 0, v17
	v_cmp_lt_u32_e64 s[0:1], s16, v6
	v_cndmask_b32_e32 v14, v14, v16, vcc
	v_cndmask_b32_e64 v16, 0, -1, s[0:1]
	v_cmp_eq_u32_e64 s[0:1], 0, v7
	v_cndmask_b32_e64 v16, -1, v16, s[0:1]
	v_cmp_ne_u32_e64 s[0:1], 0, v16
	v_cndmask_b32_e32 v13, v13, v15, vcc
	v_cndmask_b32_e64 v7, v7, v14, s[0:1]
	v_cndmask_b32_e64 v6, v6, v13, s[0:1]
	s_branch .LBB20_52
.LBB20_55:
	s_or_b64 exec, exec, s[8:9]
	s_movk_i32 s0, 0x401
	s_add_u32 s0, 0x402, s0
	v_mov_b32_e32 v3, 0xfffff800
	s_addc_u32 s1, 0, 0
	v_add_co_u32_e32 v3, vcc, s0, v3
	s_cmp_lg_u64 vcc, 0
	v_readfirstlane_b32 s8, v3
	s_addc_u32 s0, s1, 1
	s_mul_hi_u32 s9, s8, 0x80000001
	s_mul_i32 s1, s0, 0x80000001
	s_sub_i32 s9, s9, s8
	s_add_i32 s9, s9, s1
	s_mul_i32 s11, s8, 0x80000001
	s_mul_hi_u32 s1, s8, s9
	s_mul_i32 s10, s8, s9
	s_mul_hi_u32 s8, s8, s11
	s_add_u32 s8, s8, s10
	s_addc_u32 s1, 0, s1
	s_mul_hi_u32 s12, s0, s11
	s_mul_i32 s11, s0, s11
	s_add_u32 s8, s8, s11
	s_mul_hi_u32 s10, s0, s9
	s_addc_u32 s1, s1, s12
	s_addc_u32 s8, s10, 0
	s_mul_i32 s9, s0, s9
	s_add_u32 s1, s1, s9
	s_addc_u32 s8, 0, s8
	v_add_co_u32_e32 v3, vcc, s1, v3
	s_cmp_lg_u64 vcc, 0
	s_addc_u32 s8, s0, s8
	v_mad_u64_u32 v[4:5], s[0:1], v6, s8, 0
	v_mul_hi_u32 v13, v6, v3
	v_add_co_u32_e32 v13, vcc, v13, v4
	v_addc_co_u32_e32 v16, vcc, 0, v5, vcc
	v_mad_u64_u32 v[14:15], s[0:1], v7, v3, 0
	v_add_co_u32_e32 v3, vcc, v13, v14
	v_mad_u64_u32 v[4:5], s[0:1], v7, s8, 0
	v_addc_co_u32_e32 v3, vcc, v16, v15, vcc
	v_addc_co_u32_e32 v5, vcc, 0, v5, vcc
	v_add_co_u32_e32 v3, vcc, v3, v4
	s_brev_b32 s8, -2
	v_addc_co_u32_e32 v13, vcc, 0, v5, vcc
	v_mad_u64_u32 v[4:5], s[0:1], v3, s8, 0
	v_mov_b32_e32 v14, v5
	v_mad_u64_u32 v[14:15], s[0:1], v13, s8, v[14:15]
	v_sub_co_u32_e32 v3, vcc, v6, v4
	v_subb_co_u32_e32 v4, vcc, v7, v14, vcc
	v_subrev_co_u32_e32 v5, vcc, 0x7fffffff, v3
	v_subbrev_co_u32_e32 v6, vcc, 0, v4, vcc
	s_mov_b32 s0, 0x7ffffffe
	v_cmp_lt_u32_e32 vcc, s0, v5
	v_cndmask_b32_e64 v7, 0, -1, vcc
	v_cmp_eq_u32_e32 vcc, 0, v6
	v_cndmask_b32_e32 v6, -1, v7, vcc
	v_add_u32_e32 v7, 0x80000001, v5
	v_cmp_ne_u32_e32 vcc, 0, v6
	v_cndmask_b32_e32 v5, v5, v7, vcc
	v_cmp_lt_u32_e32 vcc, s0, v3
	v_cndmask_b32_e64 v6, 0, -1, vcc
	v_cmp_eq_u32_e32 vcc, 0, v4
	v_cndmask_b32_e32 v4, -1, v6, vcc
	v_cmp_ne_u32_e32 vcc, 0, v4
	v_cndmask_b32_e32 v5, v3, v5, vcc
.LBB20_56:
	s_or_b64 exec, exec, s[2:3]
	s_movk_i32 s2, 0x1388
	v_mov_b32_e32 v6, 0
	s_mov_b32 s3, 0xbc8f1391
	s_mov_b32 s8, 0xbc8f
	s_brev_b32 s9, 12
	s_mov_b32 s10, 0xf800000
	v_mov_b32_e32 v3, 0x260
.LBB20_57:                              ; =>This Inner Loop Header: Depth=1
	v_mul_hi_u32 v4, v5, s3
	v_lshrrev_b32_e32 v4, 15, v4
	v_mul_u32_u24_e32 v13, 0xadc8, v4
	v_sub_u32_e32 v5, v5, v13
	v_mul_u32_u24_e32 v4, 0xd47, v4
	v_mul_lo_u32 v5, v5, s8
	v_xor_b32_e32 v13, 0x7fffffff, v4
	v_sub_u32_e32 v14, 0, v4
	v_cmp_lt_u32_e32 vcc, v5, v4
	v_cndmask_b32_e32 v4, v14, v13, vcc
	v_add_u32_e32 v4, v4, v5
	v_mul_hi_u32 v13, v4, s3
	v_lshrrev_b32_e32 v13, 15, v13
	v_mul_u32_u24_e32 v14, 0xadc8, v13
	v_add_u32_e32 v5, -1, v4
	v_sub_u32_e32 v4, v4, v14
	v_mul_u32_u24_e32 v13, 0xd47, v13
	v_mul_lo_u32 v4, v4, s8
	v_xor_b32_e32 v14, 0x7fffffff, v13
	v_sub_u32_e32 v15, 0, v13
	v_cmp_lt_u32_e32 vcc, v4, v13
	v_cndmask_b32_e32 v13, v15, v14, vcc
	v_add_u32_e32 v4, v13, v4
	v_mul_hi_u32 v14, v4, s3
	v_add_u32_e32 v13, -1, v4
	v_lshrrev_b32_e32 v14, 15, v14
	v_cvt_f32_u32_e32 v13, v13
	v_mul_u32_u24_e32 v15, 0xadc8, v14
	v_cvt_f32_u32_e32 v5, v5
	v_sub_u32_e32 v4, v4, v15
	v_mul_u32_u24_e32 v14, 0xd47, v14
	v_mul_lo_u32 v4, v4, s8
	v_xor_b32_e32 v15, 0x7fffffff, v14
	v_sub_u32_e32 v16, 0, v14
	v_cmp_lt_u32_e32 vcc, v4, v14
	v_fma_f32 v13, v13, s9, 0
	v_cndmask_b32_e32 v14, v16, v15, vcc
	v_fma_f32 v5, v5, s9, 0
	v_mul_f32_e32 v13, v13, v13
	v_add_u32_e32 v4, v14, v4
	v_fmac_f32_e32 v13, v5, v5
	v_mul_hi_u32 v14, v4, s3
	v_add_u32_e32 v5, -1, v4
	v_mul_f32_e32 v15, 0x4f800000, v13
	v_lshrrev_b32_e32 v14, 15, v14
	v_cmp_gt_f32_e32 vcc, s10, v13
	v_cvt_f32_u32_e32 v5, v5
	v_cndmask_b32_e32 v13, v13, v15, vcc
	v_mul_u32_u24_e32 v15, 0xadc8, v14
	v_sqrt_f32_e32 v16, v13
	v_sub_u32_e32 v4, v4, v15
	v_mul_u32_u24_e32 v14, 0xd47, v14
	v_mul_lo_u32 v4, v4, s8
	v_xor_b32_e32 v15, 0x7fffffff, v14
	v_sub_u32_e32 v17, 0, v14
	v_cmp_lt_u32_e64 s[0:1], v4, v14
	v_fma_f32 v18, v5, s9, 0
	v_cndmask_b32_e64 v5, v17, v15, s[0:1]
	v_add_u32_e32 v5, v5, v4
	v_add_u32_e32 v4, -1, v16
	v_add_u32_e32 v14, 1, v16
	v_add_u32_e32 v15, -1, v5
	v_fma_f32 v17, -v4, v16, v13
	v_fma_f32 v19, -v14, v16, v13
	v_cvt_f32_u32_e32 v15, v15
	v_cmp_ge_f32_e64 s[0:1], 0, v17
	v_cndmask_b32_e64 v4, v16, v4, s[0:1]
	v_cmp_lt_f32_e64 s[0:1], 0, v19
	v_cndmask_b32_e64 v4, v4, v14, s[0:1]
	v_mul_f32_e32 v14, 0x37800000, v4
	v_cndmask_b32_e32 v4, v4, v14, vcc
	v_fma_f32 v14, v15, s9, 0
	v_cmp_class_f32_e32 vcc, v13, v3
	v_cndmask_b32_e32 v4, v4, v13, vcc
	v_mul_f32_e32 v13, v14, v14
	v_add_f32_e32 v7, 1.0, v6
	v_cmp_nge_f32_e32 vcc, 1.0, v4
	v_fmac_f32_e32 v13, v18, v18
	v_cndmask_b32_e32 v4, v7, v6, vcc
	v_mul_f32_e32 v6, 0x4f800000, v13
	v_cmp_gt_f32_e32 vcc, s10, v13
	v_cndmask_b32_e32 v6, v13, v6, vcc
	v_sqrt_f32_e32 v13, v6
	s_add_i32 s2, s2, -2
	v_add_f32_e32 v7, 1.0, v4
	s_cmp_lg_u32 s2, 0
	v_add_u32_e32 v14, -1, v13
	v_add_u32_e32 v15, 1, v13
	v_fma_f32 v16, -v14, v13, v6
	v_fma_f32 v17, -v15, v13, v6
	v_cmp_ge_f32_e64 s[0:1], 0, v16
	v_cndmask_b32_e64 v13, v13, v14, s[0:1]
	v_cmp_lt_f32_e64 s[0:1], 0, v17
	v_cndmask_b32_e64 v13, v13, v15, s[0:1]
	v_mul_f32_e32 v14, 0x37800000, v13
	v_cndmask_b32_e32 v13, v13, v14, vcc
	v_cmp_class_f32_e32 vcc, v6, v3
	v_cndmask_b32_e32 v6, v13, v6, vcc
	v_cmp_nge_f32_e32 vcc, 1.0, v6
	v_cndmask_b32_e32 v6, v7, v4, vcc
	s_cbranch_scc1 .LBB20_57
; %bb.58:
	v_add_u32_e32 v2, 0x445c00, v2
	v_cmp_ne_u32_e32 vcc, 0, v2
	v_mov_b32_e32 v4, 1
	s_and_saveexec_b64 s[2:3], vcc
	s_cbranch_execz .LBB20_64
; %bb.59:
	v_mov_b32_e32 v4, 1
	v_mov_b32_e32 v3, 0
	s_mov_b64 s[10:11], 0xbc8f
	s_mov_b64 s[8:9], 0
	v_mov_b32_e32 v5, 0
	s_brev_b32 s15, -2
	s_mov_b32 s16, 0x7ffffffe
	v_mov_b32_e32 v7, 0xfffff800
	s_movk_i32 s17, 0x401
	s_branch .LBB20_61
.LBB20_60:                              ;   in Loop: Header=BB20_61 Depth=1
	s_or_b64 exec, exec, s[12:13]
	s_mul_i32 s0, s10, s11
	s_mul_hi_u32 s1, s10, s10
	s_add_i32 s1, s1, s0
	s_add_i32 s0, s1, s0
	s_mul_i32 s1, s10, s10
	s_add_u32 s10, 0x402, s17
	s_addc_u32 s11, 0, 0
	v_add_co_u32_e32 v13, vcc, s10, v7
	s_cmp_lg_u64 vcc, 0
	v_readfirstlane_b32 s12, v13
	s_addc_u32 s10, s11, 1
	s_mul_hi_u32 s13, s12, 0x80000001
	s_mul_i32 s11, s10, 0x80000001
	s_sub_i32 s13, s13, s12
	s_add_i32 s13, s13, s11
	s_mul_i32 s27, s12, 0x80000001
	s_mul_hi_u32 s11, s12, s13
	s_mul_i32 s26, s12, s13
	s_mul_hi_u32 s12, s12, s27
	s_add_u32 s12, s12, s26
	s_addc_u32 s11, 0, s11
	s_mul_hi_u32 s28, s10, s27
	s_mul_i32 s27, s10, s27
	s_add_u32 s12, s12, s27
	s_mul_hi_u32 s26, s10, s13
	s_addc_u32 s11, s11, s28
	s_addc_u32 s12, s26, 0
	s_mul_i32 s13, s10, s13
	s_add_u32 s11, s11, s13
	s_addc_u32 s12, 0, s12
	v_add_co_u32_e32 v13, vcc, s11, v13
	s_cmp_lg_u64 vcc, 0
	s_addc_u32 s10, s10, s12
	v_readfirstlane_b32 s13, v13
	s_mul_i32 s12, s1, s10
	s_mul_hi_u32 s26, s1, s13
	s_mul_hi_u32 s11, s1, s10
	s_add_u32 s12, s26, s12
	s_addc_u32 s11, 0, s11
	s_mul_hi_u32 s27, s0, s13
	s_mul_i32 s13, s0, s13
	s_add_u32 s12, s12, s13
	s_mul_hi_u32 s26, s0, s10
	s_addc_u32 s11, s11, s27
	s_addc_u32 s12, s26, 0
	s_mul_i32 s10, s0, s10
	s_add_u32 s10, s11, s10
	s_addc_u32 s11, 0, s12
	s_mul_hi_u32 s12, s10, 0x7fffffff
	s_mul_i32 s10, s10, 0x7fffffff
	s_mul_i32 s11, s11, 0x7fffffff
	v_mov_b32_e32 v13, s10
	s_add_i32 s12, s12, s11
	v_sub_co_u32_e32 v13, vcc, s1, v13
	s_cmp_lg_u64 vcc, 0
	s_subb_u32 s0, s0, s12
	v_subrev_co_u32_e32 v16, vcc, s15, v13
	s_cmp_lg_u64 vcc, 0
	s_subb_u32 s1, s0, 0
	v_subrev_co_u32_e32 v17, vcc, s15, v16
	s_cmp_lg_u64 vcc, 0
	s_subb_u32 s10, s1, 0
	v_readfirstlane_b32 s11, v16
	s_cmp_gt_u32 s11, 0x7ffffffe
	s_cselect_b32 s12, -1, 0
	s_cmp_eq_u32 s1, 0
	s_cselect_b32 s12, s12, -1
	s_cmp_lg_u32 s12, 0
	s_cselect_b32 s1, s10, s1
	v_readfirstlane_b32 s10, v17
	v_readfirstlane_b32 s12, v13
	s_cselect_b32 s10, s10, s11
	s_cmp_gt_u32 s12, 0x7ffffffe
	s_cselect_b32 s11, -1, 0
	s_cmp_eq_u32 s0, 0
	s_cselect_b32 s11, s11, -1
	v_lshrrev_b64 v[14:15], 1, v[2:3]
	s_cmp_lg_u32 s11, 0
	v_cmp_gt_u64_e32 vcc, 2, v[2:3]
	s_cselect_b32 s11, s1, s0
	s_cselect_b32 s10, s10, s12
	s_or_b64 s[8:9], vcc, s[8:9]
	v_pk_mov_b32 v[2:3], v[14:15], v[14:15] op_sel:[0,1]
	s_andn2_b64 exec, exec, s[8:9]
	s_cbranch_execz .LBB20_63
.LBB20_61:                              ; =>This Inner Loop Header: Depth=1
	v_and_b32_e32 v13, 1, v2
	v_cmp_eq_u32_e32 vcc, 1, v13
	s_and_saveexec_b64 s[12:13], vcc
	s_cbranch_execz .LBB20_60
; %bb.62:                               ;   in Loop: Header=BB20_61 Depth=1
	v_mul_lo_u32 v13, s11, v4
	v_mul_lo_u32 v14, s10, v5
	v_mad_u64_u32 v[4:5], s[0:1], s10, v4, 0
	s_add_u32 s0, 0x402, s17
	v_add3_u32 v5, v5, v14, v13
	s_addc_u32 s1, 0, 0
	v_add_co_u32_e32 v13, vcc, s0, v7
	s_cmp_lg_u64 vcc, 0
	v_readfirstlane_b32 s26, v13
	s_addc_u32 s0, s1, 1
	s_mul_hi_u32 s27, s26, 0x80000001
	s_mul_i32 s1, s0, 0x80000001
	s_sub_i32 s27, s27, s26
	s_add_i32 s27, s27, s1
	s_mul_i32 s29, s26, 0x80000001
	s_mul_hi_u32 s1, s26, s27
	s_mul_i32 s28, s26, s27
	s_mul_hi_u32 s26, s26, s29
	s_add_u32 s26, s26, s28
	s_addc_u32 s1, 0, s1
	s_mul_hi_u32 s30, s0, s29
	s_mul_i32 s29, s0, s29
	s_add_u32 s26, s26, s29
	s_mul_hi_u32 s28, s0, s27
	s_addc_u32 s1, s1, s30
	s_addc_u32 s26, s28, 0
	s_mul_i32 s27, s0, s27
	s_add_u32 s1, s1, s27
	s_addc_u32 s26, 0, s26
	v_add_co_u32_e32 v13, vcc, s1, v13
	s_cmp_lg_u64 vcc, 0
	s_addc_u32 s26, s0, s26
	v_mad_u64_u32 v[14:15], s[0:1], v4, s26, 0
	v_mul_hi_u32 v16, v4, v13
	v_add_co_u32_e32 v18, vcc, v16, v14
	v_addc_co_u32_e32 v19, vcc, 0, v15, vcc
	v_mad_u64_u32 v[16:17], s[0:1], v5, v13, 0
	v_add_co_u32_e32 v13, vcc, v18, v16
	v_mad_u64_u32 v[14:15], s[0:1], v5, s26, 0
	v_addc_co_u32_e32 v13, vcc, v19, v17, vcc
	v_addc_co_u32_e32 v15, vcc, 0, v15, vcc
	v_add_co_u32_e32 v13, vcc, v13, v14
	v_addc_co_u32_e32 v17, vcc, 0, v15, vcc
	v_mad_u64_u32 v[14:15], s[0:1], v13, s15, 0
	v_mov_b32_e32 v16, v15
	v_mad_u64_u32 v[16:17], s[0:1], v17, s15, v[16:17]
	v_sub_co_u32_e32 v4, vcc, v4, v14
	v_subb_co_u32_e32 v5, vcc, v5, v16, vcc
	v_subrev_co_u32_e32 v13, vcc, s15, v4
	v_subbrev_co_u32_e32 v14, vcc, 0, v5, vcc
	v_subrev_co_u32_e32 v15, vcc, s15, v13
	v_subbrev_co_u32_e32 v16, vcc, 0, v14, vcc
	v_cmp_lt_u32_e32 vcc, s16, v13
	v_cndmask_b32_e64 v17, 0, -1, vcc
	v_cmp_eq_u32_e32 vcc, 0, v14
	v_cndmask_b32_e32 v17, -1, v17, vcc
	v_cmp_ne_u32_e32 vcc, 0, v17
	v_cmp_lt_u32_e64 s[0:1], s16, v4
	v_cndmask_b32_e32 v14, v14, v16, vcc
	v_cndmask_b32_e64 v16, 0, -1, s[0:1]
	v_cmp_eq_u32_e64 s[0:1], 0, v5
	v_cndmask_b32_e64 v16, -1, v16, s[0:1]
	v_cmp_ne_u32_e64 s[0:1], 0, v16
	v_cndmask_b32_e32 v13, v13, v15, vcc
	v_cndmask_b32_e64 v5, v5, v14, s[0:1]
	v_cndmask_b32_e64 v4, v4, v13, s[0:1]
	s_branch .LBB20_60
.LBB20_63:
	s_or_b64 exec, exec, s[8:9]
	s_movk_i32 s0, 0x401
	s_add_u32 s0, 0x402, s0
	v_mov_b32_e32 v2, 0xfffff800
	s_addc_u32 s1, 0, 0
	v_add_co_u32_e32 v2, vcc, s0, v2
	s_cmp_lg_u64 vcc, 0
	v_readfirstlane_b32 s8, v2
	s_addc_u32 s0, s1, 1
	s_mul_hi_u32 s9, s8, 0x80000001
	s_mul_i32 s1, s0, 0x80000001
	s_sub_i32 s9, s9, s8
	s_add_i32 s9, s9, s1
	s_mul_i32 s11, s8, 0x80000001
	s_mul_hi_u32 s1, s8, s9
	s_mul_i32 s10, s8, s9
	s_mul_hi_u32 s8, s8, s11
	s_add_u32 s8, s8, s10
	s_addc_u32 s1, 0, s1
	s_mul_hi_u32 s12, s0, s11
	s_mul_i32 s11, s0, s11
	s_add_u32 s8, s8, s11
	s_mul_hi_u32 s10, s0, s9
	s_addc_u32 s1, s1, s12
	s_addc_u32 s8, s10, 0
	s_mul_i32 s9, s0, s9
	s_add_u32 s1, s1, s9
	s_addc_u32 s8, 0, s8
	v_add_co_u32_e32 v7, vcc, s1, v2
	s_cmp_lg_u64 vcc, 0
	s_addc_u32 s8, s0, s8
	v_mad_u64_u32 v[2:3], s[0:1], v4, s8, 0
	v_mul_hi_u32 v13, v4, v7
	v_add_co_u32_e32 v13, vcc, v13, v2
	v_addc_co_u32_e32 v16, vcc, 0, v3, vcc
	v_mad_u64_u32 v[14:15], s[0:1], v5, v7, 0
	v_add_co_u32_e32 v7, vcc, v13, v14
	v_mad_u64_u32 v[2:3], s[0:1], v5, s8, 0
	v_addc_co_u32_e32 v7, vcc, v16, v15, vcc
	v_addc_co_u32_e32 v3, vcc, 0, v3, vcc
	v_add_co_u32_e32 v2, vcc, v7, v2
	s_brev_b32 s8, -2
	v_addc_co_u32_e32 v7, vcc, 0, v3, vcc
	v_mad_u64_u32 v[2:3], s[0:1], v2, s8, 0
	v_mov_b32_e32 v14, v3
	v_mad_u64_u32 v[14:15], s[0:1], v7, s8, v[14:15]
	v_sub_co_u32_e32 v2, vcc, v4, v2
	v_subb_co_u32_e32 v3, vcc, v5, v14, vcc
	v_subrev_co_u32_e32 v4, vcc, 0x7fffffff, v2
	v_subbrev_co_u32_e32 v5, vcc, 0, v3, vcc
	s_mov_b32 s0, 0x7ffffffe
	v_cmp_lt_u32_e32 vcc, s0, v4
	v_cndmask_b32_e64 v7, 0, -1, vcc
	v_cmp_eq_u32_e32 vcc, 0, v5
	v_cndmask_b32_e32 v5, -1, v7, vcc
	v_add_u32_e32 v7, 0x80000001, v4
	v_cmp_ne_u32_e32 vcc, 0, v5
	v_cndmask_b32_e32 v4, v4, v7, vcc
	v_cmp_lt_u32_e32 vcc, s0, v2
	v_cndmask_b32_e64 v5, 0, -1, vcc
	v_cmp_eq_u32_e32 vcc, 0, v3
	v_cndmask_b32_e32 v3, -1, v5, vcc
	v_cmp_ne_u32_e32 vcc, 0, v3
	v_cndmask_b32_e32 v4, v2, v4, vcc
.LBB20_64:
	s_or_b64 exec, exec, s[2:3]
	s_movk_i32 s2, 0x1388
	v_mov_b32_e32 v2, 0
	s_mov_b32 s3, 0xbc8f1391
	s_mov_b32 s8, 0xbc8f
	s_brev_b32 s9, 12
	s_mov_b32 s10, 0xf800000
	v_mov_b32_e32 v3, 0x260
.LBB20_65:                              ; =>This Inner Loop Header: Depth=1
	v_mul_hi_u32 v5, v4, s3
	v_lshrrev_b32_e32 v5, 15, v5
	v_mul_u32_u24_e32 v13, 0xadc8, v5
	v_sub_u32_e32 v4, v4, v13
	v_mul_u32_u24_e32 v5, 0xd47, v5
	v_mul_lo_u32 v4, v4, s8
	v_xor_b32_e32 v13, 0x7fffffff, v5
	v_sub_u32_e32 v14, 0, v5
	v_cmp_lt_u32_e32 vcc, v4, v5
	v_cndmask_b32_e32 v5, v14, v13, vcc
	v_add_u32_e32 v4, v5, v4
	v_mul_hi_u32 v13, v4, s3
	v_lshrrev_b32_e32 v13, 15, v13
	v_mul_u32_u24_e32 v14, 0xadc8, v13
	v_add_u32_e32 v5, -1, v4
	v_sub_u32_e32 v4, v4, v14
	v_mul_u32_u24_e32 v13, 0xd47, v13
	v_mul_lo_u32 v4, v4, s8
	v_xor_b32_e32 v14, 0x7fffffff, v13
	v_sub_u32_e32 v15, 0, v13
	v_cmp_lt_u32_e32 vcc, v4, v13
	v_cndmask_b32_e32 v13, v15, v14, vcc
	v_add_u32_e32 v4, v13, v4
	v_mul_hi_u32 v14, v4, s3
	v_add_u32_e32 v13, -1, v4
	v_lshrrev_b32_e32 v14, 15, v14
	v_cvt_f32_u32_e32 v13, v13
	v_mul_u32_u24_e32 v15, 0xadc8, v14
	v_cvt_f32_u32_e32 v5, v5
	v_sub_u32_e32 v4, v4, v15
	v_mul_u32_u24_e32 v14, 0xd47, v14
	v_mul_lo_u32 v4, v4, s8
	v_xor_b32_e32 v15, 0x7fffffff, v14
	v_sub_u32_e32 v16, 0, v14
	v_cmp_lt_u32_e32 vcc, v4, v14
	v_fma_f32 v13, v13, s9, 0
	v_cndmask_b32_e32 v14, v16, v15, vcc
	v_fma_f32 v5, v5, s9, 0
	v_mul_f32_e32 v13, v13, v13
	v_add_u32_e32 v4, v14, v4
	v_fmac_f32_e32 v13, v5, v5
	v_mul_hi_u32 v14, v4, s3
	v_mul_f32_e32 v15, 0x4f800000, v13
	v_lshrrev_b32_e32 v14, 15, v14
	v_cmp_gt_f32_e32 vcc, s10, v13
	v_cndmask_b32_e32 v13, v13, v15, vcc
	v_mul_u32_u24_e32 v15, 0xadc8, v14
	v_add_u32_e32 v5, -1, v4
	v_sqrt_f32_e32 v16, v13
	v_sub_u32_e32 v4, v4, v15
	v_mul_u32_u24_e32 v14, 0xd47, v14
	v_mul_lo_u32 v4, v4, s8
	v_xor_b32_e32 v15, 0x7fffffff, v14
	v_sub_u32_e32 v17, 0, v14
	v_cmp_lt_u32_e64 s[0:1], v4, v14
	v_cndmask_b32_e64 v14, v17, v15, s[0:1]
	v_add_u32_e32 v4, v14, v4
	v_add_u32_e32 v14, -1, v16
	v_add_u32_e32 v15, 1, v16
	v_add_u32_e32 v17, -1, v4
	v_fma_f32 v18, -v14, v16, v13
	v_fma_f32 v19, -v15, v16, v13
	v_cvt_f32_u32_e32 v17, v17
	v_cmp_ge_f32_e64 s[0:1], 0, v18
	v_cvt_f32_u32_e32 v5, v5
	v_cndmask_b32_e64 v14, v16, v14, s[0:1]
	v_cmp_lt_f32_e64 s[0:1], 0, v19
	v_cndmask_b32_e64 v14, v14, v15, s[0:1]
	v_mul_f32_e32 v15, 0x37800000, v14
	v_cndmask_b32_e32 v14, v14, v15, vcc
	v_fma_f32 v15, v17, s9, 0
	v_cmp_class_f32_e32 vcc, v13, v3
	v_fma_f32 v5, v5, s9, 0
	v_cndmask_b32_e32 v13, v14, v13, vcc
	v_mul_f32_e32 v14, v15, v15
	v_add_f32_e32 v7, 1.0, v2
	v_cmp_nge_f32_e32 vcc, 1.0, v13
	v_fmac_f32_e32 v14, v5, v5
	v_cndmask_b32_e32 v2, v7, v2, vcc
	v_mul_f32_e32 v5, 0x4f800000, v14
	v_cmp_gt_f32_e32 vcc, s10, v14
	v_cndmask_b32_e32 v5, v14, v5, vcc
	v_sqrt_f32_e32 v13, v5
	s_add_i32 s2, s2, -2
	v_add_f32_e32 v7, 1.0, v2
	s_cmp_lg_u32 s2, 0
	v_add_u32_e32 v14, -1, v13
	v_add_u32_e32 v15, 1, v13
	v_fma_f32 v16, -v14, v13, v5
	v_fma_f32 v17, -v15, v13, v5
	v_cmp_ge_f32_e64 s[0:1], 0, v16
	v_cndmask_b32_e64 v13, v13, v14, s[0:1]
	v_cmp_lt_f32_e64 s[0:1], 0, v17
	v_cndmask_b32_e64 v13, v13, v15, s[0:1]
	v_mul_f32_e32 v14, 0x37800000, v13
	v_cndmask_b32_e32 v13, v13, v14, vcc
	v_cmp_class_f32_e32 vcc, v5, v3
	v_cndmask_b32_e32 v5, v13, v5, vcc
	v_cmp_nge_f32_e32 vcc, 1.0, v5
	v_cndmask_b32_e32 v2, v7, v2, vcc
	s_cbranch_scc1 .LBB20_65
; %bb.66:
	v_mul_f32_e32 v3, 4.0, v6
	s_mov_b32 s2, 0x459c4000
	v_div_scale_f32 v4, s[0:1], s2, s2, v3
	v_rcp_f32_e32 v5, v4
	v_mul_f32_e32 v10, 4.0, v10
	v_mul_f32_e32 v9, 4.0, v9
	v_mul_f32_e32 v8, 4.0, v8
	v_fma_f32 v6, -v4, v5, 1.0
	v_fmac_f32_e32 v5, v6, v5
	v_div_scale_f32 v6, vcc, v3, s2, v3
	v_mul_f32_e32 v7, v6, v5
	v_fma_f32 v13, -v4, v7, v6
	v_fmac_f32_e32 v7, v13, v5
	v_fma_f32 v4, -v4, v7, v6
	v_mul_f32_e32 v6, 4.0, v12
	v_div_scale_f32 v12, s[0:1], s2, s2, v6
	v_rcp_f32_e32 v13, v12
	v_div_fmas_f32 v4, v4, v5, v7
	v_div_fixup_f32 v3, v4, s2, v3
	v_mul_f32_e32 v1, 4.0, v1
	v_fma_f32 v4, -v12, v13, 1.0
	v_fmac_f32_e32 v13, v4, v13
	v_div_scale_f32 v4, vcc, v6, s2, v6
	v_mul_f32_e32 v5, v4, v13
	v_fma_f32 v7, -v12, v5, v4
	v_fmac_f32_e32 v5, v7, v13
	v_mul_f32_e32 v7, 4.0, v11
	v_div_scale_f32 v11, s[0:1], s2, s2, v7
	v_fma_f32 v4, -v12, v5, v4
	v_rcp_f32_e32 v12, v11
	v_div_fmas_f32 v4, v4, v13, v5
	v_div_fixup_f32 v4, v4, s2, v6
	v_mul_f32_e32 v2, 4.0, v2
	v_fma_f32 v5, -v11, v12, 1.0
	v_fmac_f32_e32 v12, v5, v12
	v_div_scale_f32 v5, vcc, v7, s2, v7
	v_mul_f32_e32 v6, v5, v12
	v_fma_f32 v13, -v11, v6, v5
	v_fmac_f32_e32 v6, v13, v12
	v_fma_f32 v5, -v11, v6, v5
	v_div_scale_f32 v11, s[0:1], s2, s2, v10
	v_rcp_f32_e32 v13, v11
	v_div_fmas_f32 v5, v5, v12, v6
	v_div_fixup_f32 v5, v5, s2, v7
	v_fma_f32 v6, -v11, v13, 1.0
	v_fmac_f32_e32 v13, v6, v13
	v_div_scale_f32 v6, vcc, v10, s2, v10
	v_mul_f32_e32 v7, v6, v13
	v_fma_f32 v12, -v11, v7, v6
	v_fmac_f32_e32 v7, v12, v13
	v_fma_f32 v6, -v11, v7, v6
	v_div_scale_f32 v11, s[0:1], s2, s2, v9
	v_rcp_f32_e32 v12, v11
	v_div_fmas_f32 v6, v6, v13, v7
	v_div_fixup_f32 v6, v6, s2, v10
	;; [unrolled: 11-line block ×5, first 2 shown]
	v_add_f32_e32 v1, v1, v8
	v_fma_f32 v9, -v11, v13, 1.0
	v_fmac_f32_e32 v13, v9, v13
	v_div_scale_f32 v9, vcc, v2, s2, v2
	v_mul_f32_e32 v10, v9, v13
	v_fma_f32 v12, -v11, v10, v9
	v_add_f32_e32 v1, v1, v7
	v_fmac_f32_e32 v10, v12, v13
	v_add_f32_e32 v1, v1, v6
	v_fma_f32 v9, -v11, v10, v9
	v_add_f32_e32 v1, v1, v5
	v_div_fmas_f32 v9, v9, v13, v10
	v_add_f32_e32 v1, v1, v4
	v_div_fixup_f32 v2, v9, s2, v2
	v_add_f32_e32 v1, v1, v3
	v_add_f32_e32 v2, v1, v2
	v_mbcnt_lo_u32_b32 v1, -1, 0
	v_mbcnt_hi_u32_b32 v1, -1, v1
	v_add_f32_dpp v2, v2, v2 quad_perm:[1,0,3,2] row_mask:0xf bank_mask:0xf bound_ctrl:1
	v_lshlrev_b32_e32 v3, 2, v1
	v_or_b32_e32 v4, 0xfc, v3
	v_add_f32_dpp v2, v2, v2 quad_perm:[2,3,0,1] row_mask:0xf bank_mask:0xf bound_ctrl:1
	v_cmp_eq_u32_e32 vcc, 0, v1
	s_nop 0
	v_add_f32_dpp v2, v2, v2 row_ror:4 row_mask:0xf bank_mask:0xf bound_ctrl:1
	s_nop 1
	v_add_f32_dpp v2, v2, v2 row_ror:8 row_mask:0xf bank_mask:0xf bound_ctrl:1
	s_nop 1
	v_add_f32_dpp v2, v2, v2 row_bcast:15 row_mask:0xf bank_mask:0xf bound_ctrl:1
	s_nop 1
	v_add_f32_dpp v2, v2, v2 row_bcast:31 row_mask:0xf bank_mask:0xf bound_ctrl:1
	ds_bpermute_b32 v2, v4, v2
	s_and_saveexec_b64 s[0:1], vcc
	s_cbranch_execz .LBB20_68
; %bb.67:
	v_lshrrev_b32_e32 v4, 4, v0
	v_and_b32_e32 v4, 4, v4
	s_waitcnt lgkmcnt(0)
	ds_write_b32 v4, v2
.LBB20_68:
	s_or_b64 exec, exec, s[0:1]
	v_cmp_gt_u32_e32 vcc, 64, v0
	s_waitcnt lgkmcnt(0)
	s_barrier
	s_and_saveexec_b64 s[0:1], vcc
	s_cbranch_execz .LBB20_70
; %bb.69:
	v_and_b32_e32 v1, 1, v1
	v_lshlrev_b32_e32 v1, 2, v1
	ds_read_b32 v1, v1
	v_or_b32_e32 v2, 4, v3
	s_waitcnt lgkmcnt(0)
	ds_bpermute_b32 v2, v2, v1
	s_waitcnt lgkmcnt(0)
	v_add_f32_e32 v2, v1, v2
.LBB20_70:
	s_or_b64 exec, exec, s[0:1]
	s_load_dword s38, s[4:5], 0x30
	s_branch .LBB20_156
.LBB20_71:
	s_sub_i32 s39, s18, s14
	v_cmp_gt_u32_e32 vcc, s39, v0
                                        ; implicit-def: $vgpr2_vgpr3_vgpr4_vgpr5_vgpr6_vgpr7_vgpr8_vgpr9
	s_and_saveexec_b64 s[2:3], vcc
	s_cbranch_execz .LBB20_81
; %bb.72:
	v_add_u32_e32 v1, s33, v0
	s_movk_i32 s0, 0x1388
	v_mul_lo_u32 v2, v1, s0
	v_cmp_ne_u32_e32 vcc, 0, v2
	v_mov_b32_e32 v3, 1
	s_and_saveexec_b64 s[4:5], vcc
	s_cbranch_execz .LBB20_78
; %bb.73:
	v_mov_b32_e32 v4, 1
	v_mov_b32_e32 v3, 0
	s_mov_b64 s[10:11], 0xbc8f
	s_mov_b64 s[8:9], 0
	v_mov_b32_e32 v5, 0
	s_brev_b32 s14, -2
	s_mov_b32 s15, 0x7ffffffe
	v_mov_b32_e32 v1, 0xfffff800
	s_movk_i32 s16, 0x401
	s_branch .LBB20_75
.LBB20_74:                              ;   in Loop: Header=BB20_75 Depth=1
	s_or_b64 exec, exec, s[12:13]
	s_mul_i32 s0, s10, s11
	s_mul_hi_u32 s1, s10, s10
	s_add_i32 s1, s1, s0
	s_add_i32 s0, s1, s0
	s_mul_i32 s1, s10, s10
	s_add_u32 s10, 0x402, s16
	s_addc_u32 s11, 0, 0
	v_add_co_u32_e32 v8, vcc, s10, v1
	s_cmp_lg_u64 vcc, 0
	v_readfirstlane_b32 s12, v8
	s_addc_u32 s10, s11, 1
	s_mul_hi_u32 s13, s12, 0x80000001
	s_mul_i32 s11, s10, 0x80000001
	s_sub_i32 s13, s13, s12
	s_add_i32 s13, s13, s11
	s_mul_i32 s26, s12, 0x80000001
	s_mul_hi_u32 s11, s12, s13
	s_mul_i32 s17, s12, s13
	s_mul_hi_u32 s12, s12, s26
	s_add_u32 s12, s12, s17
	s_addc_u32 s11, 0, s11
	s_mul_hi_u32 s27, s10, s26
	s_mul_i32 s26, s10, s26
	s_add_u32 s12, s12, s26
	s_mul_hi_u32 s17, s10, s13
	s_addc_u32 s11, s11, s27
	s_addc_u32 s12, s17, 0
	s_mul_i32 s13, s10, s13
	s_add_u32 s11, s11, s13
	s_addc_u32 s12, 0, s12
	v_add_co_u32_e32 v8, vcc, s11, v8
	s_cmp_lg_u64 vcc, 0
	s_addc_u32 s10, s10, s12
	v_readfirstlane_b32 s13, v8
	s_mul_i32 s12, s1, s10
	s_mul_hi_u32 s17, s1, s13
	s_mul_hi_u32 s11, s1, s10
	s_add_u32 s12, s17, s12
	s_addc_u32 s11, 0, s11
	s_mul_hi_u32 s26, s0, s13
	s_mul_i32 s13, s0, s13
	s_add_u32 s12, s12, s13
	s_mul_hi_u32 s17, s0, s10
	s_addc_u32 s11, s11, s26
	s_addc_u32 s12, s17, 0
	s_mul_i32 s10, s0, s10
	s_add_u32 s10, s11, s10
	s_addc_u32 s11, 0, s12
	s_mul_hi_u32 s12, s10, 0x7fffffff
	s_mul_i32 s10, s10, 0x7fffffff
	s_mul_i32 s11, s11, 0x7fffffff
	v_mov_b32_e32 v8, s10
	s_add_i32 s12, s12, s11
	v_sub_co_u32_e32 v8, vcc, s1, v8
	s_cmp_lg_u64 vcc, 0
	s_subb_u32 s0, s0, s12
	v_subrev_co_u32_e32 v9, vcc, s14, v8
	s_cmp_lg_u64 vcc, 0
	s_subb_u32 s1, s0, 0
	v_subrev_co_u32_e32 v10, vcc, s14, v9
	s_cmp_lg_u64 vcc, 0
	s_subb_u32 s10, s1, 0
	v_readfirstlane_b32 s11, v9
	s_cmp_gt_u32 s11, 0x7ffffffe
	s_cselect_b32 s12, -1, 0
	s_cmp_eq_u32 s1, 0
	s_cselect_b32 s12, s12, -1
	s_cmp_lg_u32 s12, 0
	s_cselect_b32 s1, s10, s1
	v_readfirstlane_b32 s10, v10
	v_readfirstlane_b32 s12, v8
	s_cselect_b32 s10, s10, s11
	s_cmp_gt_u32 s12, 0x7ffffffe
	s_cselect_b32 s11, -1, 0
	s_cmp_eq_u32 s0, 0
	s_cselect_b32 s11, s11, -1
	v_lshrrev_b64 v[6:7], 1, v[2:3]
	s_cmp_lg_u32 s11, 0
	v_cmp_gt_u64_e32 vcc, 2, v[2:3]
	s_cselect_b32 s11, s1, s0
	s_cselect_b32 s10, s10, s12
	s_or_b64 s[8:9], vcc, s[8:9]
	v_pk_mov_b32 v[2:3], v[6:7], v[6:7] op_sel:[0,1]
	s_andn2_b64 exec, exec, s[8:9]
	s_cbranch_execz .LBB20_77
.LBB20_75:                              ; =>This Inner Loop Header: Depth=1
	v_and_b32_e32 v6, 1, v2
	v_cmp_eq_u32_e32 vcc, 1, v6
	s_and_saveexec_b64 s[12:13], vcc
	s_cbranch_execz .LBB20_74
; %bb.76:                               ;   in Loop: Header=BB20_75 Depth=1
	v_mul_lo_u32 v6, s11, v4
	v_mul_lo_u32 v7, s10, v5
	v_mad_u64_u32 v[4:5], s[0:1], s10, v4, 0
	s_add_u32 s0, 0x402, s16
	v_add3_u32 v5, v5, v7, v6
	s_addc_u32 s1, 0, 0
	v_add_co_u32_e32 v6, vcc, s0, v1
	s_cmp_lg_u64 vcc, 0
	v_readfirstlane_b32 s17, v6
	s_addc_u32 s0, s1, 1
	s_mul_hi_u32 s26, s17, 0x80000001
	s_mul_i32 s1, s0, 0x80000001
	s_sub_i32 s26, s26, s17
	s_add_i32 s26, s26, s1
	s_mul_i32 s28, s17, 0x80000001
	s_mul_hi_u32 s1, s17, s26
	s_mul_i32 s27, s17, s26
	s_mul_hi_u32 s17, s17, s28
	s_add_u32 s17, s17, s27
	s_addc_u32 s1, 0, s1
	s_mul_hi_u32 s29, s0, s28
	s_mul_i32 s28, s0, s28
	s_add_u32 s17, s17, s28
	s_mul_hi_u32 s27, s0, s26
	s_addc_u32 s1, s1, s29
	s_addc_u32 s17, s27, 0
	s_mul_i32 s26, s0, s26
	s_add_u32 s1, s1, s26
	s_addc_u32 s17, 0, s17
	v_add_co_u32_e32 v8, vcc, s1, v6
	s_cmp_lg_u64 vcc, 0
	s_addc_u32 s17, s0, s17
	v_mad_u64_u32 v[6:7], s[0:1], v4, s17, 0
	v_mul_hi_u32 v9, v4, v8
	v_add_co_u32_e32 v10, vcc, v9, v6
	v_addc_co_u32_e32 v11, vcc, 0, v7, vcc
	v_mad_u64_u32 v[8:9], s[0:1], v5, v8, 0
	v_add_co_u32_e32 v8, vcc, v10, v8
	v_mad_u64_u32 v[6:7], s[0:1], v5, s17, 0
	v_addc_co_u32_e32 v8, vcc, v11, v9, vcc
	v_addc_co_u32_e32 v7, vcc, 0, v7, vcc
	v_add_co_u32_e32 v6, vcc, v8, v6
	v_addc_co_u32_e32 v9, vcc, 0, v7, vcc
	v_mad_u64_u32 v[6:7], s[0:1], v6, s14, 0
	v_mov_b32_e32 v8, v7
	v_mad_u64_u32 v[8:9], s[0:1], v9, s14, v[8:9]
	v_sub_co_u32_e32 v4, vcc, v4, v6
	v_subb_co_u32_e32 v5, vcc, v5, v8, vcc
	v_subrev_co_u32_e32 v6, vcc, s14, v4
	v_subbrev_co_u32_e32 v7, vcc, 0, v5, vcc
	v_subrev_co_u32_e32 v8, vcc, s14, v6
	v_subbrev_co_u32_e32 v9, vcc, 0, v7, vcc
	v_cmp_lt_u32_e32 vcc, s15, v6
	v_cndmask_b32_e64 v10, 0, -1, vcc
	v_cmp_eq_u32_e32 vcc, 0, v7
	v_cndmask_b32_e32 v10, -1, v10, vcc
	v_cmp_ne_u32_e32 vcc, 0, v10
	v_cmp_lt_u32_e64 s[0:1], s15, v4
	v_cndmask_b32_e32 v7, v7, v9, vcc
	v_cndmask_b32_e64 v9, 0, -1, s[0:1]
	v_cmp_eq_u32_e64 s[0:1], 0, v5
	v_cndmask_b32_e64 v9, -1, v9, s[0:1]
	v_cmp_ne_u32_e64 s[0:1], 0, v9
	v_cndmask_b32_e32 v6, v6, v8, vcc
	v_cndmask_b32_e64 v5, v5, v7, s[0:1]
	v_cndmask_b32_e64 v4, v4, v6, s[0:1]
	s_branch .LBB20_74
.LBB20_77:
	s_or_b64 exec, exec, s[8:9]
	s_movk_i32 s0, 0x401
	s_add_u32 s0, 0x402, s0
	v_mov_b32_e32 v1, 0xfffff800
	s_addc_u32 s1, 0, 0
	v_add_co_u32_e32 v1, vcc, s0, v1
	s_cmp_lg_u64 vcc, 0
	v_readfirstlane_b32 s8, v1
	s_addc_u32 s0, s1, 1
	s_mul_hi_u32 s9, s8, 0x80000001
	s_mul_i32 s1, s0, 0x80000001
	s_sub_i32 s9, s9, s8
	s_add_i32 s9, s9, s1
	s_mul_i32 s11, s8, 0x80000001
	s_mul_hi_u32 s1, s8, s9
	s_mul_i32 s10, s8, s9
	s_mul_hi_u32 s8, s8, s11
	s_add_u32 s8, s8, s10
	s_addc_u32 s1, 0, s1
	s_mul_hi_u32 s12, s0, s11
	s_mul_i32 s11, s0, s11
	s_add_u32 s8, s8, s11
	s_mul_hi_u32 s10, s0, s9
	s_addc_u32 s1, s1, s12
	s_addc_u32 s8, s10, 0
	s_mul_i32 s9, s0, s9
	s_add_u32 s1, s1, s9
	s_addc_u32 s8, 0, s8
	v_add_co_u32_e32 v1, vcc, s1, v1
	s_cmp_lg_u64 vcc, 0
	s_addc_u32 s8, s0, s8
	v_mad_u64_u32 v[2:3], s[0:1], v4, s8, 0
	v_mul_hi_u32 v6, v4, v1
	v_add_co_u32_e32 v8, vcc, v6, v2
	v_addc_co_u32_e32 v9, vcc, 0, v3, vcc
	v_mad_u64_u32 v[6:7], s[0:1], v5, v1, 0
	v_add_co_u32_e32 v1, vcc, v8, v6
	v_mad_u64_u32 v[2:3], s[0:1], v5, s8, 0
	v_addc_co_u32_e32 v1, vcc, v9, v7, vcc
	v_addc_co_u32_e32 v3, vcc, 0, v3, vcc
	v_add_co_u32_e32 v1, vcc, v1, v2
	s_brev_b32 s8, -2
	v_addc_co_u32_e32 v7, vcc, 0, v3, vcc
	v_mad_u64_u32 v[2:3], s[0:1], v1, s8, 0
	v_mov_b32_e32 v6, v3
	v_mad_u64_u32 v[6:7], s[0:1], v7, s8, v[6:7]
	v_sub_co_u32_e32 v1, vcc, v4, v2
	v_subb_co_u32_e32 v2, vcc, v5, v6, vcc
	v_subrev_co_u32_e32 v3, vcc, 0x7fffffff, v1
	v_subbrev_co_u32_e32 v4, vcc, 0, v2, vcc
	s_mov_b32 s0, 0x7ffffffe
	v_cmp_lt_u32_e32 vcc, s0, v3
	v_cndmask_b32_e64 v5, 0, -1, vcc
	v_cmp_eq_u32_e32 vcc, 0, v4
	v_cndmask_b32_e32 v4, -1, v5, vcc
	v_add_u32_e32 v5, 0x80000001, v3
	v_cmp_ne_u32_e32 vcc, 0, v4
	v_cndmask_b32_e32 v3, v3, v5, vcc
	v_cmp_lt_u32_e32 vcc, s0, v1
	v_cndmask_b32_e64 v4, 0, -1, vcc
	v_cmp_eq_u32_e32 vcc, 0, v2
	v_cndmask_b32_e32 v2, -1, v4, vcc
	v_cmp_ne_u32_e32 vcc, 0, v2
	v_cndmask_b32_e32 v3, v1, v3, vcc
.LBB20_78:
	s_or_b64 exec, exec, s[4:5]
	s_movk_i32 s4, 0x1388
	v_mov_b32_e32 v2, 0
	s_mov_b32 s5, 0xbc8f1391
	s_mov_b32 s8, 0xbc8f
	s_brev_b32 s9, 12
	s_mov_b32 s10, 0xf800000
	v_mov_b32_e32 v1, 0x260
.LBB20_79:                              ; =>This Inner Loop Header: Depth=1
	v_mul_hi_u32 v4, v3, s5
	v_lshrrev_b32_e32 v4, 15, v4
	v_mul_u32_u24_e32 v6, 0xadc8, v4
	v_sub_u32_e32 v3, v3, v6
	v_mul_u32_u24_e32 v4, 0xd47, v4
	v_mul_lo_u32 v3, v3, s8
	v_xor_b32_e32 v6, 0x7fffffff, v4
	v_sub_u32_e32 v7, 0, v4
	v_cmp_lt_u32_e32 vcc, v3, v4
	v_cndmask_b32_e32 v4, v7, v6, vcc
	v_add_u32_e32 v3, v4, v3
	v_mul_hi_u32 v6, v3, s5
	v_lshrrev_b32_e32 v6, 15, v6
	v_mul_u32_u24_e32 v7, 0xadc8, v6
	v_add_u32_e32 v4, -1, v3
	v_sub_u32_e32 v3, v3, v7
	v_mul_u32_u24_e32 v6, 0xd47, v6
	v_mul_lo_u32 v3, v3, s8
	v_xor_b32_e32 v7, 0x7fffffff, v6
	v_sub_u32_e32 v8, 0, v6
	v_cmp_lt_u32_e32 vcc, v3, v6
	v_cndmask_b32_e32 v6, v8, v7, vcc
	v_add_u32_e32 v3, v6, v3
	v_mul_hi_u32 v7, v3, s5
	v_add_u32_e32 v6, -1, v3
	v_lshrrev_b32_e32 v7, 15, v7
	v_cvt_f32_u32_e32 v6, v6
	v_mul_u32_u24_e32 v8, 0xadc8, v7
	v_cvt_f32_u32_e32 v4, v4
	v_sub_u32_e32 v3, v3, v8
	v_mul_u32_u24_e32 v7, 0xd47, v7
	v_mul_lo_u32 v3, v3, s8
	v_xor_b32_e32 v8, 0x7fffffff, v7
	v_sub_u32_e32 v9, 0, v7
	v_cmp_lt_u32_e32 vcc, v3, v7
	v_fma_f32 v6, v6, s9, 0
	v_cndmask_b32_e32 v7, v9, v8, vcc
	v_fma_f32 v4, v4, s9, 0
	v_mul_f32_e32 v6, v6, v6
	v_add_u32_e32 v3, v7, v3
	v_fmac_f32_e32 v6, v4, v4
	v_mul_hi_u32 v7, v3, s5
	v_mul_f32_e32 v8, 0x4f800000, v6
	v_lshrrev_b32_e32 v7, 15, v7
	v_cmp_gt_f32_e32 vcc, s10, v6
	v_cndmask_b32_e32 v6, v6, v8, vcc
	v_mul_u32_u24_e32 v8, 0xadc8, v7
	v_add_u32_e32 v4, -1, v3
	v_sqrt_f32_e32 v9, v6
	v_sub_u32_e32 v3, v3, v8
	v_mul_u32_u24_e32 v7, 0xd47, v7
	v_mul_lo_u32 v3, v3, s8
	v_xor_b32_e32 v8, 0x7fffffff, v7
	v_sub_u32_e32 v10, 0, v7
	v_cmp_lt_u32_e64 s[0:1], v3, v7
	v_cndmask_b32_e64 v7, v10, v8, s[0:1]
	v_add_u32_e32 v3, v7, v3
	v_add_u32_e32 v7, -1, v9
	v_add_u32_e32 v8, 1, v9
	v_add_u32_e32 v10, -1, v3
	v_fma_f32 v11, -v7, v9, v6
	v_fma_f32 v12, -v8, v9, v6
	v_cvt_f32_u32_e32 v10, v10
	v_cmp_ge_f32_e64 s[0:1], 0, v11
	v_cvt_f32_u32_e32 v4, v4
	v_cndmask_b32_e64 v7, v9, v7, s[0:1]
	v_cmp_lt_f32_e64 s[0:1], 0, v12
	v_cndmask_b32_e64 v7, v7, v8, s[0:1]
	v_mul_f32_e32 v8, 0x37800000, v7
	v_cndmask_b32_e32 v7, v7, v8, vcc
	v_fma_f32 v8, v10, s9, 0
	v_cmp_class_f32_e32 vcc, v6, v1
	v_fma_f32 v4, v4, s9, 0
	v_cndmask_b32_e32 v6, v7, v6, vcc
	v_mul_f32_e32 v7, v8, v8
	v_add_f32_e32 v5, 1.0, v2
	v_cmp_nge_f32_e32 vcc, 1.0, v6
	v_fmac_f32_e32 v7, v4, v4
	v_cndmask_b32_e32 v2, v5, v2, vcc
	v_mul_f32_e32 v4, 0x4f800000, v7
	v_cmp_gt_f32_e32 vcc, s10, v7
	v_cndmask_b32_e32 v4, v7, v4, vcc
	v_sqrt_f32_e32 v6, v4
	s_add_i32 s4, s4, -2
	v_add_f32_e32 v5, 1.0, v2
	s_cmp_lg_u32 s4, 0
	v_add_u32_e32 v7, -1, v6
	v_add_u32_e32 v8, 1, v6
	v_fma_f32 v9, -v7, v6, v4
	v_fma_f32 v10, -v8, v6, v4
	v_cmp_ge_f32_e64 s[0:1], 0, v9
	v_cndmask_b32_e64 v6, v6, v7, s[0:1]
	v_cmp_lt_f32_e64 s[0:1], 0, v10
	v_cndmask_b32_e64 v6, v6, v8, s[0:1]
	v_mul_f32_e32 v7, 0x37800000, v6
	v_cndmask_b32_e32 v6, v6, v7, vcc
	v_cmp_class_f32_e32 vcc, v4, v1
	v_cndmask_b32_e32 v4, v6, v4, vcc
	v_cmp_nge_f32_e32 vcc, 1.0, v4
	v_cndmask_b32_e32 v2, v5, v2, vcc
	s_cbranch_scc1 .LBB20_79
; %bb.80:
	v_mul_f32_e32 v1, 4.0, v2
	s_mov_b32 s4, 0x459c4000
	v_div_scale_f32 v2, s[0:1], s4, s4, v1
	v_rcp_f32_e32 v3, v2
	v_fma_f32 v4, -v2, v3, 1.0
	v_fmac_f32_e32 v3, v4, v3
	v_div_scale_f32 v4, vcc, v1, s4, v1
	v_mul_f32_e32 v5, v4, v3
	v_fma_f32 v6, -v2, v5, v4
	v_fmac_f32_e32 v5, v6, v3
	v_fma_f32 v2, -v2, v5, v4
	v_div_fmas_f32 v2, v2, v3, v5
	v_div_fixup_f32 v2, v2, s4, v1
.LBB20_81:
	s_or_b64 exec, exec, s[2:3]
	v_or_b32_e32 v1, 0x80, v0
	v_cmp_gt_u32_e64 s[0:1], s39, v1
	s_and_saveexec_b64 s[4:5], s[0:1]
	s_cbranch_execz .LBB20_91
; %bb.82:
	v_add_u32_e32 v1, s33, v1
	s_movk_i32 s2, 0x1388
	v_mul_lo_u32 v10, v1, s2
	v_cmp_ne_u32_e32 vcc, 0, v10
	v_mov_b32_e32 v11, 1
	s_and_saveexec_b64 s[8:9], vcc
	s_cbranch_execz .LBB20_88
; %bb.83:
	v_mov_b32_e32 v12, 1
	v_mov_b32_e32 v11, 0
	s_mov_b64 s[12:13], 0xbc8f
	s_mov_b64 s[10:11], 0
	v_mov_b32_e32 v13, 0
	s_brev_b32 s16, -2
	s_mov_b32 s17, 0x7ffffffe
	v_mov_b32_e32 v1, 0xfffff800
	s_movk_i32 s26, 0x401
	s_branch .LBB20_85
.LBB20_84:                              ;   in Loop: Header=BB20_85 Depth=1
	s_or_b64 exec, exec, s[14:15]
	s_mul_i32 s2, s12, s13
	s_mul_hi_u32 s3, s12, s12
	s_add_i32 s3, s3, s2
	s_add_i32 s2, s3, s2
	s_mul_i32 s3, s12, s12
	s_add_u32 s12, 0x402, s26
	s_addc_u32 s13, 0, 0
	v_add_co_u32_e32 v3, vcc, s12, v1
	s_cmp_lg_u64 vcc, 0
	v_readfirstlane_b32 s14, v3
	s_addc_u32 s12, s13, 1
	s_mul_hi_u32 s15, s14, 0x80000001
	s_mul_i32 s13, s12, 0x80000001
	s_sub_i32 s15, s15, s14
	s_add_i32 s15, s15, s13
	s_mul_i32 s28, s14, 0x80000001
	s_mul_hi_u32 s13, s14, s15
	s_mul_i32 s27, s14, s15
	s_mul_hi_u32 s14, s14, s28
	s_add_u32 s14, s14, s27
	s_addc_u32 s13, 0, s13
	s_mul_hi_u32 s29, s12, s28
	s_mul_i32 s28, s12, s28
	s_add_u32 s14, s14, s28
	s_mul_hi_u32 s27, s12, s15
	s_addc_u32 s13, s13, s29
	s_addc_u32 s14, s27, 0
	s_mul_i32 s15, s12, s15
	s_add_u32 s13, s13, s15
	s_addc_u32 s14, 0, s14
	v_add_co_u32_e32 v3, vcc, s13, v3
	s_cmp_lg_u64 vcc, 0
	s_addc_u32 s12, s12, s14
	v_readfirstlane_b32 s15, v3
	s_mul_i32 s14, s3, s12
	s_mul_hi_u32 s27, s3, s15
	s_mul_hi_u32 s13, s3, s12
	s_add_u32 s14, s27, s14
	s_addc_u32 s13, 0, s13
	s_mul_hi_u32 s28, s2, s15
	s_mul_i32 s15, s2, s15
	s_add_u32 s14, s14, s15
	s_mul_hi_u32 s27, s2, s12
	s_addc_u32 s13, s13, s28
	s_addc_u32 s14, s27, 0
	s_mul_i32 s12, s2, s12
	s_add_u32 s12, s13, s12
	s_addc_u32 s13, 0, s14
	s_mul_hi_u32 s14, s12, 0x7fffffff
	s_mul_i32 s12, s12, 0x7fffffff
	s_mul_i32 s13, s13, 0x7fffffff
	v_mov_b32_e32 v3, s12
	s_add_i32 s14, s14, s13
	v_sub_co_u32_e32 v3, vcc, s3, v3
	s_cmp_lg_u64 vcc, 0
	s_subb_u32 s2, s2, s14
	v_subrev_co_u32_e32 v16, vcc, s16, v3
	s_cmp_lg_u64 vcc, 0
	s_subb_u32 s3, s2, 0
	v_subrev_co_u32_e32 v17, vcc, s16, v16
	s_cmp_lg_u64 vcc, 0
	s_subb_u32 s12, s3, 0
	v_readfirstlane_b32 s13, v16
	s_cmp_gt_u32 s13, 0x7ffffffe
	s_cselect_b32 s14, -1, 0
	s_cmp_eq_u32 s3, 0
	s_cselect_b32 s14, s14, -1
	s_cmp_lg_u32 s14, 0
	s_cselect_b32 s3, s12, s3
	v_readfirstlane_b32 s12, v17
	v_readfirstlane_b32 s14, v3
	s_cselect_b32 s12, s12, s13
	s_cmp_gt_u32 s14, 0x7ffffffe
	s_cselect_b32 s13, -1, 0
	s_cmp_eq_u32 s2, 0
	s_cselect_b32 s13, s13, -1
	v_lshrrev_b64 v[14:15], 1, v[10:11]
	s_cmp_lg_u32 s13, 0
	v_cmp_gt_u64_e32 vcc, 2, v[10:11]
	s_cselect_b32 s13, s3, s2
	s_cselect_b32 s12, s12, s14
	s_or_b64 s[10:11], vcc, s[10:11]
	v_pk_mov_b32 v[10:11], v[14:15], v[14:15] op_sel:[0,1]
	s_andn2_b64 exec, exec, s[10:11]
	s_cbranch_execz .LBB20_87
.LBB20_85:                              ; =>This Inner Loop Header: Depth=1
	v_and_b32_e32 v3, 1, v10
	v_cmp_eq_u32_e32 vcc, 1, v3
	s_and_saveexec_b64 s[14:15], vcc
	s_cbranch_execz .LBB20_84
; %bb.86:                               ;   in Loop: Header=BB20_85 Depth=1
	v_mul_lo_u32 v3, s13, v12
	v_mul_lo_u32 v14, s12, v13
	v_mad_u64_u32 v[12:13], s[2:3], s12, v12, 0
	s_add_u32 s2, 0x402, s26
	v_add3_u32 v3, v13, v14, v3
	s_addc_u32 s3, 0, 0
	v_add_co_u32_e32 v13, vcc, s2, v1
	s_cmp_lg_u64 vcc, 0
	v_readfirstlane_b32 s27, v13
	s_addc_u32 s2, s3, 1
	s_mul_hi_u32 s28, s27, 0x80000001
	s_mul_i32 s3, s2, 0x80000001
	s_sub_i32 s28, s28, s27
	s_add_i32 s28, s28, s3
	s_mul_i32 s30, s27, 0x80000001
	s_mul_hi_u32 s3, s27, s28
	s_mul_i32 s29, s27, s28
	s_mul_hi_u32 s27, s27, s30
	s_add_u32 s27, s27, s29
	s_addc_u32 s3, 0, s3
	s_mul_hi_u32 s31, s2, s30
	s_mul_i32 s30, s2, s30
	s_add_u32 s27, s27, s30
	s_mul_hi_u32 s29, s2, s28
	s_addc_u32 s3, s3, s31
	s_addc_u32 s27, s29, 0
	s_mul_i32 s28, s2, s28
	s_add_u32 s3, s3, s28
	s_addc_u32 s27, 0, s27
	v_add_co_u32_e32 v13, vcc, s3, v13
	s_cmp_lg_u64 vcc, 0
	s_addc_u32 s27, s2, s27
	v_mad_u64_u32 v[14:15], s[2:3], v12, s27, 0
	v_mul_hi_u32 v16, v12, v13
	v_add_co_u32_e32 v18, vcc, v16, v14
	v_addc_co_u32_e32 v19, vcc, 0, v15, vcc
	v_mad_u64_u32 v[16:17], s[2:3], v3, v13, 0
	v_add_co_u32_e32 v13, vcc, v18, v16
	v_mad_u64_u32 v[14:15], s[2:3], v3, s27, 0
	v_addc_co_u32_e32 v13, vcc, v19, v17, vcc
	v_addc_co_u32_e32 v15, vcc, 0, v15, vcc
	v_add_co_u32_e32 v13, vcc, v13, v14
	v_addc_co_u32_e32 v17, vcc, 0, v15, vcc
	v_mad_u64_u32 v[14:15], s[2:3], v13, s16, 0
	v_mov_b32_e32 v16, v15
	v_mad_u64_u32 v[16:17], s[2:3], v17, s16, v[16:17]
	v_sub_co_u32_e32 v12, vcc, v12, v14
	v_subb_co_u32_e32 v3, vcc, v3, v16, vcc
	v_subrev_co_u32_e32 v14, vcc, s16, v12
	v_subbrev_co_u32_e32 v13, vcc, 0, v3, vcc
	v_subrev_co_u32_e32 v15, vcc, s16, v14
	v_subbrev_co_u32_e32 v16, vcc, 0, v13, vcc
	v_cmp_lt_u32_e32 vcc, s17, v14
	v_cndmask_b32_e64 v17, 0, -1, vcc
	v_cmp_eq_u32_e32 vcc, 0, v13
	v_cndmask_b32_e32 v17, -1, v17, vcc
	v_cmp_ne_u32_e32 vcc, 0, v17
	v_cmp_lt_u32_e64 s[2:3], s17, v12
	v_cndmask_b32_e32 v13, v13, v16, vcc
	v_cndmask_b32_e64 v16, 0, -1, s[2:3]
	v_cmp_eq_u32_e64 s[2:3], 0, v3
	v_cndmask_b32_e64 v16, -1, v16, s[2:3]
	v_cmp_ne_u32_e64 s[2:3], 0, v16
	v_cndmask_b32_e64 v13, v3, v13, s[2:3]
	v_cndmask_b32_e32 v3, v14, v15, vcc
	v_cndmask_b32_e64 v12, v12, v3, s[2:3]
	s_branch .LBB20_84
.LBB20_87:
	s_or_b64 exec, exec, s[10:11]
	s_movk_i32 s2, 0x401
	s_add_u32 s2, 0x402, s2
	v_mov_b32_e32 v1, 0xfffff800
	s_addc_u32 s3, 0, 0
	v_add_co_u32_e32 v1, vcc, s2, v1
	s_cmp_lg_u64 vcc, 0
	v_readfirstlane_b32 s10, v1
	s_addc_u32 s2, s3, 1
	s_mul_hi_u32 s11, s10, 0x80000001
	s_mul_i32 s3, s2, 0x80000001
	s_sub_i32 s11, s11, s10
	s_add_i32 s11, s11, s3
	s_mul_i32 s13, s10, 0x80000001
	s_mul_hi_u32 s3, s10, s11
	s_mul_i32 s12, s10, s11
	s_mul_hi_u32 s10, s10, s13
	s_add_u32 s10, s10, s12
	s_addc_u32 s3, 0, s3
	s_mul_hi_u32 s14, s2, s13
	s_mul_i32 s13, s2, s13
	s_add_u32 s10, s10, s13
	s_mul_hi_u32 s12, s2, s11
	s_addc_u32 s3, s3, s14
	s_addc_u32 s10, s12, 0
	s_mul_i32 s11, s2, s11
	s_add_u32 s3, s3, s11
	s_addc_u32 s10, 0, s10
	v_add_co_u32_e32 v1, vcc, s3, v1
	s_cmp_lg_u64 vcc, 0
	s_addc_u32 s10, s2, s10
	v_mad_u64_u32 v[10:11], s[2:3], v12, s10, 0
	v_mul_hi_u32 v3, v12, v1
	v_add_co_u32_e32 v3, vcc, v3, v10
	v_addc_co_u32_e32 v16, vcc, 0, v11, vcc
	v_mad_u64_u32 v[14:15], s[2:3], v13, v1, 0
	v_add_co_u32_e32 v1, vcc, v3, v14
	v_mad_u64_u32 v[10:11], s[2:3], v13, s10, 0
	v_addc_co_u32_e32 v1, vcc, v16, v15, vcc
	v_addc_co_u32_e32 v3, vcc, 0, v11, vcc
	v_add_co_u32_e32 v1, vcc, v1, v10
	s_brev_b32 s10, -2
	v_mad_u64_u32 v[10:11], s[2:3], v1, s10, 0
	v_addc_co_u32_e32 v3, vcc, 0, v3, vcc
	v_mov_b32_e32 v14, v11
	v_mad_u64_u32 v[14:15], s[2:3], v3, s10, v[14:15]
	v_sub_co_u32_e32 v1, vcc, v12, v10
	v_subb_co_u32_e32 v3, vcc, v13, v14, vcc
	v_subrev_co_u32_e32 v10, vcc, 0x7fffffff, v1
	v_subbrev_co_u32_e32 v11, vcc, 0, v3, vcc
	s_mov_b32 s2, 0x7ffffffe
	v_cmp_lt_u32_e32 vcc, s2, v10
	v_cndmask_b32_e64 v12, 0, -1, vcc
	v_cmp_eq_u32_e32 vcc, 0, v11
	v_cndmask_b32_e32 v11, -1, v12, vcc
	v_add_u32_e32 v12, 0x80000001, v10
	v_cmp_ne_u32_e32 vcc, 0, v11
	v_cndmask_b32_e32 v10, v10, v12, vcc
	v_cmp_lt_u32_e32 vcc, s2, v1
	v_cndmask_b32_e64 v11, 0, -1, vcc
	v_cmp_eq_u32_e32 vcc, 0, v3
	v_cndmask_b32_e32 v3, -1, v11, vcc
	v_cmp_ne_u32_e32 vcc, 0, v3
	v_cndmask_b32_e32 v11, v1, v10, vcc
.LBB20_88:
	s_or_b64 exec, exec, s[8:9]
	s_movk_i32 s8, 0x1388
	v_mov_b32_e32 v3, 0
	s_mov_b32 s9, 0xbc8f1391
	s_mov_b32 s10, 0xbc8f
	s_brev_b32 s11, 12
	s_mov_b32 s12, 0xf800000
	v_mov_b32_e32 v1, 0x260
.LBB20_89:                              ; =>This Inner Loop Header: Depth=1
	v_mul_hi_u32 v10, v11, s9
	v_lshrrev_b32_e32 v10, 15, v10
	v_mul_u32_u24_e32 v13, 0xadc8, v10
	v_sub_u32_e32 v11, v11, v13
	v_mul_u32_u24_e32 v10, 0xd47, v10
	v_mul_lo_u32 v11, v11, s10
	v_xor_b32_e32 v13, 0x7fffffff, v10
	v_sub_u32_e32 v14, 0, v10
	v_cmp_lt_u32_e32 vcc, v11, v10
	v_cndmask_b32_e32 v10, v14, v13, vcc
	v_add_u32_e32 v10, v10, v11
	v_mul_hi_u32 v13, v10, s9
	v_lshrrev_b32_e32 v13, 15, v13
	v_mul_u32_u24_e32 v14, 0xadc8, v13
	v_add_u32_e32 v11, -1, v10
	v_sub_u32_e32 v10, v10, v14
	v_mul_u32_u24_e32 v13, 0xd47, v13
	v_mul_lo_u32 v10, v10, s10
	v_xor_b32_e32 v14, 0x7fffffff, v13
	v_sub_u32_e32 v15, 0, v13
	v_cmp_lt_u32_e32 vcc, v10, v13
	v_cndmask_b32_e32 v13, v15, v14, vcc
	v_add_u32_e32 v10, v13, v10
	v_mul_hi_u32 v14, v10, s9
	v_add_u32_e32 v13, -1, v10
	v_lshrrev_b32_e32 v14, 15, v14
	v_cvt_f32_u32_e32 v13, v13
	v_mul_u32_u24_e32 v15, 0xadc8, v14
	v_cvt_f32_u32_e32 v11, v11
	v_sub_u32_e32 v10, v10, v15
	v_mul_u32_u24_e32 v14, 0xd47, v14
	v_mul_lo_u32 v10, v10, s10
	v_xor_b32_e32 v15, 0x7fffffff, v14
	v_sub_u32_e32 v16, 0, v14
	v_cmp_lt_u32_e32 vcc, v10, v14
	v_fma_f32 v13, v13, s11, 0
	v_cndmask_b32_e32 v14, v16, v15, vcc
	v_fma_f32 v11, v11, s11, 0
	v_mul_f32_e32 v13, v13, v13
	v_add_u32_e32 v10, v14, v10
	v_fmac_f32_e32 v13, v11, v11
	v_mul_hi_u32 v14, v10, s9
	v_add_u32_e32 v11, -1, v10
	v_mul_f32_e32 v15, 0x4f800000, v13
	v_lshrrev_b32_e32 v14, 15, v14
	v_cmp_gt_f32_e32 vcc, s12, v13
	v_cvt_f32_u32_e32 v11, v11
	v_cndmask_b32_e32 v13, v13, v15, vcc
	v_mul_u32_u24_e32 v15, 0xadc8, v14
	v_sqrt_f32_e32 v16, v13
	v_sub_u32_e32 v10, v10, v15
	v_mul_u32_u24_e32 v14, 0xd47, v14
	v_mul_lo_u32 v10, v10, s10
	v_xor_b32_e32 v15, 0x7fffffff, v14
	v_sub_u32_e32 v17, 0, v14
	v_cmp_lt_u32_e64 s[2:3], v10, v14
	v_fma_f32 v18, v11, s11, 0
	v_cndmask_b32_e64 v11, v17, v15, s[2:3]
	v_add_u32_e32 v11, v11, v10
	v_add_u32_e32 v10, -1, v16
	v_add_u32_e32 v14, 1, v16
	v_add_u32_e32 v15, -1, v11
	v_fma_f32 v17, -v10, v16, v13
	v_fma_f32 v19, -v14, v16, v13
	v_cvt_f32_u32_e32 v15, v15
	v_cmp_ge_f32_e64 s[2:3], 0, v17
	v_cndmask_b32_e64 v10, v16, v10, s[2:3]
	v_cmp_lt_f32_e64 s[2:3], 0, v19
	v_cndmask_b32_e64 v10, v10, v14, s[2:3]
	v_mul_f32_e32 v14, 0x37800000, v10
	v_cndmask_b32_e32 v10, v10, v14, vcc
	v_fma_f32 v14, v15, s11, 0
	v_cmp_class_f32_e32 vcc, v13, v1
	v_cndmask_b32_e32 v10, v10, v13, vcc
	v_mul_f32_e32 v13, v14, v14
	v_add_f32_e32 v12, 1.0, v3
	v_cmp_nge_f32_e32 vcc, 1.0, v10
	v_fmac_f32_e32 v13, v18, v18
	v_cndmask_b32_e32 v3, v12, v3, vcc
	v_mul_f32_e32 v10, 0x4f800000, v13
	v_cmp_gt_f32_e32 vcc, s12, v13
	v_cndmask_b32_e32 v10, v13, v10, vcc
	v_sqrt_f32_e32 v13, v10
	s_add_i32 s8, s8, -2
	v_add_f32_e32 v12, 1.0, v3
	s_cmp_lg_u32 s8, 0
	v_add_u32_e32 v14, -1, v13
	v_add_u32_e32 v15, 1, v13
	v_fma_f32 v16, -v14, v13, v10
	v_fma_f32 v17, -v15, v13, v10
	v_cmp_ge_f32_e64 s[2:3], 0, v16
	v_cndmask_b32_e64 v13, v13, v14, s[2:3]
	v_cmp_lt_f32_e64 s[2:3], 0, v17
	v_cndmask_b32_e64 v13, v13, v15, s[2:3]
	v_mul_f32_e32 v14, 0x37800000, v13
	v_cndmask_b32_e32 v13, v13, v14, vcc
	v_cmp_class_f32_e32 vcc, v10, v1
	v_cndmask_b32_e32 v10, v13, v10, vcc
	v_cmp_nge_f32_e32 vcc, 1.0, v10
	v_cndmask_b32_e32 v3, v12, v3, vcc
	s_cbranch_scc1 .LBB20_89
; %bb.90:
	v_mul_f32_e32 v1, 4.0, v3
	s_mov_b32 s8, 0x459c4000
	v_div_scale_f32 v3, s[2:3], s8, s8, v1
	v_rcp_f32_e32 v10, v3
	v_fma_f32 v11, -v3, v10, 1.0
	v_fmac_f32_e32 v10, v11, v10
	v_div_scale_f32 v11, vcc, v1, s8, v1
	v_mul_f32_e32 v12, v11, v10
	v_fma_f32 v13, -v3, v12, v11
	v_fmac_f32_e32 v12, v13, v10
	v_fma_f32 v3, -v3, v12, v11
	v_div_fmas_f32 v3, v3, v10, v12
	v_div_fixup_f32 v3, v3, s8, v1
.LBB20_91:
	s_or_b64 exec, exec, s[4:5]
	v_or_b32_e32 v1, 0x100, v0
	v_cmp_gt_u32_e64 s[2:3], s39, v1
	s_and_saveexec_b64 s[8:9], s[2:3]
	s_cbranch_execz .LBB20_101
; %bb.92:
	v_add_u32_e32 v1, s33, v1
	s_movk_i32 s4, 0x1388
	v_mul_lo_u32 v10, v1, s4
	v_cmp_ne_u32_e32 vcc, 0, v10
	v_mov_b32_e32 v11, 1
	s_and_saveexec_b64 s[10:11], vcc
	s_cbranch_execz .LBB20_98
; %bb.93:
	v_mov_b32_e32 v12, 1
	v_mov_b32_e32 v11, 0
	s_mov_b64 s[14:15], 0xbc8f
	s_mov_b64 s[12:13], 0
	v_mov_b32_e32 v13, 0
	s_brev_b32 s26, -2
	s_mov_b32 s27, 0x7ffffffe
	v_mov_b32_e32 v1, 0xfffff800
	s_movk_i32 s28, 0x401
	s_branch .LBB20_95
.LBB20_94:                              ;   in Loop: Header=BB20_95 Depth=1
	s_or_b64 exec, exec, s[16:17]
	s_mul_i32 s4, s14, s15
	s_mul_hi_u32 s5, s14, s14
	s_add_i32 s5, s5, s4
	s_add_i32 s4, s5, s4
	s_mul_i32 s5, s14, s14
	s_add_u32 s14, 0x402, s28
	s_addc_u32 s15, 0, 0
	v_add_co_u32_e32 v4, vcc, s14, v1
	s_cmp_lg_u64 vcc, 0
	v_readfirstlane_b32 s16, v4
	s_addc_u32 s14, s15, 1
	s_mul_hi_u32 s17, s16, 0x80000001
	s_mul_i32 s15, s14, 0x80000001
	s_sub_i32 s17, s17, s16
	s_add_i32 s17, s17, s15
	s_mul_i32 s30, s16, 0x80000001
	s_mul_hi_u32 s15, s16, s17
	s_mul_i32 s29, s16, s17
	s_mul_hi_u32 s16, s16, s30
	s_add_u32 s16, s16, s29
	s_addc_u32 s15, 0, s15
	s_mul_hi_u32 s31, s14, s30
	s_mul_i32 s30, s14, s30
	s_add_u32 s16, s16, s30
	s_mul_hi_u32 s29, s14, s17
	s_addc_u32 s15, s15, s31
	s_addc_u32 s16, s29, 0
	s_mul_i32 s17, s14, s17
	s_add_u32 s15, s15, s17
	s_addc_u32 s16, 0, s16
	v_add_co_u32_e32 v4, vcc, s15, v4
	s_cmp_lg_u64 vcc, 0
	s_addc_u32 s14, s14, s16
	v_readfirstlane_b32 s17, v4
	s_mul_i32 s16, s5, s14
	s_mul_hi_u32 s29, s5, s17
	s_mul_hi_u32 s15, s5, s14
	s_add_u32 s16, s29, s16
	s_addc_u32 s15, 0, s15
	s_mul_hi_u32 s30, s4, s17
	s_mul_i32 s17, s4, s17
	s_add_u32 s16, s16, s17
	s_mul_hi_u32 s29, s4, s14
	s_addc_u32 s15, s15, s30
	s_addc_u32 s16, s29, 0
	s_mul_i32 s14, s4, s14
	s_add_u32 s14, s15, s14
	s_addc_u32 s15, 0, s16
	s_mul_hi_u32 s16, s14, 0x7fffffff
	s_mul_i32 s14, s14, 0x7fffffff
	s_mul_i32 s15, s15, 0x7fffffff
	v_mov_b32_e32 v4, s14
	s_add_i32 s16, s16, s15
	v_sub_co_u32_e32 v4, vcc, s5, v4
	s_cmp_lg_u64 vcc, 0
	s_subb_u32 s4, s4, s16
	v_subrev_co_u32_e32 v16, vcc, s26, v4
	s_cmp_lg_u64 vcc, 0
	s_subb_u32 s5, s4, 0
	v_subrev_co_u32_e32 v17, vcc, s26, v16
	s_cmp_lg_u64 vcc, 0
	s_subb_u32 s14, s5, 0
	v_readfirstlane_b32 s15, v16
	s_cmp_gt_u32 s15, 0x7ffffffe
	s_cselect_b32 s16, -1, 0
	s_cmp_eq_u32 s5, 0
	s_cselect_b32 s16, s16, -1
	s_cmp_lg_u32 s16, 0
	s_cselect_b32 s5, s14, s5
	v_readfirstlane_b32 s14, v17
	v_readfirstlane_b32 s16, v4
	s_cselect_b32 s14, s14, s15
	s_cmp_gt_u32 s16, 0x7ffffffe
	s_cselect_b32 s15, -1, 0
	s_cmp_eq_u32 s4, 0
	s_cselect_b32 s15, s15, -1
	v_lshrrev_b64 v[14:15], 1, v[10:11]
	s_cmp_lg_u32 s15, 0
	v_cmp_gt_u64_e32 vcc, 2, v[10:11]
	s_cselect_b32 s15, s5, s4
	s_cselect_b32 s14, s14, s16
	s_or_b64 s[12:13], vcc, s[12:13]
	v_pk_mov_b32 v[10:11], v[14:15], v[14:15] op_sel:[0,1]
	s_andn2_b64 exec, exec, s[12:13]
	s_cbranch_execz .LBB20_97
.LBB20_95:                              ; =>This Inner Loop Header: Depth=1
	v_and_b32_e32 v4, 1, v10
	v_cmp_eq_u32_e32 vcc, 1, v4
	s_and_saveexec_b64 s[16:17], vcc
	s_cbranch_execz .LBB20_94
; %bb.96:                               ;   in Loop: Header=BB20_95 Depth=1
	v_mul_lo_u32 v4, s15, v12
	v_mul_lo_u32 v14, s14, v13
	v_mad_u64_u32 v[12:13], s[4:5], s14, v12, 0
	s_add_u32 s4, 0x402, s28
	v_add3_u32 v13, v13, v14, v4
	s_addc_u32 s5, 0, 0
	v_add_co_u32_e32 v4, vcc, s4, v1
	s_cmp_lg_u64 vcc, 0
	v_readfirstlane_b32 s29, v4
	s_addc_u32 s4, s5, 1
	s_mul_hi_u32 s30, s29, 0x80000001
	s_mul_i32 s5, s4, 0x80000001
	s_sub_i32 s30, s30, s29
	s_add_i32 s30, s30, s5
	s_mul_i32 s34, s29, 0x80000001
	s_mul_hi_u32 s5, s29, s30
	s_mul_i32 s31, s29, s30
	s_mul_hi_u32 s29, s29, s34
	s_add_u32 s29, s29, s31
	s_addc_u32 s5, 0, s5
	s_mul_hi_u32 s35, s4, s34
	s_mul_i32 s34, s4, s34
	s_add_u32 s29, s29, s34
	s_mul_hi_u32 s31, s4, s30
	s_addc_u32 s5, s5, s35
	s_addc_u32 s29, s31, 0
	s_mul_i32 s30, s4, s30
	s_add_u32 s5, s5, s30
	s_addc_u32 s29, 0, s29
	v_add_co_u32_e32 v4, vcc, s5, v4
	s_cmp_lg_u64 vcc, 0
	s_addc_u32 s29, s4, s29
	v_mad_u64_u32 v[14:15], s[4:5], v12, s29, 0
	v_mul_hi_u32 v16, v12, v4
	v_add_co_u32_e32 v18, vcc, v16, v14
	v_addc_co_u32_e32 v19, vcc, 0, v15, vcc
	v_mad_u64_u32 v[16:17], s[4:5], v13, v4, 0
	v_add_co_u32_e32 v4, vcc, v18, v16
	v_mad_u64_u32 v[14:15], s[4:5], v13, s29, 0
	v_addc_co_u32_e32 v4, vcc, v19, v17, vcc
	v_addc_co_u32_e32 v15, vcc, 0, v15, vcc
	v_add_co_u32_e32 v4, vcc, v4, v14
	v_addc_co_u32_e32 v16, vcc, 0, v15, vcc
	v_mad_u64_u32 v[14:15], s[4:5], v4, s26, 0
	v_mov_b32_e32 v4, v15
	v_mad_u64_u32 v[16:17], s[4:5], v16, s26, v[4:5]
	v_sub_co_u32_e32 v4, vcc, v12, v14
	v_subb_co_u32_e32 v12, vcc, v13, v16, vcc
	v_subrev_co_u32_e32 v14, vcc, s26, v4
	v_subbrev_co_u32_e32 v13, vcc, 0, v12, vcc
	v_subrev_co_u32_e32 v15, vcc, s26, v14
	v_subbrev_co_u32_e32 v16, vcc, 0, v13, vcc
	v_cmp_lt_u32_e32 vcc, s27, v14
	v_cndmask_b32_e64 v17, 0, -1, vcc
	v_cmp_eq_u32_e32 vcc, 0, v13
	v_cndmask_b32_e32 v17, -1, v17, vcc
	v_cmp_ne_u32_e32 vcc, 0, v17
	v_cmp_lt_u32_e64 s[4:5], s27, v4
	v_cndmask_b32_e32 v13, v13, v16, vcc
	v_cndmask_b32_e64 v16, 0, -1, s[4:5]
	v_cmp_eq_u32_e64 s[4:5], 0, v12
	v_cndmask_b32_e64 v16, -1, v16, s[4:5]
	v_cmp_ne_u32_e64 s[4:5], 0, v16
	v_cndmask_b32_e64 v13, v12, v13, s[4:5]
	v_cndmask_b32_e32 v12, v14, v15, vcc
	v_cndmask_b32_e64 v12, v4, v12, s[4:5]
	s_branch .LBB20_94
.LBB20_97:
	s_or_b64 exec, exec, s[12:13]
	s_movk_i32 s4, 0x401
	s_add_u32 s4, 0x402, s4
	v_mov_b32_e32 v1, 0xfffff800
	s_addc_u32 s5, 0, 0
	v_add_co_u32_e32 v1, vcc, s4, v1
	s_cmp_lg_u64 vcc, 0
	v_readfirstlane_b32 s12, v1
	s_addc_u32 s4, s5, 1
	s_mul_hi_u32 s13, s12, 0x80000001
	s_mul_i32 s5, s4, 0x80000001
	s_sub_i32 s13, s13, s12
	s_add_i32 s13, s13, s5
	s_mul_i32 s15, s12, 0x80000001
	s_mul_hi_u32 s5, s12, s13
	s_mul_i32 s14, s12, s13
	s_mul_hi_u32 s12, s12, s15
	s_add_u32 s12, s12, s14
	s_addc_u32 s5, 0, s5
	s_mul_hi_u32 s16, s4, s15
	s_mul_i32 s15, s4, s15
	s_add_u32 s12, s12, s15
	s_mul_hi_u32 s14, s4, s13
	s_addc_u32 s5, s5, s16
	s_addc_u32 s12, s14, 0
	s_mul_i32 s13, s4, s13
	s_add_u32 s5, s5, s13
	s_addc_u32 s12, 0, s12
	v_add_co_u32_e32 v1, vcc, s5, v1
	s_cmp_lg_u64 vcc, 0
	s_addc_u32 s12, s4, s12
	v_mad_u64_u32 v[10:11], s[4:5], v12, s12, 0
	v_mul_hi_u32 v4, v12, v1
	v_add_co_u32_e32 v4, vcc, v4, v10
	v_addc_co_u32_e32 v16, vcc, 0, v11, vcc
	v_mad_u64_u32 v[14:15], s[4:5], v13, v1, 0
	v_add_co_u32_e32 v1, vcc, v4, v14
	v_mad_u64_u32 v[10:11], s[4:5], v13, s12, 0
	v_addc_co_u32_e32 v1, vcc, v16, v15, vcc
	v_addc_co_u32_e32 v4, vcc, 0, v11, vcc
	v_add_co_u32_e32 v1, vcc, v1, v10
	s_brev_b32 s12, -2
	v_mad_u64_u32 v[10:11], s[4:5], v1, s12, 0
	v_addc_co_u32_e32 v14, vcc, 0, v4, vcc
	v_mov_b32_e32 v4, v11
	v_mad_u64_u32 v[14:15], s[4:5], v14, s12, v[4:5]
	v_sub_co_u32_e32 v1, vcc, v12, v10
	v_subb_co_u32_e32 v4, vcc, v13, v14, vcc
	v_subrev_co_u32_e32 v10, vcc, 0x7fffffff, v1
	v_subbrev_co_u32_e32 v11, vcc, 0, v4, vcc
	s_mov_b32 s4, 0x7ffffffe
	v_cmp_lt_u32_e32 vcc, s4, v10
	v_cndmask_b32_e64 v12, 0, -1, vcc
	v_cmp_eq_u32_e32 vcc, 0, v11
	v_cndmask_b32_e32 v11, -1, v12, vcc
	v_add_u32_e32 v12, 0x80000001, v10
	v_cmp_ne_u32_e32 vcc, 0, v11
	v_cndmask_b32_e32 v10, v10, v12, vcc
	v_cmp_lt_u32_e32 vcc, s4, v1
	v_cndmask_b32_e64 v11, 0, -1, vcc
	v_cmp_eq_u32_e32 vcc, 0, v4
	v_cndmask_b32_e32 v4, -1, v11, vcc
	v_cmp_ne_u32_e32 vcc, 0, v4
	v_cndmask_b32_e32 v11, v1, v10, vcc
.LBB20_98:
	s_or_b64 exec, exec, s[10:11]
	s_movk_i32 s10, 0x1388
	v_mov_b32_e32 v4, 0
	s_mov_b32 s11, 0xbc8f1391
	s_mov_b32 s12, 0xbc8f
	s_brev_b32 s13, 12
	s_mov_b32 s14, 0xf800000
	v_mov_b32_e32 v1, 0x260
.LBB20_99:                              ; =>This Inner Loop Header: Depth=1
	v_mul_hi_u32 v10, v11, s11
	v_lshrrev_b32_e32 v10, 15, v10
	v_mul_u32_u24_e32 v13, 0xadc8, v10
	v_sub_u32_e32 v11, v11, v13
	v_mul_u32_u24_e32 v10, 0xd47, v10
	v_mul_lo_u32 v11, v11, s12
	v_xor_b32_e32 v13, 0x7fffffff, v10
	v_sub_u32_e32 v14, 0, v10
	v_cmp_lt_u32_e32 vcc, v11, v10
	v_cndmask_b32_e32 v10, v14, v13, vcc
	v_add_u32_e32 v10, v10, v11
	v_mul_hi_u32 v13, v10, s11
	v_lshrrev_b32_e32 v13, 15, v13
	v_mul_u32_u24_e32 v14, 0xadc8, v13
	v_add_u32_e32 v11, -1, v10
	v_sub_u32_e32 v10, v10, v14
	v_mul_u32_u24_e32 v13, 0xd47, v13
	v_mul_lo_u32 v10, v10, s12
	v_xor_b32_e32 v14, 0x7fffffff, v13
	v_sub_u32_e32 v15, 0, v13
	v_cmp_lt_u32_e32 vcc, v10, v13
	v_cndmask_b32_e32 v13, v15, v14, vcc
	v_add_u32_e32 v10, v13, v10
	v_mul_hi_u32 v14, v10, s11
	v_add_u32_e32 v13, -1, v10
	v_lshrrev_b32_e32 v14, 15, v14
	v_cvt_f32_u32_e32 v13, v13
	v_mul_u32_u24_e32 v15, 0xadc8, v14
	v_cvt_f32_u32_e32 v11, v11
	v_sub_u32_e32 v10, v10, v15
	v_mul_u32_u24_e32 v14, 0xd47, v14
	v_mul_lo_u32 v10, v10, s12
	v_xor_b32_e32 v15, 0x7fffffff, v14
	v_sub_u32_e32 v16, 0, v14
	v_cmp_lt_u32_e32 vcc, v10, v14
	v_fma_f32 v13, v13, s13, 0
	v_cndmask_b32_e32 v14, v16, v15, vcc
	v_fma_f32 v11, v11, s13, 0
	v_mul_f32_e32 v13, v13, v13
	v_add_u32_e32 v10, v14, v10
	v_fmac_f32_e32 v13, v11, v11
	v_mul_hi_u32 v14, v10, s11
	v_add_u32_e32 v11, -1, v10
	v_mul_f32_e32 v15, 0x4f800000, v13
	v_lshrrev_b32_e32 v14, 15, v14
	v_cmp_gt_f32_e32 vcc, s14, v13
	v_cvt_f32_u32_e32 v11, v11
	v_cndmask_b32_e32 v13, v13, v15, vcc
	v_mul_u32_u24_e32 v15, 0xadc8, v14
	v_sqrt_f32_e32 v16, v13
	v_sub_u32_e32 v10, v10, v15
	v_mul_u32_u24_e32 v14, 0xd47, v14
	v_mul_lo_u32 v10, v10, s12
	v_xor_b32_e32 v15, 0x7fffffff, v14
	v_sub_u32_e32 v17, 0, v14
	v_cmp_lt_u32_e64 s[4:5], v10, v14
	v_fma_f32 v18, v11, s13, 0
	v_cndmask_b32_e64 v11, v17, v15, s[4:5]
	v_add_u32_e32 v11, v11, v10
	v_add_u32_e32 v10, -1, v16
	v_add_u32_e32 v14, 1, v16
	v_add_u32_e32 v15, -1, v11
	v_fma_f32 v17, -v10, v16, v13
	v_fma_f32 v19, -v14, v16, v13
	v_cvt_f32_u32_e32 v15, v15
	v_cmp_ge_f32_e64 s[4:5], 0, v17
	v_cndmask_b32_e64 v10, v16, v10, s[4:5]
	v_cmp_lt_f32_e64 s[4:5], 0, v19
	v_cndmask_b32_e64 v10, v10, v14, s[4:5]
	v_mul_f32_e32 v14, 0x37800000, v10
	v_cndmask_b32_e32 v10, v10, v14, vcc
	v_fma_f32 v14, v15, s13, 0
	v_cmp_class_f32_e32 vcc, v13, v1
	v_cndmask_b32_e32 v10, v10, v13, vcc
	v_mul_f32_e32 v13, v14, v14
	v_add_f32_e32 v12, 1.0, v4
	v_cmp_nge_f32_e32 vcc, 1.0, v10
	v_fmac_f32_e32 v13, v18, v18
	v_cndmask_b32_e32 v4, v12, v4, vcc
	v_mul_f32_e32 v10, 0x4f800000, v13
	v_cmp_gt_f32_e32 vcc, s14, v13
	v_cndmask_b32_e32 v10, v13, v10, vcc
	v_sqrt_f32_e32 v13, v10
	s_add_i32 s10, s10, -2
	v_add_f32_e32 v12, 1.0, v4
	s_cmp_lg_u32 s10, 0
	v_add_u32_e32 v14, -1, v13
	v_add_u32_e32 v15, 1, v13
	v_fma_f32 v16, -v14, v13, v10
	v_fma_f32 v17, -v15, v13, v10
	v_cmp_ge_f32_e64 s[4:5], 0, v16
	v_cndmask_b32_e64 v13, v13, v14, s[4:5]
	v_cmp_lt_f32_e64 s[4:5], 0, v17
	v_cndmask_b32_e64 v13, v13, v15, s[4:5]
	v_mul_f32_e32 v14, 0x37800000, v13
	v_cndmask_b32_e32 v13, v13, v14, vcc
	v_cmp_class_f32_e32 vcc, v10, v1
	v_cndmask_b32_e32 v10, v13, v10, vcc
	v_cmp_nge_f32_e32 vcc, 1.0, v10
	v_cndmask_b32_e32 v4, v12, v4, vcc
	s_cbranch_scc1 .LBB20_99
; %bb.100:
	v_mul_f32_e32 v1, 4.0, v4
	s_mov_b32 s10, 0x459c4000
	v_div_scale_f32 v4, s[4:5], s10, s10, v1
	v_rcp_f32_e32 v10, v4
	v_fma_f32 v11, -v4, v10, 1.0
	v_fmac_f32_e32 v10, v11, v10
	v_div_scale_f32 v11, vcc, v1, s10, v1
	v_mul_f32_e32 v12, v11, v10
	v_fma_f32 v13, -v4, v12, v11
	v_fmac_f32_e32 v12, v13, v10
	v_fma_f32 v4, -v4, v12, v11
	v_div_fmas_f32 v4, v4, v10, v12
	v_div_fixup_f32 v4, v4, s10, v1
.LBB20_101:
	s_or_b64 exec, exec, s[8:9]
	v_or_b32_e32 v1, 0x180, v0
	v_cmp_gt_u32_e64 s[4:5], s39, v1
	s_and_saveexec_b64 s[10:11], s[4:5]
	s_cbranch_execz .LBB20_111
; %bb.102:
	v_add_u32_e32 v1, s33, v1
	s_movk_i32 s8, 0x1388
	v_mul_lo_u32 v10, v1, s8
	v_cmp_ne_u32_e32 vcc, 0, v10
	v_mov_b32_e32 v11, 1
	s_and_saveexec_b64 s[12:13], vcc
	s_cbranch_execz .LBB20_108
; %bb.103:
	v_mov_b32_e32 v12, 1
	v_mov_b32_e32 v11, 0
	s_mov_b64 s[16:17], 0xbc8f
	s_mov_b64 s[14:15], 0
	v_mov_b32_e32 v13, 0
	s_brev_b32 s28, -2
	s_mov_b32 s29, 0x7ffffffe
	v_mov_b32_e32 v1, 0xfffff800
	s_movk_i32 s30, 0x401
	s_branch .LBB20_105
.LBB20_104:                             ;   in Loop: Header=BB20_105 Depth=1
	s_or_b64 exec, exec, s[26:27]
	s_mul_i32 s8, s16, s17
	s_mul_hi_u32 s9, s16, s16
	s_add_i32 s9, s9, s8
	s_add_i32 s8, s9, s8
	s_mul_i32 s9, s16, s16
	s_add_u32 s16, 0x402, s30
	s_addc_u32 s17, 0, 0
	v_add_co_u32_e32 v5, vcc, s16, v1
	s_cmp_lg_u64 vcc, 0
	v_readfirstlane_b32 s26, v5
	s_addc_u32 s16, s17, 1
	s_mul_hi_u32 s27, s26, 0x80000001
	s_mul_i32 s17, s16, 0x80000001
	s_sub_i32 s27, s27, s26
	s_add_i32 s27, s27, s17
	s_mul_i32 s34, s26, 0x80000001
	s_mul_hi_u32 s17, s26, s27
	s_mul_i32 s31, s26, s27
	s_mul_hi_u32 s26, s26, s34
	s_add_u32 s26, s26, s31
	s_addc_u32 s17, 0, s17
	s_mul_hi_u32 s35, s16, s34
	s_mul_i32 s34, s16, s34
	s_add_u32 s26, s26, s34
	s_mul_hi_u32 s31, s16, s27
	s_addc_u32 s17, s17, s35
	s_addc_u32 s26, s31, 0
	s_mul_i32 s27, s16, s27
	s_add_u32 s17, s17, s27
	s_addc_u32 s26, 0, s26
	v_add_co_u32_e32 v5, vcc, s17, v5
	s_cmp_lg_u64 vcc, 0
	s_addc_u32 s16, s16, s26
	v_readfirstlane_b32 s27, v5
	s_mul_i32 s26, s9, s16
	s_mul_hi_u32 s31, s9, s27
	s_mul_hi_u32 s17, s9, s16
	s_add_u32 s26, s31, s26
	s_addc_u32 s17, 0, s17
	s_mul_hi_u32 s34, s8, s27
	s_mul_i32 s27, s8, s27
	s_add_u32 s26, s26, s27
	s_mul_hi_u32 s31, s8, s16
	s_addc_u32 s17, s17, s34
	s_addc_u32 s26, s31, 0
	s_mul_i32 s16, s8, s16
	s_add_u32 s16, s17, s16
	s_addc_u32 s17, 0, s26
	s_mul_hi_u32 s26, s16, 0x7fffffff
	s_mul_i32 s16, s16, 0x7fffffff
	s_mul_i32 s17, s17, 0x7fffffff
	v_mov_b32_e32 v5, s16
	s_add_i32 s26, s26, s17
	v_sub_co_u32_e32 v5, vcc, s9, v5
	s_cmp_lg_u64 vcc, 0
	s_subb_u32 s8, s8, s26
	v_subrev_co_u32_e32 v16, vcc, s28, v5
	s_cmp_lg_u64 vcc, 0
	s_subb_u32 s9, s8, 0
	v_subrev_co_u32_e32 v17, vcc, s28, v16
	s_cmp_lg_u64 vcc, 0
	s_subb_u32 s16, s9, 0
	v_readfirstlane_b32 s17, v16
	s_cmp_gt_u32 s17, 0x7ffffffe
	s_cselect_b32 s26, -1, 0
	s_cmp_eq_u32 s9, 0
	s_cselect_b32 s26, s26, -1
	s_cmp_lg_u32 s26, 0
	s_cselect_b32 s9, s16, s9
	v_readfirstlane_b32 s16, v17
	v_readfirstlane_b32 s26, v5
	s_cselect_b32 s16, s16, s17
	s_cmp_gt_u32 s26, 0x7ffffffe
	s_cselect_b32 s17, -1, 0
	s_cmp_eq_u32 s8, 0
	s_cselect_b32 s17, s17, -1
	v_lshrrev_b64 v[14:15], 1, v[10:11]
	s_cmp_lg_u32 s17, 0
	v_cmp_gt_u64_e32 vcc, 2, v[10:11]
	s_cselect_b32 s17, s9, s8
	s_cselect_b32 s16, s16, s26
	s_or_b64 s[14:15], vcc, s[14:15]
	v_pk_mov_b32 v[10:11], v[14:15], v[14:15] op_sel:[0,1]
	s_andn2_b64 exec, exec, s[14:15]
	s_cbranch_execz .LBB20_107
.LBB20_105:                             ; =>This Inner Loop Header: Depth=1
	v_and_b32_e32 v5, 1, v10
	v_cmp_eq_u32_e32 vcc, 1, v5
	s_and_saveexec_b64 s[26:27], vcc
	s_cbranch_execz .LBB20_104
; %bb.106:                              ;   in Loop: Header=BB20_105 Depth=1
	v_mul_lo_u32 v5, s17, v12
	v_mul_lo_u32 v14, s16, v13
	v_mad_u64_u32 v[12:13], s[8:9], s16, v12, 0
	s_add_u32 s8, 0x402, s30
	v_add3_u32 v5, v13, v14, v5
	s_addc_u32 s9, 0, 0
	v_add_co_u32_e32 v13, vcc, s8, v1
	s_cmp_lg_u64 vcc, 0
	v_readfirstlane_b32 s31, v13
	s_addc_u32 s8, s9, 1
	s_mul_hi_u32 s34, s31, 0x80000001
	s_mul_i32 s9, s8, 0x80000001
	s_sub_i32 s34, s34, s31
	s_add_i32 s34, s34, s9
	s_mul_i32 s36, s31, 0x80000001
	s_mul_hi_u32 s9, s31, s34
	s_mul_i32 s35, s31, s34
	s_mul_hi_u32 s31, s31, s36
	s_add_u32 s31, s31, s35
	s_addc_u32 s9, 0, s9
	s_mul_hi_u32 s37, s8, s36
	s_mul_i32 s36, s8, s36
	s_add_u32 s31, s31, s36
	s_mul_hi_u32 s35, s8, s34
	s_addc_u32 s9, s9, s37
	s_addc_u32 s31, s35, 0
	s_mul_i32 s34, s8, s34
	s_add_u32 s9, s9, s34
	s_addc_u32 s31, 0, s31
	v_add_co_u32_e32 v13, vcc, s9, v13
	s_cmp_lg_u64 vcc, 0
	s_addc_u32 s31, s8, s31
	v_mad_u64_u32 v[14:15], s[8:9], v12, s31, 0
	v_mul_hi_u32 v16, v12, v13
	v_add_co_u32_e32 v18, vcc, v16, v14
	v_addc_co_u32_e32 v19, vcc, 0, v15, vcc
	v_mad_u64_u32 v[16:17], s[8:9], v5, v13, 0
	v_add_co_u32_e32 v13, vcc, v18, v16
	v_mad_u64_u32 v[14:15], s[8:9], v5, s31, 0
	v_addc_co_u32_e32 v13, vcc, v19, v17, vcc
	v_addc_co_u32_e32 v15, vcc, 0, v15, vcc
	v_add_co_u32_e32 v13, vcc, v13, v14
	v_addc_co_u32_e32 v17, vcc, 0, v15, vcc
	v_mad_u64_u32 v[14:15], s[8:9], v13, s28, 0
	v_mov_b32_e32 v16, v15
	v_mad_u64_u32 v[16:17], s[8:9], v17, s28, v[16:17]
	v_sub_co_u32_e32 v12, vcc, v12, v14
	v_subb_co_u32_e32 v5, vcc, v5, v16, vcc
	v_subrev_co_u32_e32 v14, vcc, s28, v12
	v_subbrev_co_u32_e32 v13, vcc, 0, v5, vcc
	v_subrev_co_u32_e32 v15, vcc, s28, v14
	v_subbrev_co_u32_e32 v16, vcc, 0, v13, vcc
	v_cmp_lt_u32_e32 vcc, s29, v14
	v_cndmask_b32_e64 v17, 0, -1, vcc
	v_cmp_eq_u32_e32 vcc, 0, v13
	v_cndmask_b32_e32 v17, -1, v17, vcc
	v_cmp_ne_u32_e32 vcc, 0, v17
	v_cmp_lt_u32_e64 s[8:9], s29, v12
	v_cndmask_b32_e32 v13, v13, v16, vcc
	v_cndmask_b32_e64 v16, 0, -1, s[8:9]
	v_cmp_eq_u32_e64 s[8:9], 0, v5
	v_cndmask_b32_e64 v16, -1, v16, s[8:9]
	v_cmp_ne_u32_e64 s[8:9], 0, v16
	v_cndmask_b32_e64 v13, v5, v13, s[8:9]
	v_cndmask_b32_e32 v5, v14, v15, vcc
	v_cndmask_b32_e64 v12, v12, v5, s[8:9]
	s_branch .LBB20_104
.LBB20_107:
	s_or_b64 exec, exec, s[14:15]
	s_movk_i32 s8, 0x401
	s_add_u32 s8, 0x402, s8
	v_mov_b32_e32 v1, 0xfffff800
	s_addc_u32 s9, 0, 0
	v_add_co_u32_e32 v1, vcc, s8, v1
	s_cmp_lg_u64 vcc, 0
	v_readfirstlane_b32 s14, v1
	s_addc_u32 s8, s9, 1
	s_mul_hi_u32 s15, s14, 0x80000001
	s_mul_i32 s9, s8, 0x80000001
	s_sub_i32 s15, s15, s14
	s_add_i32 s15, s15, s9
	s_mul_i32 s17, s14, 0x80000001
	s_mul_hi_u32 s9, s14, s15
	s_mul_i32 s16, s14, s15
	s_mul_hi_u32 s14, s14, s17
	s_add_u32 s14, s14, s16
	s_addc_u32 s9, 0, s9
	s_mul_hi_u32 s26, s8, s17
	s_mul_i32 s17, s8, s17
	s_add_u32 s14, s14, s17
	s_mul_hi_u32 s16, s8, s15
	s_addc_u32 s9, s9, s26
	s_addc_u32 s14, s16, 0
	s_mul_i32 s15, s8, s15
	s_add_u32 s9, s9, s15
	s_addc_u32 s14, 0, s14
	v_add_co_u32_e32 v1, vcc, s9, v1
	s_cmp_lg_u64 vcc, 0
	s_addc_u32 s14, s8, s14
	v_mad_u64_u32 v[10:11], s[8:9], v12, s14, 0
	v_mul_hi_u32 v5, v12, v1
	v_add_co_u32_e32 v5, vcc, v5, v10
	v_addc_co_u32_e32 v16, vcc, 0, v11, vcc
	v_mad_u64_u32 v[14:15], s[8:9], v13, v1, 0
	v_add_co_u32_e32 v1, vcc, v5, v14
	v_mad_u64_u32 v[10:11], s[8:9], v13, s14, 0
	v_addc_co_u32_e32 v1, vcc, v16, v15, vcc
	v_addc_co_u32_e32 v5, vcc, 0, v11, vcc
	v_add_co_u32_e32 v1, vcc, v1, v10
	s_brev_b32 s14, -2
	v_mad_u64_u32 v[10:11], s[8:9], v1, s14, 0
	v_addc_co_u32_e32 v5, vcc, 0, v5, vcc
	v_mov_b32_e32 v14, v11
	v_mad_u64_u32 v[14:15], s[8:9], v5, s14, v[14:15]
	v_sub_co_u32_e32 v1, vcc, v12, v10
	v_subb_co_u32_e32 v5, vcc, v13, v14, vcc
	v_subrev_co_u32_e32 v10, vcc, 0x7fffffff, v1
	v_subbrev_co_u32_e32 v11, vcc, 0, v5, vcc
	s_mov_b32 s8, 0x7ffffffe
	v_cmp_lt_u32_e32 vcc, s8, v10
	v_cndmask_b32_e64 v12, 0, -1, vcc
	v_cmp_eq_u32_e32 vcc, 0, v11
	v_cndmask_b32_e32 v11, -1, v12, vcc
	v_add_u32_e32 v12, 0x80000001, v10
	v_cmp_ne_u32_e32 vcc, 0, v11
	v_cndmask_b32_e32 v10, v10, v12, vcc
	v_cmp_lt_u32_e32 vcc, s8, v1
	v_cndmask_b32_e64 v11, 0, -1, vcc
	v_cmp_eq_u32_e32 vcc, 0, v5
	v_cndmask_b32_e32 v5, -1, v11, vcc
	v_cmp_ne_u32_e32 vcc, 0, v5
	v_cndmask_b32_e32 v11, v1, v10, vcc
.LBB20_108:
	s_or_b64 exec, exec, s[12:13]
	s_movk_i32 s12, 0x1388
	v_mov_b32_e32 v5, 0
	s_mov_b32 s13, 0xbc8f1391
	s_mov_b32 s14, 0xbc8f
	s_brev_b32 s15, 12
	s_mov_b32 s16, 0xf800000
	v_mov_b32_e32 v1, 0x260
.LBB20_109:                             ; =>This Inner Loop Header: Depth=1
	v_mul_hi_u32 v10, v11, s13
	v_lshrrev_b32_e32 v10, 15, v10
	v_mul_u32_u24_e32 v13, 0xadc8, v10
	v_sub_u32_e32 v11, v11, v13
	v_mul_u32_u24_e32 v10, 0xd47, v10
	v_mul_lo_u32 v11, v11, s14
	v_xor_b32_e32 v13, 0x7fffffff, v10
	v_sub_u32_e32 v14, 0, v10
	v_cmp_lt_u32_e32 vcc, v11, v10
	v_cndmask_b32_e32 v10, v14, v13, vcc
	v_add_u32_e32 v10, v10, v11
	v_mul_hi_u32 v13, v10, s13
	v_lshrrev_b32_e32 v13, 15, v13
	v_mul_u32_u24_e32 v14, 0xadc8, v13
	v_add_u32_e32 v11, -1, v10
	v_sub_u32_e32 v10, v10, v14
	v_mul_u32_u24_e32 v13, 0xd47, v13
	v_mul_lo_u32 v10, v10, s14
	v_xor_b32_e32 v14, 0x7fffffff, v13
	v_sub_u32_e32 v15, 0, v13
	v_cmp_lt_u32_e32 vcc, v10, v13
	v_cndmask_b32_e32 v13, v15, v14, vcc
	v_add_u32_e32 v10, v13, v10
	v_mul_hi_u32 v14, v10, s13
	v_add_u32_e32 v13, -1, v10
	v_lshrrev_b32_e32 v14, 15, v14
	v_cvt_f32_u32_e32 v13, v13
	v_mul_u32_u24_e32 v15, 0xadc8, v14
	v_cvt_f32_u32_e32 v11, v11
	v_sub_u32_e32 v10, v10, v15
	v_mul_u32_u24_e32 v14, 0xd47, v14
	v_mul_lo_u32 v10, v10, s14
	v_xor_b32_e32 v15, 0x7fffffff, v14
	v_sub_u32_e32 v16, 0, v14
	v_cmp_lt_u32_e32 vcc, v10, v14
	v_fma_f32 v13, v13, s15, 0
	v_cndmask_b32_e32 v14, v16, v15, vcc
	v_fma_f32 v11, v11, s15, 0
	v_mul_f32_e32 v13, v13, v13
	v_add_u32_e32 v10, v14, v10
	v_fmac_f32_e32 v13, v11, v11
	v_mul_hi_u32 v14, v10, s13
	v_add_u32_e32 v11, -1, v10
	v_mul_f32_e32 v15, 0x4f800000, v13
	v_lshrrev_b32_e32 v14, 15, v14
	v_cmp_gt_f32_e32 vcc, s16, v13
	v_cvt_f32_u32_e32 v11, v11
	v_cndmask_b32_e32 v13, v13, v15, vcc
	v_mul_u32_u24_e32 v15, 0xadc8, v14
	v_sqrt_f32_e32 v16, v13
	v_sub_u32_e32 v10, v10, v15
	v_mul_u32_u24_e32 v14, 0xd47, v14
	v_mul_lo_u32 v10, v10, s14
	v_xor_b32_e32 v15, 0x7fffffff, v14
	v_sub_u32_e32 v17, 0, v14
	v_cmp_lt_u32_e64 s[8:9], v10, v14
	v_fma_f32 v18, v11, s15, 0
	v_cndmask_b32_e64 v11, v17, v15, s[8:9]
	v_add_u32_e32 v11, v11, v10
	v_add_u32_e32 v10, -1, v16
	v_add_u32_e32 v14, 1, v16
	v_add_u32_e32 v15, -1, v11
	v_fma_f32 v17, -v10, v16, v13
	v_fma_f32 v19, -v14, v16, v13
	v_cvt_f32_u32_e32 v15, v15
	v_cmp_ge_f32_e64 s[8:9], 0, v17
	v_cndmask_b32_e64 v10, v16, v10, s[8:9]
	v_cmp_lt_f32_e64 s[8:9], 0, v19
	v_cndmask_b32_e64 v10, v10, v14, s[8:9]
	v_mul_f32_e32 v14, 0x37800000, v10
	v_cndmask_b32_e32 v10, v10, v14, vcc
	v_fma_f32 v14, v15, s15, 0
	v_cmp_class_f32_e32 vcc, v13, v1
	v_cndmask_b32_e32 v10, v10, v13, vcc
	v_mul_f32_e32 v13, v14, v14
	v_add_f32_e32 v12, 1.0, v5
	v_cmp_nge_f32_e32 vcc, 1.0, v10
	v_fmac_f32_e32 v13, v18, v18
	v_cndmask_b32_e32 v5, v12, v5, vcc
	v_mul_f32_e32 v10, 0x4f800000, v13
	v_cmp_gt_f32_e32 vcc, s16, v13
	v_cndmask_b32_e32 v10, v13, v10, vcc
	v_sqrt_f32_e32 v13, v10
	s_add_i32 s12, s12, -2
	v_add_f32_e32 v12, 1.0, v5
	s_cmp_lg_u32 s12, 0
	v_add_u32_e32 v14, -1, v13
	v_add_u32_e32 v15, 1, v13
	v_fma_f32 v16, -v14, v13, v10
	v_fma_f32 v17, -v15, v13, v10
	v_cmp_ge_f32_e64 s[8:9], 0, v16
	v_cndmask_b32_e64 v13, v13, v14, s[8:9]
	v_cmp_lt_f32_e64 s[8:9], 0, v17
	v_cndmask_b32_e64 v13, v13, v15, s[8:9]
	v_mul_f32_e32 v14, 0x37800000, v13
	v_cndmask_b32_e32 v13, v13, v14, vcc
	v_cmp_class_f32_e32 vcc, v10, v1
	v_cndmask_b32_e32 v10, v13, v10, vcc
	v_cmp_nge_f32_e32 vcc, 1.0, v10
	v_cndmask_b32_e32 v5, v12, v5, vcc
	s_cbranch_scc1 .LBB20_109
; %bb.110:
	v_mul_f32_e32 v1, 4.0, v5
	s_mov_b32 s12, 0x459c4000
	v_div_scale_f32 v5, s[8:9], s12, s12, v1
	v_rcp_f32_e32 v10, v5
	v_fma_f32 v11, -v5, v10, 1.0
	v_fmac_f32_e32 v10, v11, v10
	v_div_scale_f32 v11, vcc, v1, s12, v1
	v_mul_f32_e32 v12, v11, v10
	v_fma_f32 v13, -v5, v12, v11
	v_fmac_f32_e32 v12, v13, v10
	v_fma_f32 v5, -v5, v12, v11
	v_div_fmas_f32 v5, v5, v10, v12
	v_div_fixup_f32 v5, v5, s12, v1
.LBB20_111:
	s_or_b64 exec, exec, s[10:11]
	v_or_b32_e32 v1, 0x200, v0
	v_cmp_gt_u32_e64 s[8:9], s39, v1
	s_and_saveexec_b64 s[12:13], s[8:9]
	s_cbranch_execz .LBB20_121
; %bb.112:
	v_add_u32_e32 v1, s33, v1
	s_movk_i32 s10, 0x1388
	v_mul_lo_u32 v10, v1, s10
	v_cmp_ne_u32_e32 vcc, 0, v10
	v_mov_b32_e32 v11, 1
	s_and_saveexec_b64 s[14:15], vcc
	s_cbranch_execz .LBB20_118
; %bb.113:
	v_mov_b32_e32 v12, 1
	v_mov_b32_e32 v11, 0
	s_mov_b64 s[26:27], 0xbc8f
	s_mov_b64 s[16:17], 0
	v_mov_b32_e32 v13, 0
	s_brev_b32 s30, -2
	s_mov_b32 s31, 0x7ffffffe
	v_mov_b32_e32 v1, 0xfffff800
	s_movk_i32 s34, 0x401
	s_branch .LBB20_115
.LBB20_114:                             ;   in Loop: Header=BB20_115 Depth=1
	s_or_b64 exec, exec, s[28:29]
	s_mul_i32 s10, s26, s27
	s_mul_hi_u32 s11, s26, s26
	s_add_i32 s11, s11, s10
	s_add_i32 s10, s11, s10
	s_mul_i32 s11, s26, s26
	s_add_u32 s26, 0x402, s34
	s_addc_u32 s27, 0, 0
	v_add_co_u32_e32 v6, vcc, s26, v1
	s_cmp_lg_u64 vcc, 0
	v_readfirstlane_b32 s28, v6
	s_addc_u32 s26, s27, 1
	s_mul_hi_u32 s29, s28, 0x80000001
	s_mul_i32 s27, s26, 0x80000001
	s_sub_i32 s29, s29, s28
	s_add_i32 s29, s29, s27
	s_mul_i32 s36, s28, 0x80000001
	s_mul_hi_u32 s27, s28, s29
	s_mul_i32 s35, s28, s29
	s_mul_hi_u32 s28, s28, s36
	s_add_u32 s28, s28, s35
	s_addc_u32 s27, 0, s27
	s_mul_hi_u32 s37, s26, s36
	s_mul_i32 s36, s26, s36
	s_add_u32 s28, s28, s36
	s_mul_hi_u32 s35, s26, s29
	s_addc_u32 s27, s27, s37
	s_addc_u32 s28, s35, 0
	s_mul_i32 s29, s26, s29
	s_add_u32 s27, s27, s29
	s_addc_u32 s28, 0, s28
	v_add_co_u32_e32 v6, vcc, s27, v6
	s_cmp_lg_u64 vcc, 0
	s_addc_u32 s26, s26, s28
	v_readfirstlane_b32 s29, v6
	s_mul_i32 s28, s11, s26
	s_mul_hi_u32 s35, s11, s29
	s_mul_hi_u32 s27, s11, s26
	s_add_u32 s28, s35, s28
	s_addc_u32 s27, 0, s27
	s_mul_hi_u32 s36, s10, s29
	s_mul_i32 s29, s10, s29
	s_add_u32 s28, s28, s29
	s_mul_hi_u32 s35, s10, s26
	s_addc_u32 s27, s27, s36
	s_addc_u32 s28, s35, 0
	s_mul_i32 s26, s10, s26
	s_add_u32 s26, s27, s26
	s_addc_u32 s27, 0, s28
	s_mul_hi_u32 s28, s26, 0x7fffffff
	s_mul_i32 s26, s26, 0x7fffffff
	s_mul_i32 s27, s27, 0x7fffffff
	v_mov_b32_e32 v6, s26
	s_add_i32 s28, s28, s27
	v_sub_co_u32_e32 v6, vcc, s11, v6
	s_cmp_lg_u64 vcc, 0
	s_subb_u32 s10, s10, s28
	v_subrev_co_u32_e32 v16, vcc, s30, v6
	s_cmp_lg_u64 vcc, 0
	s_subb_u32 s11, s10, 0
	v_subrev_co_u32_e32 v17, vcc, s30, v16
	s_cmp_lg_u64 vcc, 0
	s_subb_u32 s26, s11, 0
	v_readfirstlane_b32 s27, v16
	s_cmp_gt_u32 s27, 0x7ffffffe
	s_cselect_b32 s28, -1, 0
	s_cmp_eq_u32 s11, 0
	s_cselect_b32 s28, s28, -1
	s_cmp_lg_u32 s28, 0
	s_cselect_b32 s11, s26, s11
	v_readfirstlane_b32 s26, v17
	v_readfirstlane_b32 s28, v6
	s_cselect_b32 s26, s26, s27
	s_cmp_gt_u32 s28, 0x7ffffffe
	s_cselect_b32 s27, -1, 0
	s_cmp_eq_u32 s10, 0
	s_cselect_b32 s27, s27, -1
	v_lshrrev_b64 v[14:15], 1, v[10:11]
	s_cmp_lg_u32 s27, 0
	v_cmp_gt_u64_e32 vcc, 2, v[10:11]
	s_cselect_b32 s27, s11, s10
	s_cselect_b32 s26, s26, s28
	s_or_b64 s[16:17], vcc, s[16:17]
	v_pk_mov_b32 v[10:11], v[14:15], v[14:15] op_sel:[0,1]
	s_andn2_b64 exec, exec, s[16:17]
	s_cbranch_execz .LBB20_117
.LBB20_115:                             ; =>This Inner Loop Header: Depth=1
	v_and_b32_e32 v6, 1, v10
	v_cmp_eq_u32_e32 vcc, 1, v6
	s_and_saveexec_b64 s[28:29], vcc
	s_cbranch_execz .LBB20_114
; %bb.116:                              ;   in Loop: Header=BB20_115 Depth=1
	v_mul_lo_u32 v6, s27, v12
	v_mul_lo_u32 v14, s26, v13
	v_mad_u64_u32 v[12:13], s[10:11], s26, v12, 0
	s_add_u32 s10, 0x402, s34
	v_add3_u32 v13, v13, v14, v6
	s_addc_u32 s11, 0, 0
	v_add_co_u32_e32 v6, vcc, s10, v1
	s_cmp_lg_u64 vcc, 0
	v_readfirstlane_b32 s35, v6
	s_addc_u32 s10, s11, 1
	s_mul_hi_u32 s36, s35, 0x80000001
	s_mul_i32 s11, s10, 0x80000001
	s_sub_i32 s36, s36, s35
	s_add_i32 s36, s36, s11
	s_mul_i32 s40, s35, 0x80000001
	s_mul_hi_u32 s11, s35, s36
	s_mul_i32 s37, s35, s36
	s_mul_hi_u32 s35, s35, s40
	s_add_u32 s35, s35, s37
	s_addc_u32 s11, 0, s11
	s_mul_hi_u32 s41, s10, s40
	s_mul_i32 s40, s10, s40
	s_add_u32 s35, s35, s40
	s_mul_hi_u32 s37, s10, s36
	s_addc_u32 s11, s11, s41
	s_addc_u32 s35, s37, 0
	s_mul_i32 s36, s10, s36
	s_add_u32 s11, s11, s36
	s_addc_u32 s35, 0, s35
	v_add_co_u32_e32 v6, vcc, s11, v6
	s_cmp_lg_u64 vcc, 0
	s_addc_u32 s35, s10, s35
	v_mad_u64_u32 v[14:15], s[10:11], v12, s35, 0
	v_mul_hi_u32 v16, v12, v6
	v_add_co_u32_e32 v18, vcc, v16, v14
	v_addc_co_u32_e32 v19, vcc, 0, v15, vcc
	v_mad_u64_u32 v[16:17], s[10:11], v13, v6, 0
	v_add_co_u32_e32 v6, vcc, v18, v16
	v_mad_u64_u32 v[14:15], s[10:11], v13, s35, 0
	v_addc_co_u32_e32 v6, vcc, v19, v17, vcc
	v_addc_co_u32_e32 v15, vcc, 0, v15, vcc
	v_add_co_u32_e32 v6, vcc, v6, v14
	v_addc_co_u32_e32 v16, vcc, 0, v15, vcc
	v_mad_u64_u32 v[14:15], s[10:11], v6, s30, 0
	v_mov_b32_e32 v6, v15
	v_mad_u64_u32 v[16:17], s[10:11], v16, s30, v[6:7]
	v_sub_co_u32_e32 v6, vcc, v12, v14
	v_subb_co_u32_e32 v12, vcc, v13, v16, vcc
	v_subrev_co_u32_e32 v14, vcc, s30, v6
	v_subbrev_co_u32_e32 v13, vcc, 0, v12, vcc
	v_subrev_co_u32_e32 v15, vcc, s30, v14
	v_subbrev_co_u32_e32 v16, vcc, 0, v13, vcc
	v_cmp_lt_u32_e32 vcc, s31, v14
	v_cndmask_b32_e64 v17, 0, -1, vcc
	v_cmp_eq_u32_e32 vcc, 0, v13
	v_cndmask_b32_e32 v17, -1, v17, vcc
	v_cmp_ne_u32_e32 vcc, 0, v17
	v_cmp_lt_u32_e64 s[10:11], s31, v6
	v_cndmask_b32_e32 v13, v13, v16, vcc
	v_cndmask_b32_e64 v16, 0, -1, s[10:11]
	v_cmp_eq_u32_e64 s[10:11], 0, v12
	v_cndmask_b32_e64 v16, -1, v16, s[10:11]
	v_cmp_ne_u32_e64 s[10:11], 0, v16
	v_cndmask_b32_e64 v13, v12, v13, s[10:11]
	v_cndmask_b32_e32 v12, v14, v15, vcc
	v_cndmask_b32_e64 v12, v6, v12, s[10:11]
	s_branch .LBB20_114
.LBB20_117:
	s_or_b64 exec, exec, s[16:17]
	s_movk_i32 s10, 0x401
	s_add_u32 s10, 0x402, s10
	v_mov_b32_e32 v1, 0xfffff800
	s_addc_u32 s11, 0, 0
	v_add_co_u32_e32 v1, vcc, s10, v1
	s_cmp_lg_u64 vcc, 0
	v_readfirstlane_b32 s16, v1
	s_addc_u32 s10, s11, 1
	s_mul_hi_u32 s17, s16, 0x80000001
	s_mul_i32 s11, s10, 0x80000001
	s_sub_i32 s17, s17, s16
	s_add_i32 s17, s17, s11
	s_mul_i32 s27, s16, 0x80000001
	s_mul_hi_u32 s11, s16, s17
	s_mul_i32 s26, s16, s17
	s_mul_hi_u32 s16, s16, s27
	s_add_u32 s16, s16, s26
	s_addc_u32 s11, 0, s11
	s_mul_hi_u32 s28, s10, s27
	s_mul_i32 s27, s10, s27
	s_add_u32 s16, s16, s27
	s_mul_hi_u32 s26, s10, s17
	s_addc_u32 s11, s11, s28
	s_addc_u32 s16, s26, 0
	s_mul_i32 s17, s10, s17
	s_add_u32 s11, s11, s17
	s_addc_u32 s16, 0, s16
	v_add_co_u32_e32 v1, vcc, s11, v1
	s_cmp_lg_u64 vcc, 0
	s_addc_u32 s16, s10, s16
	v_mad_u64_u32 v[10:11], s[10:11], v12, s16, 0
	v_mul_hi_u32 v6, v12, v1
	v_add_co_u32_e32 v6, vcc, v6, v10
	v_addc_co_u32_e32 v16, vcc, 0, v11, vcc
	v_mad_u64_u32 v[14:15], s[10:11], v13, v1, 0
	v_add_co_u32_e32 v1, vcc, v6, v14
	v_mad_u64_u32 v[10:11], s[10:11], v13, s16, 0
	v_addc_co_u32_e32 v1, vcc, v16, v15, vcc
	v_addc_co_u32_e32 v6, vcc, 0, v11, vcc
	v_add_co_u32_e32 v1, vcc, v1, v10
	s_brev_b32 s16, -2
	v_mad_u64_u32 v[10:11], s[10:11], v1, s16, 0
	v_addc_co_u32_e32 v14, vcc, 0, v6, vcc
	v_mov_b32_e32 v6, v11
	v_mad_u64_u32 v[14:15], s[10:11], v14, s16, v[6:7]
	v_sub_co_u32_e32 v1, vcc, v12, v10
	v_subb_co_u32_e32 v6, vcc, v13, v14, vcc
	v_subrev_co_u32_e32 v10, vcc, 0x7fffffff, v1
	v_subbrev_co_u32_e32 v11, vcc, 0, v6, vcc
	s_mov_b32 s10, 0x7ffffffe
	v_cmp_lt_u32_e32 vcc, s10, v10
	v_cndmask_b32_e64 v12, 0, -1, vcc
	v_cmp_eq_u32_e32 vcc, 0, v11
	v_cndmask_b32_e32 v11, -1, v12, vcc
	v_add_u32_e32 v12, 0x80000001, v10
	v_cmp_ne_u32_e32 vcc, 0, v11
	v_cndmask_b32_e32 v10, v10, v12, vcc
	v_cmp_lt_u32_e32 vcc, s10, v1
	v_cndmask_b32_e64 v11, 0, -1, vcc
	v_cmp_eq_u32_e32 vcc, 0, v6
	v_cndmask_b32_e32 v6, -1, v11, vcc
	v_cmp_ne_u32_e32 vcc, 0, v6
	v_cndmask_b32_e32 v11, v1, v10, vcc
.LBB20_118:
	s_or_b64 exec, exec, s[14:15]
	s_movk_i32 s14, 0x1388
	v_mov_b32_e32 v6, 0
	s_mov_b32 s15, 0xbc8f1391
	s_mov_b32 s16, 0xbc8f
	s_brev_b32 s17, 12
	s_mov_b32 s26, 0xf800000
	v_mov_b32_e32 v1, 0x260
.LBB20_119:                             ; =>This Inner Loop Header: Depth=1
	v_mul_hi_u32 v10, v11, s15
	v_lshrrev_b32_e32 v10, 15, v10
	v_mul_u32_u24_e32 v13, 0xadc8, v10
	v_sub_u32_e32 v11, v11, v13
	v_mul_u32_u24_e32 v10, 0xd47, v10
	v_mul_lo_u32 v11, v11, s16
	v_xor_b32_e32 v13, 0x7fffffff, v10
	v_sub_u32_e32 v14, 0, v10
	v_cmp_lt_u32_e32 vcc, v11, v10
	v_cndmask_b32_e32 v10, v14, v13, vcc
	v_add_u32_e32 v10, v10, v11
	v_mul_hi_u32 v13, v10, s15
	v_lshrrev_b32_e32 v13, 15, v13
	v_mul_u32_u24_e32 v14, 0xadc8, v13
	v_add_u32_e32 v11, -1, v10
	v_sub_u32_e32 v10, v10, v14
	v_mul_u32_u24_e32 v13, 0xd47, v13
	v_mul_lo_u32 v10, v10, s16
	v_xor_b32_e32 v14, 0x7fffffff, v13
	v_sub_u32_e32 v15, 0, v13
	v_cmp_lt_u32_e32 vcc, v10, v13
	v_cndmask_b32_e32 v13, v15, v14, vcc
	v_add_u32_e32 v10, v13, v10
	v_mul_hi_u32 v14, v10, s15
	v_add_u32_e32 v13, -1, v10
	v_lshrrev_b32_e32 v14, 15, v14
	v_cvt_f32_u32_e32 v13, v13
	v_mul_u32_u24_e32 v15, 0xadc8, v14
	v_cvt_f32_u32_e32 v11, v11
	v_sub_u32_e32 v10, v10, v15
	v_mul_u32_u24_e32 v14, 0xd47, v14
	v_mul_lo_u32 v10, v10, s16
	v_xor_b32_e32 v15, 0x7fffffff, v14
	v_sub_u32_e32 v16, 0, v14
	v_cmp_lt_u32_e32 vcc, v10, v14
	v_fma_f32 v13, v13, s17, 0
	v_cndmask_b32_e32 v14, v16, v15, vcc
	v_fma_f32 v11, v11, s17, 0
	v_mul_f32_e32 v13, v13, v13
	v_add_u32_e32 v10, v14, v10
	v_fmac_f32_e32 v13, v11, v11
	v_mul_hi_u32 v14, v10, s15
	v_add_u32_e32 v11, -1, v10
	v_mul_f32_e32 v15, 0x4f800000, v13
	v_lshrrev_b32_e32 v14, 15, v14
	v_cmp_gt_f32_e32 vcc, s26, v13
	v_cvt_f32_u32_e32 v11, v11
	v_cndmask_b32_e32 v13, v13, v15, vcc
	v_mul_u32_u24_e32 v15, 0xadc8, v14
	v_sqrt_f32_e32 v16, v13
	v_sub_u32_e32 v10, v10, v15
	v_mul_u32_u24_e32 v14, 0xd47, v14
	v_mul_lo_u32 v10, v10, s16
	v_xor_b32_e32 v15, 0x7fffffff, v14
	v_sub_u32_e32 v17, 0, v14
	v_cmp_lt_u32_e64 s[10:11], v10, v14
	v_fma_f32 v18, v11, s17, 0
	v_cndmask_b32_e64 v11, v17, v15, s[10:11]
	v_add_u32_e32 v11, v11, v10
	v_add_u32_e32 v10, -1, v16
	v_add_u32_e32 v14, 1, v16
	v_add_u32_e32 v15, -1, v11
	v_fma_f32 v17, -v10, v16, v13
	v_fma_f32 v19, -v14, v16, v13
	v_cvt_f32_u32_e32 v15, v15
	v_cmp_ge_f32_e64 s[10:11], 0, v17
	v_cndmask_b32_e64 v10, v16, v10, s[10:11]
	v_cmp_lt_f32_e64 s[10:11], 0, v19
	v_cndmask_b32_e64 v10, v10, v14, s[10:11]
	v_mul_f32_e32 v14, 0x37800000, v10
	v_cndmask_b32_e32 v10, v10, v14, vcc
	v_fma_f32 v14, v15, s17, 0
	v_cmp_class_f32_e32 vcc, v13, v1
	v_cndmask_b32_e32 v10, v10, v13, vcc
	v_mul_f32_e32 v13, v14, v14
	v_add_f32_e32 v12, 1.0, v6
	v_cmp_nge_f32_e32 vcc, 1.0, v10
	v_fmac_f32_e32 v13, v18, v18
	v_cndmask_b32_e32 v6, v12, v6, vcc
	v_mul_f32_e32 v10, 0x4f800000, v13
	v_cmp_gt_f32_e32 vcc, s26, v13
	v_cndmask_b32_e32 v10, v13, v10, vcc
	v_sqrt_f32_e32 v13, v10
	s_add_i32 s14, s14, -2
	v_add_f32_e32 v12, 1.0, v6
	s_cmp_lg_u32 s14, 0
	v_add_u32_e32 v14, -1, v13
	v_add_u32_e32 v15, 1, v13
	v_fma_f32 v16, -v14, v13, v10
	v_fma_f32 v17, -v15, v13, v10
	v_cmp_ge_f32_e64 s[10:11], 0, v16
	v_cndmask_b32_e64 v13, v13, v14, s[10:11]
	v_cmp_lt_f32_e64 s[10:11], 0, v17
	v_cndmask_b32_e64 v13, v13, v15, s[10:11]
	v_mul_f32_e32 v14, 0x37800000, v13
	v_cndmask_b32_e32 v13, v13, v14, vcc
	v_cmp_class_f32_e32 vcc, v10, v1
	v_cndmask_b32_e32 v10, v13, v10, vcc
	v_cmp_nge_f32_e32 vcc, 1.0, v10
	v_cndmask_b32_e32 v6, v12, v6, vcc
	s_cbranch_scc1 .LBB20_119
; %bb.120:
	v_mul_f32_e32 v1, 4.0, v6
	s_mov_b32 s14, 0x459c4000
	v_div_scale_f32 v6, s[10:11], s14, s14, v1
	v_rcp_f32_e32 v10, v6
	v_fma_f32 v11, -v6, v10, 1.0
	v_fmac_f32_e32 v10, v11, v10
	v_div_scale_f32 v11, vcc, v1, s14, v1
	v_mul_f32_e32 v12, v11, v10
	v_fma_f32 v13, -v6, v12, v11
	v_fmac_f32_e32 v12, v13, v10
	v_fma_f32 v6, -v6, v12, v11
	v_div_fmas_f32 v6, v6, v10, v12
	v_div_fixup_f32 v6, v6, s14, v1
.LBB20_121:
	s_or_b64 exec, exec, s[12:13]
	v_or_b32_e32 v1, 0x280, v0
	v_cmp_gt_u32_e64 s[10:11], s39, v1
	s_and_saveexec_b64 s[14:15], s[10:11]
	s_cbranch_execz .LBB20_131
; %bb.122:
	v_add_u32_e32 v1, s33, v1
	s_movk_i32 s12, 0x1388
	v_mul_lo_u32 v10, v1, s12
	v_cmp_ne_u32_e32 vcc, 0, v10
	v_mov_b32_e32 v11, 1
	s_and_saveexec_b64 s[16:17], vcc
	s_cbranch_execz .LBB20_128
; %bb.123:
	v_mov_b32_e32 v12, 1
	v_mov_b32_e32 v11, 0
	s_mov_b64 s[28:29], 0xbc8f
	s_mov_b64 s[26:27], 0
	v_mov_b32_e32 v13, 0
	s_brev_b32 s34, -2
	s_mov_b32 s35, 0x7ffffffe
	v_mov_b32_e32 v1, 0xfffff800
	s_movk_i32 s36, 0x401
	s_branch .LBB20_125
.LBB20_124:                             ;   in Loop: Header=BB20_125 Depth=1
	s_or_b64 exec, exec, s[30:31]
	s_mul_i32 s12, s28, s29
	s_mul_hi_u32 s13, s28, s28
	s_add_i32 s13, s13, s12
	s_add_i32 s12, s13, s12
	s_mul_i32 s13, s28, s28
	s_add_u32 s28, 0x402, s36
	s_addc_u32 s29, 0, 0
	v_add_co_u32_e32 v7, vcc, s28, v1
	s_cmp_lg_u64 vcc, 0
	v_readfirstlane_b32 s30, v7
	s_addc_u32 s28, s29, 1
	s_mul_hi_u32 s31, s30, 0x80000001
	s_mul_i32 s29, s28, 0x80000001
	s_sub_i32 s31, s31, s30
	s_add_i32 s31, s31, s29
	s_mul_i32 s40, s30, 0x80000001
	s_mul_hi_u32 s29, s30, s31
	s_mul_i32 s37, s30, s31
	s_mul_hi_u32 s30, s30, s40
	s_add_u32 s30, s30, s37
	s_addc_u32 s29, 0, s29
	s_mul_hi_u32 s41, s28, s40
	s_mul_i32 s40, s28, s40
	s_add_u32 s30, s30, s40
	s_mul_hi_u32 s37, s28, s31
	s_addc_u32 s29, s29, s41
	s_addc_u32 s30, s37, 0
	s_mul_i32 s31, s28, s31
	s_add_u32 s29, s29, s31
	s_addc_u32 s30, 0, s30
	v_add_co_u32_e32 v7, vcc, s29, v7
	s_cmp_lg_u64 vcc, 0
	s_addc_u32 s28, s28, s30
	v_readfirstlane_b32 s31, v7
	s_mul_i32 s30, s13, s28
	s_mul_hi_u32 s37, s13, s31
	s_mul_hi_u32 s29, s13, s28
	s_add_u32 s30, s37, s30
	s_addc_u32 s29, 0, s29
	s_mul_hi_u32 s40, s12, s31
	s_mul_i32 s31, s12, s31
	s_add_u32 s30, s30, s31
	s_mul_hi_u32 s37, s12, s28
	s_addc_u32 s29, s29, s40
	s_addc_u32 s30, s37, 0
	s_mul_i32 s28, s12, s28
	s_add_u32 s28, s29, s28
	s_addc_u32 s29, 0, s30
	s_mul_hi_u32 s30, s28, 0x7fffffff
	s_mul_i32 s28, s28, 0x7fffffff
	s_mul_i32 s29, s29, 0x7fffffff
	v_mov_b32_e32 v7, s28
	s_add_i32 s30, s30, s29
	v_sub_co_u32_e32 v7, vcc, s13, v7
	s_cmp_lg_u64 vcc, 0
	s_subb_u32 s12, s12, s30
	v_subrev_co_u32_e32 v16, vcc, s34, v7
	s_cmp_lg_u64 vcc, 0
	s_subb_u32 s13, s12, 0
	v_subrev_co_u32_e32 v17, vcc, s34, v16
	s_cmp_lg_u64 vcc, 0
	s_subb_u32 s28, s13, 0
	v_readfirstlane_b32 s29, v16
	s_cmp_gt_u32 s29, 0x7ffffffe
	s_cselect_b32 s30, -1, 0
	s_cmp_eq_u32 s13, 0
	s_cselect_b32 s30, s30, -1
	s_cmp_lg_u32 s30, 0
	s_cselect_b32 s13, s28, s13
	v_readfirstlane_b32 s28, v17
	v_readfirstlane_b32 s30, v7
	s_cselect_b32 s28, s28, s29
	s_cmp_gt_u32 s30, 0x7ffffffe
	s_cselect_b32 s29, -1, 0
	s_cmp_eq_u32 s12, 0
	s_cselect_b32 s29, s29, -1
	v_lshrrev_b64 v[14:15], 1, v[10:11]
	s_cmp_lg_u32 s29, 0
	v_cmp_gt_u64_e32 vcc, 2, v[10:11]
	s_cselect_b32 s29, s13, s12
	s_cselect_b32 s28, s28, s30
	s_or_b64 s[26:27], vcc, s[26:27]
	v_pk_mov_b32 v[10:11], v[14:15], v[14:15] op_sel:[0,1]
	s_andn2_b64 exec, exec, s[26:27]
	s_cbranch_execz .LBB20_127
.LBB20_125:                             ; =>This Inner Loop Header: Depth=1
	v_and_b32_e32 v7, 1, v10
	v_cmp_eq_u32_e32 vcc, 1, v7
	s_and_saveexec_b64 s[30:31], vcc
	s_cbranch_execz .LBB20_124
; %bb.126:                              ;   in Loop: Header=BB20_125 Depth=1
	v_mul_lo_u32 v7, s29, v12
	v_mul_lo_u32 v14, s28, v13
	v_mad_u64_u32 v[12:13], s[12:13], s28, v12, 0
	s_add_u32 s12, 0x402, s36
	v_add3_u32 v7, v13, v14, v7
	s_addc_u32 s13, 0, 0
	v_add_co_u32_e32 v13, vcc, s12, v1
	s_cmp_lg_u64 vcc, 0
	v_readfirstlane_b32 s37, v13
	s_addc_u32 s12, s13, 1
	s_mul_hi_u32 s40, s37, 0x80000001
	s_mul_i32 s13, s12, 0x80000001
	s_sub_i32 s40, s40, s37
	s_add_i32 s40, s40, s13
	s_mul_i32 s42, s37, 0x80000001
	s_mul_hi_u32 s13, s37, s40
	s_mul_i32 s41, s37, s40
	s_mul_hi_u32 s37, s37, s42
	s_add_u32 s37, s37, s41
	s_addc_u32 s13, 0, s13
	s_mul_hi_u32 s43, s12, s42
	s_mul_i32 s42, s12, s42
	s_add_u32 s37, s37, s42
	s_mul_hi_u32 s41, s12, s40
	s_addc_u32 s13, s13, s43
	s_addc_u32 s37, s41, 0
	s_mul_i32 s40, s12, s40
	s_add_u32 s13, s13, s40
	s_addc_u32 s37, 0, s37
	v_add_co_u32_e32 v13, vcc, s13, v13
	s_cmp_lg_u64 vcc, 0
	s_addc_u32 s37, s12, s37
	v_mad_u64_u32 v[14:15], s[12:13], v12, s37, 0
	v_mul_hi_u32 v16, v12, v13
	v_add_co_u32_e32 v18, vcc, v16, v14
	v_addc_co_u32_e32 v19, vcc, 0, v15, vcc
	v_mad_u64_u32 v[16:17], s[12:13], v7, v13, 0
	v_add_co_u32_e32 v13, vcc, v18, v16
	v_mad_u64_u32 v[14:15], s[12:13], v7, s37, 0
	v_addc_co_u32_e32 v13, vcc, v19, v17, vcc
	v_addc_co_u32_e32 v15, vcc, 0, v15, vcc
	v_add_co_u32_e32 v13, vcc, v13, v14
	v_addc_co_u32_e32 v17, vcc, 0, v15, vcc
	v_mad_u64_u32 v[14:15], s[12:13], v13, s34, 0
	v_mov_b32_e32 v16, v15
	v_mad_u64_u32 v[16:17], s[12:13], v17, s34, v[16:17]
	v_sub_co_u32_e32 v12, vcc, v12, v14
	v_subb_co_u32_e32 v7, vcc, v7, v16, vcc
	v_subrev_co_u32_e32 v14, vcc, s34, v12
	v_subbrev_co_u32_e32 v13, vcc, 0, v7, vcc
	v_subrev_co_u32_e32 v15, vcc, s34, v14
	v_subbrev_co_u32_e32 v16, vcc, 0, v13, vcc
	v_cmp_lt_u32_e32 vcc, s35, v14
	v_cndmask_b32_e64 v17, 0, -1, vcc
	v_cmp_eq_u32_e32 vcc, 0, v13
	v_cndmask_b32_e32 v17, -1, v17, vcc
	v_cmp_ne_u32_e32 vcc, 0, v17
	v_cmp_lt_u32_e64 s[12:13], s35, v12
	v_cndmask_b32_e32 v13, v13, v16, vcc
	v_cndmask_b32_e64 v16, 0, -1, s[12:13]
	v_cmp_eq_u32_e64 s[12:13], 0, v7
	v_cndmask_b32_e64 v16, -1, v16, s[12:13]
	v_cmp_ne_u32_e64 s[12:13], 0, v16
	v_cndmask_b32_e64 v13, v7, v13, s[12:13]
	v_cndmask_b32_e32 v7, v14, v15, vcc
	v_cndmask_b32_e64 v12, v12, v7, s[12:13]
	s_branch .LBB20_124
.LBB20_127:
	s_or_b64 exec, exec, s[26:27]
	s_movk_i32 s12, 0x401
	s_add_u32 s12, 0x402, s12
	v_mov_b32_e32 v1, 0xfffff800
	s_addc_u32 s13, 0, 0
	v_add_co_u32_e32 v1, vcc, s12, v1
	s_cmp_lg_u64 vcc, 0
	v_readfirstlane_b32 s26, v1
	s_addc_u32 s12, s13, 1
	s_mul_hi_u32 s27, s26, 0x80000001
	s_mul_i32 s13, s12, 0x80000001
	s_sub_i32 s27, s27, s26
	s_add_i32 s27, s27, s13
	s_mul_i32 s29, s26, 0x80000001
	s_mul_hi_u32 s13, s26, s27
	s_mul_i32 s28, s26, s27
	s_mul_hi_u32 s26, s26, s29
	s_add_u32 s26, s26, s28
	s_addc_u32 s13, 0, s13
	s_mul_hi_u32 s30, s12, s29
	s_mul_i32 s29, s12, s29
	s_add_u32 s26, s26, s29
	s_mul_hi_u32 s28, s12, s27
	s_addc_u32 s13, s13, s30
	s_addc_u32 s26, s28, 0
	s_mul_i32 s27, s12, s27
	s_add_u32 s13, s13, s27
	s_addc_u32 s26, 0, s26
	v_add_co_u32_e32 v1, vcc, s13, v1
	s_cmp_lg_u64 vcc, 0
	s_addc_u32 s26, s12, s26
	v_mad_u64_u32 v[10:11], s[12:13], v12, s26, 0
	v_mul_hi_u32 v7, v12, v1
	v_add_co_u32_e32 v7, vcc, v7, v10
	v_addc_co_u32_e32 v16, vcc, 0, v11, vcc
	v_mad_u64_u32 v[14:15], s[12:13], v13, v1, 0
	v_add_co_u32_e32 v1, vcc, v7, v14
	v_mad_u64_u32 v[10:11], s[12:13], v13, s26, 0
	v_addc_co_u32_e32 v1, vcc, v16, v15, vcc
	v_addc_co_u32_e32 v7, vcc, 0, v11, vcc
	v_add_co_u32_e32 v1, vcc, v1, v10
	s_brev_b32 s26, -2
	v_mad_u64_u32 v[10:11], s[12:13], v1, s26, 0
	v_addc_co_u32_e32 v7, vcc, 0, v7, vcc
	v_mov_b32_e32 v14, v11
	v_mad_u64_u32 v[14:15], s[12:13], v7, s26, v[14:15]
	v_sub_co_u32_e32 v1, vcc, v12, v10
	v_subb_co_u32_e32 v7, vcc, v13, v14, vcc
	v_subrev_co_u32_e32 v10, vcc, 0x7fffffff, v1
	v_subbrev_co_u32_e32 v11, vcc, 0, v7, vcc
	s_mov_b32 s12, 0x7ffffffe
	v_cmp_lt_u32_e32 vcc, s12, v10
	v_cndmask_b32_e64 v12, 0, -1, vcc
	v_cmp_eq_u32_e32 vcc, 0, v11
	v_cndmask_b32_e32 v11, -1, v12, vcc
	v_add_u32_e32 v12, 0x80000001, v10
	v_cmp_ne_u32_e32 vcc, 0, v11
	v_cndmask_b32_e32 v10, v10, v12, vcc
	v_cmp_lt_u32_e32 vcc, s12, v1
	v_cndmask_b32_e64 v11, 0, -1, vcc
	v_cmp_eq_u32_e32 vcc, 0, v7
	v_cndmask_b32_e32 v7, -1, v11, vcc
	v_cmp_ne_u32_e32 vcc, 0, v7
	v_cndmask_b32_e32 v11, v1, v10, vcc
.LBB20_128:
	s_or_b64 exec, exec, s[16:17]
	s_movk_i32 s16, 0x1388
	v_mov_b32_e32 v7, 0
	s_mov_b32 s17, 0xbc8f1391
	s_mov_b32 s26, 0xbc8f
	s_brev_b32 s27, 12
	s_mov_b32 s28, 0xf800000
	v_mov_b32_e32 v1, 0x260
.LBB20_129:                             ; =>This Inner Loop Header: Depth=1
	v_mul_hi_u32 v10, v11, s17
	v_lshrrev_b32_e32 v10, 15, v10
	v_mul_u32_u24_e32 v13, 0xadc8, v10
	v_sub_u32_e32 v11, v11, v13
	v_mul_u32_u24_e32 v10, 0xd47, v10
	v_mul_lo_u32 v11, v11, s26
	v_xor_b32_e32 v13, 0x7fffffff, v10
	v_sub_u32_e32 v14, 0, v10
	v_cmp_lt_u32_e32 vcc, v11, v10
	v_cndmask_b32_e32 v10, v14, v13, vcc
	v_add_u32_e32 v10, v10, v11
	v_mul_hi_u32 v13, v10, s17
	v_lshrrev_b32_e32 v13, 15, v13
	v_mul_u32_u24_e32 v14, 0xadc8, v13
	v_add_u32_e32 v11, -1, v10
	v_sub_u32_e32 v10, v10, v14
	v_mul_u32_u24_e32 v13, 0xd47, v13
	v_mul_lo_u32 v10, v10, s26
	v_xor_b32_e32 v14, 0x7fffffff, v13
	v_sub_u32_e32 v15, 0, v13
	v_cmp_lt_u32_e32 vcc, v10, v13
	v_cndmask_b32_e32 v13, v15, v14, vcc
	v_add_u32_e32 v10, v13, v10
	v_mul_hi_u32 v14, v10, s17
	v_add_u32_e32 v13, -1, v10
	v_lshrrev_b32_e32 v14, 15, v14
	v_cvt_f32_u32_e32 v13, v13
	v_mul_u32_u24_e32 v15, 0xadc8, v14
	v_cvt_f32_u32_e32 v11, v11
	v_sub_u32_e32 v10, v10, v15
	v_mul_u32_u24_e32 v14, 0xd47, v14
	v_mul_lo_u32 v10, v10, s26
	v_xor_b32_e32 v15, 0x7fffffff, v14
	v_sub_u32_e32 v16, 0, v14
	v_cmp_lt_u32_e32 vcc, v10, v14
	v_fma_f32 v13, v13, s27, 0
	v_cndmask_b32_e32 v14, v16, v15, vcc
	v_fma_f32 v11, v11, s27, 0
	v_mul_f32_e32 v13, v13, v13
	v_add_u32_e32 v10, v14, v10
	v_fmac_f32_e32 v13, v11, v11
	v_mul_hi_u32 v14, v10, s17
	v_add_u32_e32 v11, -1, v10
	v_mul_f32_e32 v15, 0x4f800000, v13
	v_lshrrev_b32_e32 v14, 15, v14
	v_cmp_gt_f32_e32 vcc, s28, v13
	v_cvt_f32_u32_e32 v11, v11
	v_cndmask_b32_e32 v13, v13, v15, vcc
	v_mul_u32_u24_e32 v15, 0xadc8, v14
	v_sqrt_f32_e32 v16, v13
	v_sub_u32_e32 v10, v10, v15
	v_mul_u32_u24_e32 v14, 0xd47, v14
	v_mul_lo_u32 v10, v10, s26
	v_xor_b32_e32 v15, 0x7fffffff, v14
	v_sub_u32_e32 v17, 0, v14
	v_cmp_lt_u32_e64 s[12:13], v10, v14
	v_fma_f32 v18, v11, s27, 0
	v_cndmask_b32_e64 v11, v17, v15, s[12:13]
	v_add_u32_e32 v11, v11, v10
	v_add_u32_e32 v10, -1, v16
	v_add_u32_e32 v14, 1, v16
	v_add_u32_e32 v15, -1, v11
	v_fma_f32 v17, -v10, v16, v13
	v_fma_f32 v19, -v14, v16, v13
	v_cvt_f32_u32_e32 v15, v15
	v_cmp_ge_f32_e64 s[12:13], 0, v17
	v_cndmask_b32_e64 v10, v16, v10, s[12:13]
	v_cmp_lt_f32_e64 s[12:13], 0, v19
	v_cndmask_b32_e64 v10, v10, v14, s[12:13]
	v_mul_f32_e32 v14, 0x37800000, v10
	v_cndmask_b32_e32 v10, v10, v14, vcc
	v_fma_f32 v14, v15, s27, 0
	v_cmp_class_f32_e32 vcc, v13, v1
	v_cndmask_b32_e32 v10, v10, v13, vcc
	v_mul_f32_e32 v13, v14, v14
	v_add_f32_e32 v12, 1.0, v7
	v_cmp_nge_f32_e32 vcc, 1.0, v10
	v_fmac_f32_e32 v13, v18, v18
	v_cndmask_b32_e32 v7, v12, v7, vcc
	v_mul_f32_e32 v10, 0x4f800000, v13
	v_cmp_gt_f32_e32 vcc, s28, v13
	v_cndmask_b32_e32 v10, v13, v10, vcc
	v_sqrt_f32_e32 v13, v10
	s_add_i32 s16, s16, -2
	v_add_f32_e32 v12, 1.0, v7
	s_cmp_lg_u32 s16, 0
	v_add_u32_e32 v14, -1, v13
	v_add_u32_e32 v15, 1, v13
	v_fma_f32 v16, -v14, v13, v10
	v_fma_f32 v17, -v15, v13, v10
	v_cmp_ge_f32_e64 s[12:13], 0, v16
	v_cndmask_b32_e64 v13, v13, v14, s[12:13]
	v_cmp_lt_f32_e64 s[12:13], 0, v17
	v_cndmask_b32_e64 v13, v13, v15, s[12:13]
	v_mul_f32_e32 v14, 0x37800000, v13
	v_cndmask_b32_e32 v13, v13, v14, vcc
	v_cmp_class_f32_e32 vcc, v10, v1
	v_cndmask_b32_e32 v10, v13, v10, vcc
	v_cmp_nge_f32_e32 vcc, 1.0, v10
	v_cndmask_b32_e32 v7, v12, v7, vcc
	s_cbranch_scc1 .LBB20_129
; %bb.130:
	v_mul_f32_e32 v1, 4.0, v7
	s_mov_b32 s16, 0x459c4000
	v_div_scale_f32 v7, s[12:13], s16, s16, v1
	v_rcp_f32_e32 v10, v7
	v_fma_f32 v11, -v7, v10, 1.0
	v_fmac_f32_e32 v10, v11, v10
	v_div_scale_f32 v11, vcc, v1, s16, v1
	v_mul_f32_e32 v12, v11, v10
	v_fma_f32 v13, -v7, v12, v11
	v_fmac_f32_e32 v12, v13, v10
	v_fma_f32 v7, -v7, v12, v11
	v_div_fmas_f32 v7, v7, v10, v12
	v_div_fixup_f32 v7, v7, s16, v1
.LBB20_131:
	s_or_b64 exec, exec, s[14:15]
	v_or_b32_e32 v1, 0x300, v0
	v_cmp_gt_u32_e64 s[12:13], s39, v1
	s_and_saveexec_b64 s[16:17], s[12:13]
	s_cbranch_execz .LBB20_141
; %bb.132:
	v_add_u32_e32 v1, s33, v1
	s_movk_i32 s14, 0x1388
	v_mul_lo_u32 v10, v1, s14
	v_cmp_ne_u32_e32 vcc, 0, v10
	v_mov_b32_e32 v11, 1
	s_and_saveexec_b64 s[26:27], vcc
	s_cbranch_execz .LBB20_138
; %bb.133:
	v_mov_b32_e32 v12, 1
	v_mov_b32_e32 v11, 0
	s_mov_b64 s[30:31], 0xbc8f
	s_mov_b64 s[28:29], 0
	v_mov_b32_e32 v13, 0
	s_brev_b32 s36, -2
	s_mov_b32 s37, 0x7ffffffe
	v_mov_b32_e32 v1, 0xfffff800
	s_movk_i32 s40, 0x401
	s_branch .LBB20_135
.LBB20_134:                             ;   in Loop: Header=BB20_135 Depth=1
	s_or_b64 exec, exec, s[34:35]
	s_mul_i32 s14, s30, s31
	s_mul_hi_u32 s15, s30, s30
	s_add_i32 s15, s15, s14
	s_add_i32 s14, s15, s14
	s_mul_i32 s15, s30, s30
	s_add_u32 s30, 0x402, s40
	s_addc_u32 s31, 0, 0
	v_add_co_u32_e32 v8, vcc, s30, v1
	s_cmp_lg_u64 vcc, 0
	v_readfirstlane_b32 s34, v8
	s_addc_u32 s30, s31, 1
	s_mul_hi_u32 s35, s34, 0x80000001
	s_mul_i32 s31, s30, 0x80000001
	s_sub_i32 s35, s35, s34
	s_add_i32 s35, s35, s31
	s_mul_i32 s42, s34, 0x80000001
	s_mul_hi_u32 s31, s34, s35
	s_mul_i32 s41, s34, s35
	s_mul_hi_u32 s34, s34, s42
	s_add_u32 s34, s34, s41
	s_addc_u32 s31, 0, s31
	s_mul_hi_u32 s43, s30, s42
	s_mul_i32 s42, s30, s42
	s_add_u32 s34, s34, s42
	s_mul_hi_u32 s41, s30, s35
	s_addc_u32 s31, s31, s43
	s_addc_u32 s34, s41, 0
	s_mul_i32 s35, s30, s35
	s_add_u32 s31, s31, s35
	s_addc_u32 s34, 0, s34
	v_add_co_u32_e32 v8, vcc, s31, v8
	s_cmp_lg_u64 vcc, 0
	s_addc_u32 s30, s30, s34
	v_readfirstlane_b32 s35, v8
	s_mul_i32 s34, s15, s30
	s_mul_hi_u32 s41, s15, s35
	s_mul_hi_u32 s31, s15, s30
	s_add_u32 s34, s41, s34
	s_addc_u32 s31, 0, s31
	s_mul_hi_u32 s42, s14, s35
	s_mul_i32 s35, s14, s35
	s_add_u32 s34, s34, s35
	s_mul_hi_u32 s41, s14, s30
	s_addc_u32 s31, s31, s42
	s_addc_u32 s34, s41, 0
	s_mul_i32 s30, s14, s30
	s_add_u32 s30, s31, s30
	s_addc_u32 s31, 0, s34
	s_mul_hi_u32 s34, s30, 0x7fffffff
	s_mul_i32 s30, s30, 0x7fffffff
	s_mul_i32 s31, s31, 0x7fffffff
	v_mov_b32_e32 v8, s30
	s_add_i32 s34, s34, s31
	v_sub_co_u32_e32 v8, vcc, s15, v8
	s_cmp_lg_u64 vcc, 0
	s_subb_u32 s14, s14, s34
	v_subrev_co_u32_e32 v16, vcc, s36, v8
	s_cmp_lg_u64 vcc, 0
	s_subb_u32 s15, s14, 0
	v_subrev_co_u32_e32 v17, vcc, s36, v16
	s_cmp_lg_u64 vcc, 0
	s_subb_u32 s30, s15, 0
	v_readfirstlane_b32 s31, v16
	s_cmp_gt_u32 s31, 0x7ffffffe
	s_cselect_b32 s34, -1, 0
	s_cmp_eq_u32 s15, 0
	s_cselect_b32 s34, s34, -1
	s_cmp_lg_u32 s34, 0
	s_cselect_b32 s15, s30, s15
	v_readfirstlane_b32 s30, v17
	v_readfirstlane_b32 s34, v8
	s_cselect_b32 s30, s30, s31
	s_cmp_gt_u32 s34, 0x7ffffffe
	s_cselect_b32 s31, -1, 0
	s_cmp_eq_u32 s14, 0
	s_cselect_b32 s31, s31, -1
	v_lshrrev_b64 v[14:15], 1, v[10:11]
	s_cmp_lg_u32 s31, 0
	v_cmp_gt_u64_e32 vcc, 2, v[10:11]
	s_cselect_b32 s31, s15, s14
	s_cselect_b32 s30, s30, s34
	s_or_b64 s[28:29], vcc, s[28:29]
	v_pk_mov_b32 v[10:11], v[14:15], v[14:15] op_sel:[0,1]
	s_andn2_b64 exec, exec, s[28:29]
	s_cbranch_execz .LBB20_137
.LBB20_135:                             ; =>This Inner Loop Header: Depth=1
	v_and_b32_e32 v8, 1, v10
	v_cmp_eq_u32_e32 vcc, 1, v8
	s_and_saveexec_b64 s[34:35], vcc
	s_cbranch_execz .LBB20_134
; %bb.136:                              ;   in Loop: Header=BB20_135 Depth=1
	v_mul_lo_u32 v8, s31, v12
	v_mul_lo_u32 v14, s30, v13
	v_mad_u64_u32 v[12:13], s[14:15], s30, v12, 0
	s_add_u32 s14, 0x402, s40
	v_add3_u32 v13, v13, v14, v8
	s_addc_u32 s15, 0, 0
	v_add_co_u32_e32 v8, vcc, s14, v1
	s_cmp_lg_u64 vcc, 0
	v_readfirstlane_b32 s41, v8
	s_addc_u32 s14, s15, 1
	s_mul_hi_u32 s42, s41, 0x80000001
	s_mul_i32 s15, s14, 0x80000001
	s_sub_i32 s42, s42, s41
	s_add_i32 s42, s42, s15
	s_mul_i32 s44, s41, 0x80000001
	s_mul_hi_u32 s15, s41, s42
	s_mul_i32 s43, s41, s42
	s_mul_hi_u32 s41, s41, s44
	s_add_u32 s41, s41, s43
	s_addc_u32 s15, 0, s15
	s_mul_hi_u32 s45, s14, s44
	s_mul_i32 s44, s14, s44
	s_add_u32 s41, s41, s44
	s_mul_hi_u32 s43, s14, s42
	s_addc_u32 s15, s15, s45
	s_addc_u32 s41, s43, 0
	s_mul_i32 s42, s14, s42
	s_add_u32 s15, s15, s42
	s_addc_u32 s41, 0, s41
	v_add_co_u32_e32 v8, vcc, s15, v8
	s_cmp_lg_u64 vcc, 0
	s_addc_u32 s41, s14, s41
	v_mad_u64_u32 v[14:15], s[14:15], v12, s41, 0
	v_mul_hi_u32 v16, v12, v8
	v_add_co_u32_e32 v18, vcc, v16, v14
	v_addc_co_u32_e32 v19, vcc, 0, v15, vcc
	v_mad_u64_u32 v[16:17], s[14:15], v13, v8, 0
	v_add_co_u32_e32 v8, vcc, v18, v16
	v_mad_u64_u32 v[14:15], s[14:15], v13, s41, 0
	v_addc_co_u32_e32 v8, vcc, v19, v17, vcc
	v_addc_co_u32_e32 v15, vcc, 0, v15, vcc
	v_add_co_u32_e32 v8, vcc, v8, v14
	v_addc_co_u32_e32 v16, vcc, 0, v15, vcc
	v_mad_u64_u32 v[14:15], s[14:15], v8, s36, 0
	v_mov_b32_e32 v8, v15
	v_mad_u64_u32 v[16:17], s[14:15], v16, s36, v[8:9]
	v_sub_co_u32_e32 v8, vcc, v12, v14
	v_subb_co_u32_e32 v12, vcc, v13, v16, vcc
	v_subrev_co_u32_e32 v14, vcc, s36, v8
	v_subbrev_co_u32_e32 v13, vcc, 0, v12, vcc
	v_subrev_co_u32_e32 v15, vcc, s36, v14
	v_subbrev_co_u32_e32 v16, vcc, 0, v13, vcc
	v_cmp_lt_u32_e32 vcc, s37, v14
	v_cndmask_b32_e64 v17, 0, -1, vcc
	v_cmp_eq_u32_e32 vcc, 0, v13
	v_cndmask_b32_e32 v17, -1, v17, vcc
	v_cmp_ne_u32_e32 vcc, 0, v17
	v_cmp_lt_u32_e64 s[14:15], s37, v8
	v_cndmask_b32_e32 v13, v13, v16, vcc
	v_cndmask_b32_e64 v16, 0, -1, s[14:15]
	v_cmp_eq_u32_e64 s[14:15], 0, v12
	v_cndmask_b32_e64 v16, -1, v16, s[14:15]
	v_cmp_ne_u32_e64 s[14:15], 0, v16
	v_cndmask_b32_e64 v13, v12, v13, s[14:15]
	v_cndmask_b32_e32 v12, v14, v15, vcc
	v_cndmask_b32_e64 v12, v8, v12, s[14:15]
	s_branch .LBB20_134
.LBB20_137:
	s_or_b64 exec, exec, s[28:29]
	s_movk_i32 s14, 0x401
	s_add_u32 s14, 0x402, s14
	v_mov_b32_e32 v1, 0xfffff800
	s_addc_u32 s15, 0, 0
	v_add_co_u32_e32 v1, vcc, s14, v1
	s_cmp_lg_u64 vcc, 0
	v_readfirstlane_b32 s28, v1
	s_addc_u32 s14, s15, 1
	s_mul_hi_u32 s29, s28, 0x80000001
	s_mul_i32 s15, s14, 0x80000001
	s_sub_i32 s29, s29, s28
	s_add_i32 s29, s29, s15
	s_mul_i32 s31, s28, 0x80000001
	s_mul_hi_u32 s15, s28, s29
	s_mul_i32 s30, s28, s29
	s_mul_hi_u32 s28, s28, s31
	s_add_u32 s28, s28, s30
	s_addc_u32 s15, 0, s15
	s_mul_hi_u32 s34, s14, s31
	s_mul_i32 s31, s14, s31
	s_add_u32 s28, s28, s31
	s_mul_hi_u32 s30, s14, s29
	s_addc_u32 s15, s15, s34
	s_addc_u32 s28, s30, 0
	s_mul_i32 s29, s14, s29
	s_add_u32 s15, s15, s29
	s_addc_u32 s28, 0, s28
	v_add_co_u32_e32 v1, vcc, s15, v1
	s_cmp_lg_u64 vcc, 0
	s_addc_u32 s28, s14, s28
	v_mad_u64_u32 v[10:11], s[14:15], v12, s28, 0
	v_mul_hi_u32 v8, v12, v1
	v_add_co_u32_e32 v8, vcc, v8, v10
	v_addc_co_u32_e32 v16, vcc, 0, v11, vcc
	v_mad_u64_u32 v[14:15], s[14:15], v13, v1, 0
	v_add_co_u32_e32 v1, vcc, v8, v14
	v_mad_u64_u32 v[10:11], s[14:15], v13, s28, 0
	v_addc_co_u32_e32 v1, vcc, v16, v15, vcc
	v_addc_co_u32_e32 v8, vcc, 0, v11, vcc
	v_add_co_u32_e32 v1, vcc, v1, v10
	s_brev_b32 s28, -2
	v_mad_u64_u32 v[10:11], s[14:15], v1, s28, 0
	v_addc_co_u32_e32 v14, vcc, 0, v8, vcc
	v_mov_b32_e32 v8, v11
	v_mad_u64_u32 v[14:15], s[14:15], v14, s28, v[8:9]
	v_sub_co_u32_e32 v1, vcc, v12, v10
	v_subb_co_u32_e32 v8, vcc, v13, v14, vcc
	v_subrev_co_u32_e32 v10, vcc, 0x7fffffff, v1
	v_subbrev_co_u32_e32 v11, vcc, 0, v8, vcc
	s_mov_b32 s14, 0x7ffffffe
	v_cmp_lt_u32_e32 vcc, s14, v10
	v_cndmask_b32_e64 v12, 0, -1, vcc
	v_cmp_eq_u32_e32 vcc, 0, v11
	v_cndmask_b32_e32 v11, -1, v12, vcc
	v_add_u32_e32 v12, 0x80000001, v10
	v_cmp_ne_u32_e32 vcc, 0, v11
	v_cndmask_b32_e32 v10, v10, v12, vcc
	v_cmp_lt_u32_e32 vcc, s14, v1
	v_cndmask_b32_e64 v11, 0, -1, vcc
	v_cmp_eq_u32_e32 vcc, 0, v8
	v_cndmask_b32_e32 v8, -1, v11, vcc
	v_cmp_ne_u32_e32 vcc, 0, v8
	v_cndmask_b32_e32 v11, v1, v10, vcc
.LBB20_138:
	s_or_b64 exec, exec, s[26:27]
	s_movk_i32 s26, 0x1388
	v_mov_b32_e32 v8, 0
	s_mov_b32 s27, 0xbc8f1391
	s_mov_b32 s28, 0xbc8f
	s_brev_b32 s29, 12
	s_mov_b32 s30, 0xf800000
	v_mov_b32_e32 v1, 0x260
.LBB20_139:                             ; =>This Inner Loop Header: Depth=1
	v_mul_hi_u32 v10, v11, s27
	v_lshrrev_b32_e32 v10, 15, v10
	v_mul_u32_u24_e32 v13, 0xadc8, v10
	v_sub_u32_e32 v11, v11, v13
	v_mul_u32_u24_e32 v10, 0xd47, v10
	v_mul_lo_u32 v11, v11, s28
	v_xor_b32_e32 v13, 0x7fffffff, v10
	v_sub_u32_e32 v14, 0, v10
	v_cmp_lt_u32_e32 vcc, v11, v10
	v_cndmask_b32_e32 v10, v14, v13, vcc
	v_add_u32_e32 v10, v10, v11
	v_mul_hi_u32 v13, v10, s27
	v_lshrrev_b32_e32 v13, 15, v13
	v_mul_u32_u24_e32 v14, 0xadc8, v13
	v_add_u32_e32 v11, -1, v10
	v_sub_u32_e32 v10, v10, v14
	v_mul_u32_u24_e32 v13, 0xd47, v13
	v_mul_lo_u32 v10, v10, s28
	v_xor_b32_e32 v14, 0x7fffffff, v13
	v_sub_u32_e32 v15, 0, v13
	v_cmp_lt_u32_e32 vcc, v10, v13
	v_cndmask_b32_e32 v13, v15, v14, vcc
	v_add_u32_e32 v10, v13, v10
	v_mul_hi_u32 v14, v10, s27
	v_add_u32_e32 v13, -1, v10
	v_lshrrev_b32_e32 v14, 15, v14
	v_cvt_f32_u32_e32 v13, v13
	v_mul_u32_u24_e32 v15, 0xadc8, v14
	v_cvt_f32_u32_e32 v11, v11
	v_sub_u32_e32 v10, v10, v15
	v_mul_u32_u24_e32 v14, 0xd47, v14
	v_mul_lo_u32 v10, v10, s28
	v_xor_b32_e32 v15, 0x7fffffff, v14
	v_sub_u32_e32 v16, 0, v14
	v_cmp_lt_u32_e32 vcc, v10, v14
	v_fma_f32 v13, v13, s29, 0
	v_cndmask_b32_e32 v14, v16, v15, vcc
	v_fma_f32 v11, v11, s29, 0
	v_mul_f32_e32 v13, v13, v13
	v_add_u32_e32 v10, v14, v10
	v_fmac_f32_e32 v13, v11, v11
	v_mul_hi_u32 v14, v10, s27
	v_add_u32_e32 v11, -1, v10
	v_mul_f32_e32 v15, 0x4f800000, v13
	v_lshrrev_b32_e32 v14, 15, v14
	v_cmp_gt_f32_e32 vcc, s30, v13
	v_cvt_f32_u32_e32 v11, v11
	v_cndmask_b32_e32 v13, v13, v15, vcc
	v_mul_u32_u24_e32 v15, 0xadc8, v14
	v_sqrt_f32_e32 v16, v13
	v_sub_u32_e32 v10, v10, v15
	v_mul_u32_u24_e32 v14, 0xd47, v14
	v_mul_lo_u32 v10, v10, s28
	v_xor_b32_e32 v15, 0x7fffffff, v14
	v_sub_u32_e32 v17, 0, v14
	v_cmp_lt_u32_e64 s[14:15], v10, v14
	v_fma_f32 v18, v11, s29, 0
	v_cndmask_b32_e64 v11, v17, v15, s[14:15]
	v_add_u32_e32 v11, v11, v10
	v_add_u32_e32 v10, -1, v16
	v_add_u32_e32 v14, 1, v16
	v_add_u32_e32 v15, -1, v11
	v_fma_f32 v17, -v10, v16, v13
	v_fma_f32 v19, -v14, v16, v13
	v_cvt_f32_u32_e32 v15, v15
	v_cmp_ge_f32_e64 s[14:15], 0, v17
	v_cndmask_b32_e64 v10, v16, v10, s[14:15]
	v_cmp_lt_f32_e64 s[14:15], 0, v19
	v_cndmask_b32_e64 v10, v10, v14, s[14:15]
	v_mul_f32_e32 v14, 0x37800000, v10
	v_cndmask_b32_e32 v10, v10, v14, vcc
	v_fma_f32 v14, v15, s29, 0
	v_cmp_class_f32_e32 vcc, v13, v1
	v_cndmask_b32_e32 v10, v10, v13, vcc
	v_mul_f32_e32 v13, v14, v14
	v_add_f32_e32 v12, 1.0, v8
	v_cmp_nge_f32_e32 vcc, 1.0, v10
	v_fmac_f32_e32 v13, v18, v18
	v_cndmask_b32_e32 v8, v12, v8, vcc
	v_mul_f32_e32 v10, 0x4f800000, v13
	v_cmp_gt_f32_e32 vcc, s30, v13
	v_cndmask_b32_e32 v10, v13, v10, vcc
	v_sqrt_f32_e32 v13, v10
	s_add_i32 s26, s26, -2
	v_add_f32_e32 v12, 1.0, v8
	s_cmp_lg_u32 s26, 0
	v_add_u32_e32 v14, -1, v13
	v_add_u32_e32 v15, 1, v13
	v_fma_f32 v16, -v14, v13, v10
	v_fma_f32 v17, -v15, v13, v10
	v_cmp_ge_f32_e64 s[14:15], 0, v16
	v_cndmask_b32_e64 v13, v13, v14, s[14:15]
	v_cmp_lt_f32_e64 s[14:15], 0, v17
	v_cndmask_b32_e64 v13, v13, v15, s[14:15]
	v_mul_f32_e32 v14, 0x37800000, v13
	v_cndmask_b32_e32 v13, v13, v14, vcc
	v_cmp_class_f32_e32 vcc, v10, v1
	v_cndmask_b32_e32 v10, v13, v10, vcc
	v_cmp_nge_f32_e32 vcc, 1.0, v10
	v_cndmask_b32_e32 v8, v12, v8, vcc
	s_cbranch_scc1 .LBB20_139
; %bb.140:
	v_mul_f32_e32 v1, 4.0, v8
	s_mov_b32 s26, 0x459c4000
	v_div_scale_f32 v8, s[14:15], s26, s26, v1
	v_rcp_f32_e32 v10, v8
	v_fma_f32 v11, -v8, v10, 1.0
	v_fmac_f32_e32 v10, v11, v10
	v_div_scale_f32 v11, vcc, v1, s26, v1
	v_mul_f32_e32 v12, v11, v10
	v_fma_f32 v13, -v8, v12, v11
	v_fmac_f32_e32 v12, v13, v10
	v_fma_f32 v8, -v8, v12, v11
	v_div_fmas_f32 v8, v8, v10, v12
	v_div_fixup_f32 v8, v8, s26, v1
.LBB20_141:
	s_or_b64 exec, exec, s[16:17]
	v_or_b32_e32 v1, 0x380, v0
	v_cmp_gt_u32_e64 s[14:15], s39, v1
	s_and_saveexec_b64 s[26:27], s[14:15]
	s_cbranch_execz .LBB20_151
; %bb.142:
	v_add_u32_e32 v1, s33, v1
	s_movk_i32 s16, 0x1388
	v_mul_lo_u32 v10, v1, s16
	v_cmp_ne_u32_e32 vcc, 0, v10
	v_mov_b32_e32 v11, 1
	s_and_saveexec_b64 s[28:29], vcc
	s_cbranch_execz .LBB20_148
; %bb.143:
	v_mov_b32_e32 v12, 1
	v_mov_b32_e32 v11, 0
	s_mov_b64 s[34:35], 0xbc8f
	s_mov_b64 s[30:31], 0
	v_mov_b32_e32 v13, 0
	s_brev_b32 s33, -2
	s_mov_b32 s40, 0x7ffffffe
	v_mov_b32_e32 v1, 0xfffff800
	s_movk_i32 s41, 0x401
	s_branch .LBB20_145
.LBB20_144:                             ;   in Loop: Header=BB20_145 Depth=1
	s_or_b64 exec, exec, s[36:37]
	s_mul_i32 s16, s34, s35
	s_mul_hi_u32 s17, s34, s34
	s_add_i32 s17, s17, s16
	s_add_i32 s16, s17, s16
	s_mul_i32 s17, s34, s34
	s_add_u32 s34, 0x402, s41
	s_addc_u32 s35, 0, 0
	v_add_co_u32_e32 v9, vcc, s34, v1
	s_cmp_lg_u64 vcc, 0
	v_readfirstlane_b32 s36, v9
	s_addc_u32 s34, s35, 1
	s_mul_hi_u32 s37, s36, 0x80000001
	s_mul_i32 s35, s34, 0x80000001
	s_sub_i32 s37, s37, s36
	s_add_i32 s37, s37, s35
	s_mul_i32 s43, s36, 0x80000001
	s_mul_hi_u32 s35, s36, s37
	s_mul_i32 s42, s36, s37
	s_mul_hi_u32 s36, s36, s43
	s_add_u32 s36, s36, s42
	s_addc_u32 s35, 0, s35
	s_mul_hi_u32 s44, s34, s43
	s_mul_i32 s43, s34, s43
	s_add_u32 s36, s36, s43
	s_mul_hi_u32 s42, s34, s37
	s_addc_u32 s35, s35, s44
	s_addc_u32 s36, s42, 0
	s_mul_i32 s37, s34, s37
	s_add_u32 s35, s35, s37
	s_addc_u32 s36, 0, s36
	v_add_co_u32_e32 v9, vcc, s35, v9
	s_cmp_lg_u64 vcc, 0
	s_addc_u32 s34, s34, s36
	v_readfirstlane_b32 s37, v9
	s_mul_i32 s36, s17, s34
	s_mul_hi_u32 s42, s17, s37
	s_mul_hi_u32 s35, s17, s34
	s_add_u32 s36, s42, s36
	s_addc_u32 s35, 0, s35
	s_mul_hi_u32 s43, s16, s37
	s_mul_i32 s37, s16, s37
	s_add_u32 s36, s36, s37
	s_mul_hi_u32 s42, s16, s34
	s_addc_u32 s35, s35, s43
	s_addc_u32 s36, s42, 0
	s_mul_i32 s34, s16, s34
	s_add_u32 s34, s35, s34
	s_addc_u32 s35, 0, s36
	s_mul_hi_u32 s36, s34, 0x7fffffff
	s_mul_i32 s34, s34, 0x7fffffff
	s_mul_i32 s35, s35, 0x7fffffff
	v_mov_b32_e32 v9, s34
	s_add_i32 s36, s36, s35
	v_sub_co_u32_e32 v9, vcc, s17, v9
	s_cmp_lg_u64 vcc, 0
	s_subb_u32 s16, s16, s36
	v_subrev_co_u32_e32 v16, vcc, s33, v9
	s_cmp_lg_u64 vcc, 0
	s_subb_u32 s17, s16, 0
	v_subrev_co_u32_e32 v17, vcc, s33, v16
	s_cmp_lg_u64 vcc, 0
	s_subb_u32 s34, s17, 0
	v_readfirstlane_b32 s35, v16
	s_cmp_gt_u32 s35, 0x7ffffffe
	s_cselect_b32 s36, -1, 0
	s_cmp_eq_u32 s17, 0
	s_cselect_b32 s36, s36, -1
	s_cmp_lg_u32 s36, 0
	s_cselect_b32 s17, s34, s17
	v_readfirstlane_b32 s34, v17
	v_readfirstlane_b32 s36, v9
	s_cselect_b32 s34, s34, s35
	s_cmp_gt_u32 s36, 0x7ffffffe
	s_cselect_b32 s35, -1, 0
	s_cmp_eq_u32 s16, 0
	s_cselect_b32 s35, s35, -1
	v_lshrrev_b64 v[14:15], 1, v[10:11]
	s_cmp_lg_u32 s35, 0
	v_cmp_gt_u64_e32 vcc, 2, v[10:11]
	s_cselect_b32 s35, s17, s16
	s_cselect_b32 s34, s34, s36
	s_or_b64 s[30:31], vcc, s[30:31]
	v_pk_mov_b32 v[10:11], v[14:15], v[14:15] op_sel:[0,1]
	s_andn2_b64 exec, exec, s[30:31]
	s_cbranch_execz .LBB20_147
.LBB20_145:                             ; =>This Inner Loop Header: Depth=1
	v_and_b32_e32 v9, 1, v10
	v_cmp_eq_u32_e32 vcc, 1, v9
	s_and_saveexec_b64 s[36:37], vcc
	s_cbranch_execz .LBB20_144
; %bb.146:                              ;   in Loop: Header=BB20_145 Depth=1
	v_mul_lo_u32 v9, s35, v12
	v_mul_lo_u32 v14, s34, v13
	v_mad_u64_u32 v[12:13], s[16:17], s34, v12, 0
	s_add_u32 s16, 0x402, s41
	v_add3_u32 v9, v13, v14, v9
	s_addc_u32 s17, 0, 0
	v_add_co_u32_e32 v13, vcc, s16, v1
	s_cmp_lg_u64 vcc, 0
	v_readfirstlane_b32 s42, v13
	s_addc_u32 s16, s17, 1
	s_mul_hi_u32 s43, s42, 0x80000001
	s_mul_i32 s17, s16, 0x80000001
	s_sub_i32 s43, s43, s42
	s_add_i32 s43, s43, s17
	s_mul_i32 s45, s42, 0x80000001
	s_mul_hi_u32 s17, s42, s43
	s_mul_i32 s44, s42, s43
	s_mul_hi_u32 s42, s42, s45
	s_add_u32 s42, s42, s44
	s_addc_u32 s17, 0, s17
	s_mul_hi_u32 s46, s16, s45
	s_mul_i32 s45, s16, s45
	s_add_u32 s42, s42, s45
	s_mul_hi_u32 s44, s16, s43
	s_addc_u32 s17, s17, s46
	s_addc_u32 s42, s44, 0
	s_mul_i32 s43, s16, s43
	s_add_u32 s17, s17, s43
	s_addc_u32 s42, 0, s42
	v_add_co_u32_e32 v13, vcc, s17, v13
	s_cmp_lg_u64 vcc, 0
	s_addc_u32 s42, s16, s42
	v_mad_u64_u32 v[14:15], s[16:17], v12, s42, 0
	v_mul_hi_u32 v16, v12, v13
	v_add_co_u32_e32 v18, vcc, v16, v14
	v_addc_co_u32_e32 v19, vcc, 0, v15, vcc
	v_mad_u64_u32 v[16:17], s[16:17], v9, v13, 0
	v_add_co_u32_e32 v13, vcc, v18, v16
	v_mad_u64_u32 v[14:15], s[16:17], v9, s42, 0
	v_addc_co_u32_e32 v13, vcc, v19, v17, vcc
	v_addc_co_u32_e32 v15, vcc, 0, v15, vcc
	v_add_co_u32_e32 v13, vcc, v13, v14
	v_addc_co_u32_e32 v17, vcc, 0, v15, vcc
	v_mad_u64_u32 v[14:15], s[16:17], v13, s33, 0
	v_mov_b32_e32 v16, v15
	v_mad_u64_u32 v[16:17], s[16:17], v17, s33, v[16:17]
	v_sub_co_u32_e32 v12, vcc, v12, v14
	v_subb_co_u32_e32 v9, vcc, v9, v16, vcc
	v_subrev_co_u32_e32 v14, vcc, s33, v12
	v_subbrev_co_u32_e32 v13, vcc, 0, v9, vcc
	v_subrev_co_u32_e32 v15, vcc, s33, v14
	v_subbrev_co_u32_e32 v16, vcc, 0, v13, vcc
	v_cmp_lt_u32_e32 vcc, s40, v14
	v_cndmask_b32_e64 v17, 0, -1, vcc
	v_cmp_eq_u32_e32 vcc, 0, v13
	v_cndmask_b32_e32 v17, -1, v17, vcc
	v_cmp_ne_u32_e32 vcc, 0, v17
	v_cmp_lt_u32_e64 s[16:17], s40, v12
	v_cndmask_b32_e32 v13, v13, v16, vcc
	v_cndmask_b32_e64 v16, 0, -1, s[16:17]
	v_cmp_eq_u32_e64 s[16:17], 0, v9
	v_cndmask_b32_e64 v16, -1, v16, s[16:17]
	v_cmp_ne_u32_e64 s[16:17], 0, v16
	v_cndmask_b32_e64 v13, v9, v13, s[16:17]
	v_cndmask_b32_e32 v9, v14, v15, vcc
	v_cndmask_b32_e64 v12, v12, v9, s[16:17]
	s_branch .LBB20_144
.LBB20_147:
	s_or_b64 exec, exec, s[30:31]
	s_movk_i32 s16, 0x401
	s_add_u32 s16, 0x402, s16
	v_mov_b32_e32 v1, 0xfffff800
	s_addc_u32 s17, 0, 0
	v_add_co_u32_e32 v1, vcc, s16, v1
	s_cmp_lg_u64 vcc, 0
	v_readfirstlane_b32 s30, v1
	s_addc_u32 s16, s17, 1
	s_mul_hi_u32 s31, s30, 0x80000001
	s_mul_i32 s17, s16, 0x80000001
	s_sub_i32 s31, s31, s30
	s_add_i32 s31, s31, s17
	s_mul_i32 s34, s30, 0x80000001
	s_mul_hi_u32 s17, s30, s31
	s_mul_i32 s33, s30, s31
	s_mul_hi_u32 s30, s30, s34
	s_add_u32 s30, s30, s33
	s_addc_u32 s17, 0, s17
	s_mul_hi_u32 s35, s16, s34
	s_mul_i32 s34, s16, s34
	s_add_u32 s30, s30, s34
	s_mul_hi_u32 s33, s16, s31
	s_addc_u32 s17, s17, s35
	s_addc_u32 s30, s33, 0
	s_mul_i32 s31, s16, s31
	s_add_u32 s17, s17, s31
	s_addc_u32 s30, 0, s30
	v_add_co_u32_e32 v1, vcc, s17, v1
	s_cmp_lg_u64 vcc, 0
	s_addc_u32 s30, s16, s30
	v_mad_u64_u32 v[10:11], s[16:17], v12, s30, 0
	v_mul_hi_u32 v9, v12, v1
	v_add_co_u32_e32 v9, vcc, v9, v10
	v_addc_co_u32_e32 v16, vcc, 0, v11, vcc
	v_mad_u64_u32 v[14:15], s[16:17], v13, v1, 0
	v_add_co_u32_e32 v1, vcc, v9, v14
	v_mad_u64_u32 v[10:11], s[16:17], v13, s30, 0
	v_addc_co_u32_e32 v1, vcc, v16, v15, vcc
	v_addc_co_u32_e32 v9, vcc, 0, v11, vcc
	v_add_co_u32_e32 v1, vcc, v1, v10
	s_brev_b32 s30, -2
	v_mad_u64_u32 v[10:11], s[16:17], v1, s30, 0
	v_addc_co_u32_e32 v9, vcc, 0, v9, vcc
	v_mov_b32_e32 v14, v11
	v_mad_u64_u32 v[14:15], s[16:17], v9, s30, v[14:15]
	v_sub_co_u32_e32 v1, vcc, v12, v10
	v_subb_co_u32_e32 v9, vcc, v13, v14, vcc
	v_subrev_co_u32_e32 v10, vcc, 0x7fffffff, v1
	v_subbrev_co_u32_e32 v11, vcc, 0, v9, vcc
	s_mov_b32 s16, 0x7ffffffe
	v_cmp_lt_u32_e32 vcc, s16, v10
	v_cndmask_b32_e64 v12, 0, -1, vcc
	v_cmp_eq_u32_e32 vcc, 0, v11
	v_cndmask_b32_e32 v11, -1, v12, vcc
	v_add_u32_e32 v12, 0x80000001, v10
	v_cmp_ne_u32_e32 vcc, 0, v11
	v_cndmask_b32_e32 v10, v10, v12, vcc
	v_cmp_lt_u32_e32 vcc, s16, v1
	v_cndmask_b32_e64 v11, 0, -1, vcc
	v_cmp_eq_u32_e32 vcc, 0, v9
	v_cndmask_b32_e32 v9, -1, v11, vcc
	v_cmp_ne_u32_e32 vcc, 0, v9
	v_cndmask_b32_e32 v11, v1, v10, vcc
.LBB20_148:
	s_or_b64 exec, exec, s[28:29]
	s_movk_i32 s28, 0x1388
	v_mov_b32_e32 v9, 0
	s_mov_b32 s29, 0xbc8f1391
	s_mov_b32 s30, 0xbc8f
	s_brev_b32 s31, 12
	s_mov_b32 s33, 0xf800000
	v_mov_b32_e32 v1, 0x260
.LBB20_149:                             ; =>This Inner Loop Header: Depth=1
	v_mul_hi_u32 v10, v11, s29
	v_lshrrev_b32_e32 v10, 15, v10
	v_mul_u32_u24_e32 v13, 0xadc8, v10
	v_sub_u32_e32 v11, v11, v13
	v_mul_u32_u24_e32 v10, 0xd47, v10
	v_mul_lo_u32 v11, v11, s30
	v_xor_b32_e32 v13, 0x7fffffff, v10
	v_sub_u32_e32 v14, 0, v10
	v_cmp_lt_u32_e32 vcc, v11, v10
	v_cndmask_b32_e32 v10, v14, v13, vcc
	v_add_u32_e32 v10, v10, v11
	v_mul_hi_u32 v13, v10, s29
	v_lshrrev_b32_e32 v13, 15, v13
	v_mul_u32_u24_e32 v14, 0xadc8, v13
	v_add_u32_e32 v11, -1, v10
	v_sub_u32_e32 v10, v10, v14
	v_mul_u32_u24_e32 v13, 0xd47, v13
	v_mul_lo_u32 v10, v10, s30
	v_xor_b32_e32 v14, 0x7fffffff, v13
	v_sub_u32_e32 v15, 0, v13
	v_cmp_lt_u32_e32 vcc, v10, v13
	v_cndmask_b32_e32 v13, v15, v14, vcc
	v_add_u32_e32 v10, v13, v10
	v_mul_hi_u32 v14, v10, s29
	v_add_u32_e32 v13, -1, v10
	v_lshrrev_b32_e32 v14, 15, v14
	v_cvt_f32_u32_e32 v13, v13
	v_mul_u32_u24_e32 v15, 0xadc8, v14
	v_cvt_f32_u32_e32 v11, v11
	v_sub_u32_e32 v10, v10, v15
	v_mul_u32_u24_e32 v14, 0xd47, v14
	v_mul_lo_u32 v10, v10, s30
	v_xor_b32_e32 v15, 0x7fffffff, v14
	v_sub_u32_e32 v16, 0, v14
	v_cmp_lt_u32_e32 vcc, v10, v14
	v_fma_f32 v13, v13, s31, 0
	v_cndmask_b32_e32 v14, v16, v15, vcc
	v_fma_f32 v11, v11, s31, 0
	v_mul_f32_e32 v13, v13, v13
	v_add_u32_e32 v10, v14, v10
	v_fmac_f32_e32 v13, v11, v11
	v_mul_hi_u32 v14, v10, s29
	v_add_u32_e32 v11, -1, v10
	v_mul_f32_e32 v15, 0x4f800000, v13
	v_lshrrev_b32_e32 v14, 15, v14
	v_cmp_gt_f32_e32 vcc, s33, v13
	v_cvt_f32_u32_e32 v11, v11
	v_cndmask_b32_e32 v13, v13, v15, vcc
	v_mul_u32_u24_e32 v15, 0xadc8, v14
	v_sqrt_f32_e32 v16, v13
	v_sub_u32_e32 v10, v10, v15
	v_mul_u32_u24_e32 v14, 0xd47, v14
	v_mul_lo_u32 v10, v10, s30
	v_xor_b32_e32 v15, 0x7fffffff, v14
	v_sub_u32_e32 v17, 0, v14
	v_cmp_lt_u32_e64 s[16:17], v10, v14
	v_fma_f32 v18, v11, s31, 0
	v_cndmask_b32_e64 v11, v17, v15, s[16:17]
	v_add_u32_e32 v11, v11, v10
	v_add_u32_e32 v10, -1, v16
	v_add_u32_e32 v14, 1, v16
	v_add_u32_e32 v15, -1, v11
	v_fma_f32 v17, -v10, v16, v13
	v_fma_f32 v19, -v14, v16, v13
	v_cvt_f32_u32_e32 v15, v15
	v_cmp_ge_f32_e64 s[16:17], 0, v17
	v_cndmask_b32_e64 v10, v16, v10, s[16:17]
	v_cmp_lt_f32_e64 s[16:17], 0, v19
	v_cndmask_b32_e64 v10, v10, v14, s[16:17]
	v_mul_f32_e32 v14, 0x37800000, v10
	v_cndmask_b32_e32 v10, v10, v14, vcc
	v_fma_f32 v14, v15, s31, 0
	v_cmp_class_f32_e32 vcc, v13, v1
	v_cndmask_b32_e32 v10, v10, v13, vcc
	v_mul_f32_e32 v13, v14, v14
	v_add_f32_e32 v12, 1.0, v9
	v_cmp_nge_f32_e32 vcc, 1.0, v10
	v_fmac_f32_e32 v13, v18, v18
	v_cndmask_b32_e32 v9, v12, v9, vcc
	v_mul_f32_e32 v10, 0x4f800000, v13
	v_cmp_gt_f32_e32 vcc, s33, v13
	v_cndmask_b32_e32 v10, v13, v10, vcc
	v_sqrt_f32_e32 v13, v10
	s_add_i32 s28, s28, -2
	v_add_f32_e32 v12, 1.0, v9
	s_cmp_lg_u32 s28, 0
	v_add_u32_e32 v14, -1, v13
	v_add_u32_e32 v15, 1, v13
	v_fma_f32 v16, -v14, v13, v10
	v_fma_f32 v17, -v15, v13, v10
	v_cmp_ge_f32_e64 s[16:17], 0, v16
	v_cndmask_b32_e64 v13, v13, v14, s[16:17]
	v_cmp_lt_f32_e64 s[16:17], 0, v17
	v_cndmask_b32_e64 v13, v13, v15, s[16:17]
	v_mul_f32_e32 v14, 0x37800000, v13
	v_cndmask_b32_e32 v13, v13, v14, vcc
	v_cmp_class_f32_e32 vcc, v10, v1
	v_cndmask_b32_e32 v10, v13, v10, vcc
	v_cmp_nge_f32_e32 vcc, 1.0, v10
	v_cndmask_b32_e32 v9, v12, v9, vcc
	s_cbranch_scc1 .LBB20_149
; %bb.150:
	v_mul_f32_e32 v1, 4.0, v9
	s_mov_b32 s28, 0x459c4000
	v_div_scale_f32 v9, s[16:17], s28, s28, v1
	v_rcp_f32_e32 v10, v9
	v_fma_f32 v11, -v9, v10, 1.0
	v_fmac_f32_e32 v10, v11, v10
	v_div_scale_f32 v11, vcc, v1, s28, v1
	v_mul_f32_e32 v12, v11, v10
	v_fma_f32 v13, -v9, v12, v11
	v_fmac_f32_e32 v12, v13, v10
	v_fma_f32 v9, -v9, v12, v11
	v_div_fmas_f32 v9, v9, v10, v12
	v_div_fixup_f32 v9, v9, s28, v1
.LBB20_151:
	s_or_b64 exec, exec, s[26:27]
	v_add_f32_e32 v1, v2, v3
	v_cndmask_b32_e64 v1, v2, v1, s[0:1]
	v_add_f32_e32 v2, v4, v1
	v_cndmask_b32_e64 v1, v1, v2, s[2:3]
	;; [unrolled: 2-line block ×7, first 2 shown]
	v_mbcnt_lo_u32_b32 v1, -1, 0
	v_mbcnt_hi_u32_b32 v1, -1, v1
	v_and_b32_e32 v3, 63, v1
	v_cmp_ne_u32_e32 vcc, 63, v3
	v_addc_co_u32_e32 v4, vcc, 0, v1, vcc
	v_lshlrev_b32_e32 v4, 2, v4
	ds_bpermute_b32 v4, v4, v2
	s_min_u32 s2, s39, 0x80
	v_and_b32_e32 v5, 64, v0
	v_sub_u32_e64 v5, s2, v5 clamp
	v_add_u32_e32 v6, 1, v3
	v_cmp_gt_u32_e64 s[0:1], 62, v3
	v_cmp_lt_u32_e32 vcc, v6, v5
	v_cndmask_b32_e64 v6, 0, 1, s[0:1]
	s_waitcnt lgkmcnt(0)
	v_add_f32_e32 v4, v2, v4
	v_lshlrev_b32_e32 v6, 1, v6
	v_cndmask_b32_e32 v4, v2, v4, vcc
	v_add_lshl_u32 v6, v6, v1, 2
	ds_bpermute_b32 v6, v6, v4
	v_add_u32_e32 v7, 2, v3
	v_cmp_lt_u32_e64 s[0:1], v7, v5
	v_add_u32_e32 v7, 4, v3
	s_waitcnt lgkmcnt(0)
	v_add_f32_e32 v6, v4, v6
	v_cndmask_b32_e64 v4, v4, v6, s[0:1]
	v_cmp_gt_u32_e64 s[0:1], 60, v3
	v_cndmask_b32_e64 v6, 0, 1, s[0:1]
	v_lshlrev_b32_e32 v6, 2, v6
	v_add_lshl_u32 v6, v6, v1, 2
	ds_bpermute_b32 v6, v6, v4
	v_cmp_lt_u32_e64 s[0:1], v7, v5
	v_add_u32_e32 v7, 8, v3
	s_waitcnt lgkmcnt(0)
	v_add_f32_e32 v6, v4, v6
	v_cndmask_b32_e64 v4, v4, v6, s[0:1]
	v_cmp_gt_u32_e64 s[0:1], 56, v3
	v_cndmask_b32_e64 v6, 0, 1, s[0:1]
	v_lshlrev_b32_e32 v6, 3, v6
	v_add_lshl_u32 v6, v6, v1, 2
	ds_bpermute_b32 v6, v6, v4
	;; [unrolled: 10-line block ×3, first 2 shown]
	v_cmp_lt_u32_e64 s[0:1], v7, v5
	s_waitcnt lgkmcnt(0)
	v_add_f32_e32 v6, v4, v6
	v_cndmask_b32_e64 v4, v4, v6, s[0:1]
	v_cmp_gt_u32_e64 s[0:1], 32, v3
	v_cndmask_b32_e64 v6, 0, 1, s[0:1]
	v_lshlrev_b32_e32 v6, 5, v6
	v_add_lshl_u32 v6, v6, v1, 2
	ds_bpermute_b32 v6, v6, v4
	v_add_u32_e32 v3, 32, v3
	v_cmp_lt_u32_e64 s[0:1], v3, v5
	s_waitcnt lgkmcnt(0)
	v_add_f32_e32 v6, v4, v6
	v_cndmask_b32_e64 v3, v4, v6, s[0:1]
	v_cndmask_b32_e32 v2, v2, v3, vcc
	v_cmp_eq_u32_e32 vcc, 0, v1
	s_and_saveexec_b64 s[0:1], vcc
	s_cbranch_execz .LBB20_153
; %bb.152:
	v_lshrrev_b32_e32 v3, 4, v0
	v_and_b32_e32 v3, 4, v3
	ds_write_b32 v3, v2 offset:8
.LBB20_153:
	s_or_b64 exec, exec, s[0:1]
	v_cmp_gt_u32_e32 vcc, 2, v0
	s_waitcnt lgkmcnt(0)
	s_barrier
	s_and_saveexec_b64 s[0:1], vcc
	s_cbranch_execz .LBB20_155
; %bb.154:
	v_lshlrev_b32_e32 v2, 2, v1
	ds_read_b32 v3, v2 offset:8
	v_or_b32_e32 v2, 4, v2
	s_add_i32 s2, s2, 63
	v_and_b32_e32 v1, 1, v1
	s_lshr_b32 s2, s2, 6
	s_waitcnt lgkmcnt(0)
	ds_bpermute_b32 v2, v2, v3
	v_add_u32_e32 v1, 1, v1
	v_cmp_gt_u32_e32 vcc, s2, v1
	s_waitcnt lgkmcnt(0)
	v_add_f32_e32 v2, v3, v2
	v_cndmask_b32_e32 v2, v3, v2, vcc
.LBB20_155:
	s_or_b64 exec, exec, s[0:1]
.LBB20_156:
	v_cmp_eq_u32_e32 vcc, 0, v0
	s_and_saveexec_b64 s[0:1], vcc
	s_cbranch_execnz .LBB20_158
; %bb.157:
	s_endpgm
.LBB20_158:
	s_mul_i32 s0, s24, s23
	s_mul_hi_u32 s1, s24, s22
	s_add_i32 s0, s1, s0
	s_mul_i32 s1, s25, s22
	s_add_i32 s1, s0, s1
	s_mul_i32 s0, s24, s22
	s_lshl_b64 s[0:1], s[0:1], 2
	s_add_u32 s2, s20, s0
	s_addc_u32 s3, s21, s1
	s_cmp_eq_u64 s[18:19], 0
	s_cselect_b64 vcc, -1, 0
	s_lshl_b64 s[0:1], s[6:7], 2
	s_waitcnt lgkmcnt(0)
	v_mov_b32_e32 v0, s38
	s_add_u32 s0, s2, s0
	v_cndmask_b32_e32 v0, v2, v0, vcc
	s_addc_u32 s1, s3, s1
	v_mov_b32_e32 v1, 0
	global_store_dword v1, v0, s[0:1]
	s_endpgm
	.section	.rodata,"a",@progbits
	.p2align	6, 0x0
	.amdhsa_kernel _ZN7rocprim17ROCPRIM_400000_NS6detail17trampoline_kernelINS0_14default_configENS1_22reduce_config_selectorIfEEZNS1_11reduce_implILb1ES3_N6thrust23THRUST_200600_302600_NS11hip_rocprim26transform_input_iterator_tIfNS8_17counting_iteratorIiNS8_11use_defaultESC_SC_EE11estimate_piEEPffNS8_4plusIfEEEE10hipError_tPvRmT1_T2_T3_mT4_P12ihipStream_tbEUlT_E0_NS1_11comp_targetILNS1_3genE4ELNS1_11target_archE910ELNS1_3gpuE8ELNS1_3repE0EEENS1_30default_config_static_selectorELNS0_4arch9wavefront6targetE1EEEvSM_
		.amdhsa_group_segment_fixed_size 16
		.amdhsa_private_segment_fixed_size 0
		.amdhsa_kernarg_size 56
		.amdhsa_user_sgpr_count 6
		.amdhsa_user_sgpr_private_segment_buffer 1
		.amdhsa_user_sgpr_dispatch_ptr 0
		.amdhsa_user_sgpr_queue_ptr 0
		.amdhsa_user_sgpr_kernarg_segment_ptr 1
		.amdhsa_user_sgpr_dispatch_id 0
		.amdhsa_user_sgpr_flat_scratch_init 0
		.amdhsa_user_sgpr_kernarg_preload_length 0
		.amdhsa_user_sgpr_kernarg_preload_offset 0
		.amdhsa_user_sgpr_private_segment_size 0
		.amdhsa_uses_dynamic_stack 0
		.amdhsa_system_sgpr_private_segment_wavefront_offset 0
		.amdhsa_system_sgpr_workgroup_id_x 1
		.amdhsa_system_sgpr_workgroup_id_y 0
		.amdhsa_system_sgpr_workgroup_id_z 0
		.amdhsa_system_sgpr_workgroup_info 0
		.amdhsa_system_vgpr_workitem_id 0
		.amdhsa_next_free_vgpr 20
		.amdhsa_next_free_sgpr 47
		.amdhsa_accum_offset 20
		.amdhsa_reserve_vcc 1
		.amdhsa_reserve_flat_scratch 0
		.amdhsa_float_round_mode_32 0
		.amdhsa_float_round_mode_16_64 0
		.amdhsa_float_denorm_mode_32 3
		.amdhsa_float_denorm_mode_16_64 3
		.amdhsa_dx10_clamp 1
		.amdhsa_ieee_mode 1
		.amdhsa_fp16_overflow 0
		.amdhsa_tg_split 0
		.amdhsa_exception_fp_ieee_invalid_op 0
		.amdhsa_exception_fp_denorm_src 0
		.amdhsa_exception_fp_ieee_div_zero 0
		.amdhsa_exception_fp_ieee_overflow 0
		.amdhsa_exception_fp_ieee_underflow 0
		.amdhsa_exception_fp_ieee_inexact 0
		.amdhsa_exception_int_div_zero 0
	.end_amdhsa_kernel
	.section	.text._ZN7rocprim17ROCPRIM_400000_NS6detail17trampoline_kernelINS0_14default_configENS1_22reduce_config_selectorIfEEZNS1_11reduce_implILb1ES3_N6thrust23THRUST_200600_302600_NS11hip_rocprim26transform_input_iterator_tIfNS8_17counting_iteratorIiNS8_11use_defaultESC_SC_EE11estimate_piEEPffNS8_4plusIfEEEE10hipError_tPvRmT1_T2_T3_mT4_P12ihipStream_tbEUlT_E0_NS1_11comp_targetILNS1_3genE4ELNS1_11target_archE910ELNS1_3gpuE8ELNS1_3repE0EEENS1_30default_config_static_selectorELNS0_4arch9wavefront6targetE1EEEvSM_,"axG",@progbits,_ZN7rocprim17ROCPRIM_400000_NS6detail17trampoline_kernelINS0_14default_configENS1_22reduce_config_selectorIfEEZNS1_11reduce_implILb1ES3_N6thrust23THRUST_200600_302600_NS11hip_rocprim26transform_input_iterator_tIfNS8_17counting_iteratorIiNS8_11use_defaultESC_SC_EE11estimate_piEEPffNS8_4plusIfEEEE10hipError_tPvRmT1_T2_T3_mT4_P12ihipStream_tbEUlT_E0_NS1_11comp_targetILNS1_3genE4ELNS1_11target_archE910ELNS1_3gpuE8ELNS1_3repE0EEENS1_30default_config_static_selectorELNS0_4arch9wavefront6targetE1EEEvSM_,comdat
.Lfunc_end20:
	.size	_ZN7rocprim17ROCPRIM_400000_NS6detail17trampoline_kernelINS0_14default_configENS1_22reduce_config_selectorIfEEZNS1_11reduce_implILb1ES3_N6thrust23THRUST_200600_302600_NS11hip_rocprim26transform_input_iterator_tIfNS8_17counting_iteratorIiNS8_11use_defaultESC_SC_EE11estimate_piEEPffNS8_4plusIfEEEE10hipError_tPvRmT1_T2_T3_mT4_P12ihipStream_tbEUlT_E0_NS1_11comp_targetILNS1_3genE4ELNS1_11target_archE910ELNS1_3gpuE8ELNS1_3repE0EEENS1_30default_config_static_selectorELNS0_4arch9wavefront6targetE1EEEvSM_, .Lfunc_end20-_ZN7rocprim17ROCPRIM_400000_NS6detail17trampoline_kernelINS0_14default_configENS1_22reduce_config_selectorIfEEZNS1_11reduce_implILb1ES3_N6thrust23THRUST_200600_302600_NS11hip_rocprim26transform_input_iterator_tIfNS8_17counting_iteratorIiNS8_11use_defaultESC_SC_EE11estimate_piEEPffNS8_4plusIfEEEE10hipError_tPvRmT1_T2_T3_mT4_P12ihipStream_tbEUlT_E0_NS1_11comp_targetILNS1_3genE4ELNS1_11target_archE910ELNS1_3gpuE8ELNS1_3repE0EEENS1_30default_config_static_selectorELNS0_4arch9wavefront6targetE1EEEvSM_
                                        ; -- End function
	.section	.AMDGPU.csdata,"",@progbits
; Kernel info:
; codeLenInByte = 31016
; NumSgprs: 51
; NumVgprs: 20
; NumAgprs: 0
; TotalNumVgprs: 20
; ScratchSize: 0
; MemoryBound: 0
; FloatMode: 240
; IeeeMode: 1
; LDSByteSize: 16 bytes/workgroup (compile time only)
; SGPRBlocks: 6
; VGPRBlocks: 2
; NumSGPRsForWavesPerEU: 51
; NumVGPRsForWavesPerEU: 20
; AccumOffset: 20
; Occupancy: 8
; WaveLimiterHint : 0
; COMPUTE_PGM_RSRC2:SCRATCH_EN: 0
; COMPUTE_PGM_RSRC2:USER_SGPR: 6
; COMPUTE_PGM_RSRC2:TRAP_HANDLER: 0
; COMPUTE_PGM_RSRC2:TGID_X_EN: 1
; COMPUTE_PGM_RSRC2:TGID_Y_EN: 0
; COMPUTE_PGM_RSRC2:TGID_Z_EN: 0
; COMPUTE_PGM_RSRC2:TIDIG_COMP_CNT: 0
; COMPUTE_PGM_RSRC3_GFX90A:ACCUM_OFFSET: 4
; COMPUTE_PGM_RSRC3_GFX90A:TG_SPLIT: 0
	.section	.text._ZN7rocprim17ROCPRIM_400000_NS6detail17trampoline_kernelINS0_14default_configENS1_22reduce_config_selectorIfEEZNS1_11reduce_implILb1ES3_N6thrust23THRUST_200600_302600_NS11hip_rocprim26transform_input_iterator_tIfNS8_17counting_iteratorIiNS8_11use_defaultESC_SC_EE11estimate_piEEPffNS8_4plusIfEEEE10hipError_tPvRmT1_T2_T3_mT4_P12ihipStream_tbEUlT_E0_NS1_11comp_targetILNS1_3genE3ELNS1_11target_archE908ELNS1_3gpuE7ELNS1_3repE0EEENS1_30default_config_static_selectorELNS0_4arch9wavefront6targetE1EEEvSM_,"axG",@progbits,_ZN7rocprim17ROCPRIM_400000_NS6detail17trampoline_kernelINS0_14default_configENS1_22reduce_config_selectorIfEEZNS1_11reduce_implILb1ES3_N6thrust23THRUST_200600_302600_NS11hip_rocprim26transform_input_iterator_tIfNS8_17counting_iteratorIiNS8_11use_defaultESC_SC_EE11estimate_piEEPffNS8_4plusIfEEEE10hipError_tPvRmT1_T2_T3_mT4_P12ihipStream_tbEUlT_E0_NS1_11comp_targetILNS1_3genE3ELNS1_11target_archE908ELNS1_3gpuE7ELNS1_3repE0EEENS1_30default_config_static_selectorELNS0_4arch9wavefront6targetE1EEEvSM_,comdat
	.protected	_ZN7rocprim17ROCPRIM_400000_NS6detail17trampoline_kernelINS0_14default_configENS1_22reduce_config_selectorIfEEZNS1_11reduce_implILb1ES3_N6thrust23THRUST_200600_302600_NS11hip_rocprim26transform_input_iterator_tIfNS8_17counting_iteratorIiNS8_11use_defaultESC_SC_EE11estimate_piEEPffNS8_4plusIfEEEE10hipError_tPvRmT1_T2_T3_mT4_P12ihipStream_tbEUlT_E0_NS1_11comp_targetILNS1_3genE3ELNS1_11target_archE908ELNS1_3gpuE7ELNS1_3repE0EEENS1_30default_config_static_selectorELNS0_4arch9wavefront6targetE1EEEvSM_ ; -- Begin function _ZN7rocprim17ROCPRIM_400000_NS6detail17trampoline_kernelINS0_14default_configENS1_22reduce_config_selectorIfEEZNS1_11reduce_implILb1ES3_N6thrust23THRUST_200600_302600_NS11hip_rocprim26transform_input_iterator_tIfNS8_17counting_iteratorIiNS8_11use_defaultESC_SC_EE11estimate_piEEPffNS8_4plusIfEEEE10hipError_tPvRmT1_T2_T3_mT4_P12ihipStream_tbEUlT_E0_NS1_11comp_targetILNS1_3genE3ELNS1_11target_archE908ELNS1_3gpuE7ELNS1_3repE0EEENS1_30default_config_static_selectorELNS0_4arch9wavefront6targetE1EEEvSM_
	.globl	_ZN7rocprim17ROCPRIM_400000_NS6detail17trampoline_kernelINS0_14default_configENS1_22reduce_config_selectorIfEEZNS1_11reduce_implILb1ES3_N6thrust23THRUST_200600_302600_NS11hip_rocprim26transform_input_iterator_tIfNS8_17counting_iteratorIiNS8_11use_defaultESC_SC_EE11estimate_piEEPffNS8_4plusIfEEEE10hipError_tPvRmT1_T2_T3_mT4_P12ihipStream_tbEUlT_E0_NS1_11comp_targetILNS1_3genE3ELNS1_11target_archE908ELNS1_3gpuE7ELNS1_3repE0EEENS1_30default_config_static_selectorELNS0_4arch9wavefront6targetE1EEEvSM_
	.p2align	8
	.type	_ZN7rocprim17ROCPRIM_400000_NS6detail17trampoline_kernelINS0_14default_configENS1_22reduce_config_selectorIfEEZNS1_11reduce_implILb1ES3_N6thrust23THRUST_200600_302600_NS11hip_rocprim26transform_input_iterator_tIfNS8_17counting_iteratorIiNS8_11use_defaultESC_SC_EE11estimate_piEEPffNS8_4plusIfEEEE10hipError_tPvRmT1_T2_T3_mT4_P12ihipStream_tbEUlT_E0_NS1_11comp_targetILNS1_3genE3ELNS1_11target_archE908ELNS1_3gpuE7ELNS1_3repE0EEENS1_30default_config_static_selectorELNS0_4arch9wavefront6targetE1EEEvSM_,@function
_ZN7rocprim17ROCPRIM_400000_NS6detail17trampoline_kernelINS0_14default_configENS1_22reduce_config_selectorIfEEZNS1_11reduce_implILb1ES3_N6thrust23THRUST_200600_302600_NS11hip_rocprim26transform_input_iterator_tIfNS8_17counting_iteratorIiNS8_11use_defaultESC_SC_EE11estimate_piEEPffNS8_4plusIfEEEE10hipError_tPvRmT1_T2_T3_mT4_P12ihipStream_tbEUlT_E0_NS1_11comp_targetILNS1_3genE3ELNS1_11target_archE908ELNS1_3gpuE7ELNS1_3repE0EEENS1_30default_config_static_selectorELNS0_4arch9wavefront6targetE1EEEvSM_: ; @_ZN7rocprim17ROCPRIM_400000_NS6detail17trampoline_kernelINS0_14default_configENS1_22reduce_config_selectorIfEEZNS1_11reduce_implILb1ES3_N6thrust23THRUST_200600_302600_NS11hip_rocprim26transform_input_iterator_tIfNS8_17counting_iteratorIiNS8_11use_defaultESC_SC_EE11estimate_piEEPffNS8_4plusIfEEEE10hipError_tPvRmT1_T2_T3_mT4_P12ihipStream_tbEUlT_E0_NS1_11comp_targetILNS1_3genE3ELNS1_11target_archE908ELNS1_3gpuE7ELNS1_3repE0EEENS1_30default_config_static_selectorELNS0_4arch9wavefront6targetE1EEEvSM_
; %bb.0:
	.section	.rodata,"a",@progbits
	.p2align	6, 0x0
	.amdhsa_kernel _ZN7rocprim17ROCPRIM_400000_NS6detail17trampoline_kernelINS0_14default_configENS1_22reduce_config_selectorIfEEZNS1_11reduce_implILb1ES3_N6thrust23THRUST_200600_302600_NS11hip_rocprim26transform_input_iterator_tIfNS8_17counting_iteratorIiNS8_11use_defaultESC_SC_EE11estimate_piEEPffNS8_4plusIfEEEE10hipError_tPvRmT1_T2_T3_mT4_P12ihipStream_tbEUlT_E0_NS1_11comp_targetILNS1_3genE3ELNS1_11target_archE908ELNS1_3gpuE7ELNS1_3repE0EEENS1_30default_config_static_selectorELNS0_4arch9wavefront6targetE1EEEvSM_
		.amdhsa_group_segment_fixed_size 0
		.amdhsa_private_segment_fixed_size 0
		.amdhsa_kernarg_size 56
		.amdhsa_user_sgpr_count 6
		.amdhsa_user_sgpr_private_segment_buffer 1
		.amdhsa_user_sgpr_dispatch_ptr 0
		.amdhsa_user_sgpr_queue_ptr 0
		.amdhsa_user_sgpr_kernarg_segment_ptr 1
		.amdhsa_user_sgpr_dispatch_id 0
		.amdhsa_user_sgpr_flat_scratch_init 0
		.amdhsa_user_sgpr_kernarg_preload_length 0
		.amdhsa_user_sgpr_kernarg_preload_offset 0
		.amdhsa_user_sgpr_private_segment_size 0
		.amdhsa_uses_dynamic_stack 0
		.amdhsa_system_sgpr_private_segment_wavefront_offset 0
		.amdhsa_system_sgpr_workgroup_id_x 1
		.amdhsa_system_sgpr_workgroup_id_y 0
		.amdhsa_system_sgpr_workgroup_id_z 0
		.amdhsa_system_sgpr_workgroup_info 0
		.amdhsa_system_vgpr_workitem_id 0
		.amdhsa_next_free_vgpr 1
		.amdhsa_next_free_sgpr 0
		.amdhsa_accum_offset 4
		.amdhsa_reserve_vcc 0
		.amdhsa_reserve_flat_scratch 0
		.amdhsa_float_round_mode_32 0
		.amdhsa_float_round_mode_16_64 0
		.amdhsa_float_denorm_mode_32 3
		.amdhsa_float_denorm_mode_16_64 3
		.amdhsa_dx10_clamp 1
		.amdhsa_ieee_mode 1
		.amdhsa_fp16_overflow 0
		.amdhsa_tg_split 0
		.amdhsa_exception_fp_ieee_invalid_op 0
		.amdhsa_exception_fp_denorm_src 0
		.amdhsa_exception_fp_ieee_div_zero 0
		.amdhsa_exception_fp_ieee_overflow 0
		.amdhsa_exception_fp_ieee_underflow 0
		.amdhsa_exception_fp_ieee_inexact 0
		.amdhsa_exception_int_div_zero 0
	.end_amdhsa_kernel
	.section	.text._ZN7rocprim17ROCPRIM_400000_NS6detail17trampoline_kernelINS0_14default_configENS1_22reduce_config_selectorIfEEZNS1_11reduce_implILb1ES3_N6thrust23THRUST_200600_302600_NS11hip_rocprim26transform_input_iterator_tIfNS8_17counting_iteratorIiNS8_11use_defaultESC_SC_EE11estimate_piEEPffNS8_4plusIfEEEE10hipError_tPvRmT1_T2_T3_mT4_P12ihipStream_tbEUlT_E0_NS1_11comp_targetILNS1_3genE3ELNS1_11target_archE908ELNS1_3gpuE7ELNS1_3repE0EEENS1_30default_config_static_selectorELNS0_4arch9wavefront6targetE1EEEvSM_,"axG",@progbits,_ZN7rocprim17ROCPRIM_400000_NS6detail17trampoline_kernelINS0_14default_configENS1_22reduce_config_selectorIfEEZNS1_11reduce_implILb1ES3_N6thrust23THRUST_200600_302600_NS11hip_rocprim26transform_input_iterator_tIfNS8_17counting_iteratorIiNS8_11use_defaultESC_SC_EE11estimate_piEEPffNS8_4plusIfEEEE10hipError_tPvRmT1_T2_T3_mT4_P12ihipStream_tbEUlT_E0_NS1_11comp_targetILNS1_3genE3ELNS1_11target_archE908ELNS1_3gpuE7ELNS1_3repE0EEENS1_30default_config_static_selectorELNS0_4arch9wavefront6targetE1EEEvSM_,comdat
.Lfunc_end21:
	.size	_ZN7rocprim17ROCPRIM_400000_NS6detail17trampoline_kernelINS0_14default_configENS1_22reduce_config_selectorIfEEZNS1_11reduce_implILb1ES3_N6thrust23THRUST_200600_302600_NS11hip_rocprim26transform_input_iterator_tIfNS8_17counting_iteratorIiNS8_11use_defaultESC_SC_EE11estimate_piEEPffNS8_4plusIfEEEE10hipError_tPvRmT1_T2_T3_mT4_P12ihipStream_tbEUlT_E0_NS1_11comp_targetILNS1_3genE3ELNS1_11target_archE908ELNS1_3gpuE7ELNS1_3repE0EEENS1_30default_config_static_selectorELNS0_4arch9wavefront6targetE1EEEvSM_, .Lfunc_end21-_ZN7rocprim17ROCPRIM_400000_NS6detail17trampoline_kernelINS0_14default_configENS1_22reduce_config_selectorIfEEZNS1_11reduce_implILb1ES3_N6thrust23THRUST_200600_302600_NS11hip_rocprim26transform_input_iterator_tIfNS8_17counting_iteratorIiNS8_11use_defaultESC_SC_EE11estimate_piEEPffNS8_4plusIfEEEE10hipError_tPvRmT1_T2_T3_mT4_P12ihipStream_tbEUlT_E0_NS1_11comp_targetILNS1_3genE3ELNS1_11target_archE908ELNS1_3gpuE7ELNS1_3repE0EEENS1_30default_config_static_selectorELNS0_4arch9wavefront6targetE1EEEvSM_
                                        ; -- End function
	.section	.AMDGPU.csdata,"",@progbits
; Kernel info:
; codeLenInByte = 0
; NumSgprs: 4
; NumVgprs: 0
; NumAgprs: 0
; TotalNumVgprs: 0
; ScratchSize: 0
; MemoryBound: 0
; FloatMode: 240
; IeeeMode: 1
; LDSByteSize: 0 bytes/workgroup (compile time only)
; SGPRBlocks: 0
; VGPRBlocks: 0
; NumSGPRsForWavesPerEU: 4
; NumVGPRsForWavesPerEU: 1
; AccumOffset: 4
; Occupancy: 8
; WaveLimiterHint : 0
; COMPUTE_PGM_RSRC2:SCRATCH_EN: 0
; COMPUTE_PGM_RSRC2:USER_SGPR: 6
; COMPUTE_PGM_RSRC2:TRAP_HANDLER: 0
; COMPUTE_PGM_RSRC2:TGID_X_EN: 1
; COMPUTE_PGM_RSRC2:TGID_Y_EN: 0
; COMPUTE_PGM_RSRC2:TGID_Z_EN: 0
; COMPUTE_PGM_RSRC2:TIDIG_COMP_CNT: 0
; COMPUTE_PGM_RSRC3_GFX90A:ACCUM_OFFSET: 0
; COMPUTE_PGM_RSRC3_GFX90A:TG_SPLIT: 0
	.section	.text._ZN7rocprim17ROCPRIM_400000_NS6detail17trampoline_kernelINS0_14default_configENS1_22reduce_config_selectorIfEEZNS1_11reduce_implILb1ES3_N6thrust23THRUST_200600_302600_NS11hip_rocprim26transform_input_iterator_tIfNS8_17counting_iteratorIiNS8_11use_defaultESC_SC_EE11estimate_piEEPffNS8_4plusIfEEEE10hipError_tPvRmT1_T2_T3_mT4_P12ihipStream_tbEUlT_E0_NS1_11comp_targetILNS1_3genE2ELNS1_11target_archE906ELNS1_3gpuE6ELNS1_3repE0EEENS1_30default_config_static_selectorELNS0_4arch9wavefront6targetE1EEEvSM_,"axG",@progbits,_ZN7rocprim17ROCPRIM_400000_NS6detail17trampoline_kernelINS0_14default_configENS1_22reduce_config_selectorIfEEZNS1_11reduce_implILb1ES3_N6thrust23THRUST_200600_302600_NS11hip_rocprim26transform_input_iterator_tIfNS8_17counting_iteratorIiNS8_11use_defaultESC_SC_EE11estimate_piEEPffNS8_4plusIfEEEE10hipError_tPvRmT1_T2_T3_mT4_P12ihipStream_tbEUlT_E0_NS1_11comp_targetILNS1_3genE2ELNS1_11target_archE906ELNS1_3gpuE6ELNS1_3repE0EEENS1_30default_config_static_selectorELNS0_4arch9wavefront6targetE1EEEvSM_,comdat
	.protected	_ZN7rocprim17ROCPRIM_400000_NS6detail17trampoline_kernelINS0_14default_configENS1_22reduce_config_selectorIfEEZNS1_11reduce_implILb1ES3_N6thrust23THRUST_200600_302600_NS11hip_rocprim26transform_input_iterator_tIfNS8_17counting_iteratorIiNS8_11use_defaultESC_SC_EE11estimate_piEEPffNS8_4plusIfEEEE10hipError_tPvRmT1_T2_T3_mT4_P12ihipStream_tbEUlT_E0_NS1_11comp_targetILNS1_3genE2ELNS1_11target_archE906ELNS1_3gpuE6ELNS1_3repE0EEENS1_30default_config_static_selectorELNS0_4arch9wavefront6targetE1EEEvSM_ ; -- Begin function _ZN7rocprim17ROCPRIM_400000_NS6detail17trampoline_kernelINS0_14default_configENS1_22reduce_config_selectorIfEEZNS1_11reduce_implILb1ES3_N6thrust23THRUST_200600_302600_NS11hip_rocprim26transform_input_iterator_tIfNS8_17counting_iteratorIiNS8_11use_defaultESC_SC_EE11estimate_piEEPffNS8_4plusIfEEEE10hipError_tPvRmT1_T2_T3_mT4_P12ihipStream_tbEUlT_E0_NS1_11comp_targetILNS1_3genE2ELNS1_11target_archE906ELNS1_3gpuE6ELNS1_3repE0EEENS1_30default_config_static_selectorELNS0_4arch9wavefront6targetE1EEEvSM_
	.globl	_ZN7rocprim17ROCPRIM_400000_NS6detail17trampoline_kernelINS0_14default_configENS1_22reduce_config_selectorIfEEZNS1_11reduce_implILb1ES3_N6thrust23THRUST_200600_302600_NS11hip_rocprim26transform_input_iterator_tIfNS8_17counting_iteratorIiNS8_11use_defaultESC_SC_EE11estimate_piEEPffNS8_4plusIfEEEE10hipError_tPvRmT1_T2_T3_mT4_P12ihipStream_tbEUlT_E0_NS1_11comp_targetILNS1_3genE2ELNS1_11target_archE906ELNS1_3gpuE6ELNS1_3repE0EEENS1_30default_config_static_selectorELNS0_4arch9wavefront6targetE1EEEvSM_
	.p2align	8
	.type	_ZN7rocprim17ROCPRIM_400000_NS6detail17trampoline_kernelINS0_14default_configENS1_22reduce_config_selectorIfEEZNS1_11reduce_implILb1ES3_N6thrust23THRUST_200600_302600_NS11hip_rocprim26transform_input_iterator_tIfNS8_17counting_iteratorIiNS8_11use_defaultESC_SC_EE11estimate_piEEPffNS8_4plusIfEEEE10hipError_tPvRmT1_T2_T3_mT4_P12ihipStream_tbEUlT_E0_NS1_11comp_targetILNS1_3genE2ELNS1_11target_archE906ELNS1_3gpuE6ELNS1_3repE0EEENS1_30default_config_static_selectorELNS0_4arch9wavefront6targetE1EEEvSM_,@function
_ZN7rocprim17ROCPRIM_400000_NS6detail17trampoline_kernelINS0_14default_configENS1_22reduce_config_selectorIfEEZNS1_11reduce_implILb1ES3_N6thrust23THRUST_200600_302600_NS11hip_rocprim26transform_input_iterator_tIfNS8_17counting_iteratorIiNS8_11use_defaultESC_SC_EE11estimate_piEEPffNS8_4plusIfEEEE10hipError_tPvRmT1_T2_T3_mT4_P12ihipStream_tbEUlT_E0_NS1_11comp_targetILNS1_3genE2ELNS1_11target_archE906ELNS1_3gpuE6ELNS1_3repE0EEENS1_30default_config_static_selectorELNS0_4arch9wavefront6targetE1EEEvSM_: ; @_ZN7rocprim17ROCPRIM_400000_NS6detail17trampoline_kernelINS0_14default_configENS1_22reduce_config_selectorIfEEZNS1_11reduce_implILb1ES3_N6thrust23THRUST_200600_302600_NS11hip_rocprim26transform_input_iterator_tIfNS8_17counting_iteratorIiNS8_11use_defaultESC_SC_EE11estimate_piEEPffNS8_4plusIfEEEE10hipError_tPvRmT1_T2_T3_mT4_P12ihipStream_tbEUlT_E0_NS1_11comp_targetILNS1_3genE2ELNS1_11target_archE906ELNS1_3gpuE6ELNS1_3repE0EEENS1_30default_config_static_selectorELNS0_4arch9wavefront6targetE1EEEvSM_
; %bb.0:
	.section	.rodata,"a",@progbits
	.p2align	6, 0x0
	.amdhsa_kernel _ZN7rocprim17ROCPRIM_400000_NS6detail17trampoline_kernelINS0_14default_configENS1_22reduce_config_selectorIfEEZNS1_11reduce_implILb1ES3_N6thrust23THRUST_200600_302600_NS11hip_rocprim26transform_input_iterator_tIfNS8_17counting_iteratorIiNS8_11use_defaultESC_SC_EE11estimate_piEEPffNS8_4plusIfEEEE10hipError_tPvRmT1_T2_T3_mT4_P12ihipStream_tbEUlT_E0_NS1_11comp_targetILNS1_3genE2ELNS1_11target_archE906ELNS1_3gpuE6ELNS1_3repE0EEENS1_30default_config_static_selectorELNS0_4arch9wavefront6targetE1EEEvSM_
		.amdhsa_group_segment_fixed_size 0
		.amdhsa_private_segment_fixed_size 0
		.amdhsa_kernarg_size 56
		.amdhsa_user_sgpr_count 6
		.amdhsa_user_sgpr_private_segment_buffer 1
		.amdhsa_user_sgpr_dispatch_ptr 0
		.amdhsa_user_sgpr_queue_ptr 0
		.amdhsa_user_sgpr_kernarg_segment_ptr 1
		.amdhsa_user_sgpr_dispatch_id 0
		.amdhsa_user_sgpr_flat_scratch_init 0
		.amdhsa_user_sgpr_kernarg_preload_length 0
		.amdhsa_user_sgpr_kernarg_preload_offset 0
		.amdhsa_user_sgpr_private_segment_size 0
		.amdhsa_uses_dynamic_stack 0
		.amdhsa_system_sgpr_private_segment_wavefront_offset 0
		.amdhsa_system_sgpr_workgroup_id_x 1
		.amdhsa_system_sgpr_workgroup_id_y 0
		.amdhsa_system_sgpr_workgroup_id_z 0
		.amdhsa_system_sgpr_workgroup_info 0
		.amdhsa_system_vgpr_workitem_id 0
		.amdhsa_next_free_vgpr 1
		.amdhsa_next_free_sgpr 0
		.amdhsa_accum_offset 4
		.amdhsa_reserve_vcc 0
		.amdhsa_reserve_flat_scratch 0
		.amdhsa_float_round_mode_32 0
		.amdhsa_float_round_mode_16_64 0
		.amdhsa_float_denorm_mode_32 3
		.amdhsa_float_denorm_mode_16_64 3
		.amdhsa_dx10_clamp 1
		.amdhsa_ieee_mode 1
		.amdhsa_fp16_overflow 0
		.amdhsa_tg_split 0
		.amdhsa_exception_fp_ieee_invalid_op 0
		.amdhsa_exception_fp_denorm_src 0
		.amdhsa_exception_fp_ieee_div_zero 0
		.amdhsa_exception_fp_ieee_overflow 0
		.amdhsa_exception_fp_ieee_underflow 0
		.amdhsa_exception_fp_ieee_inexact 0
		.amdhsa_exception_int_div_zero 0
	.end_amdhsa_kernel
	.section	.text._ZN7rocprim17ROCPRIM_400000_NS6detail17trampoline_kernelINS0_14default_configENS1_22reduce_config_selectorIfEEZNS1_11reduce_implILb1ES3_N6thrust23THRUST_200600_302600_NS11hip_rocprim26transform_input_iterator_tIfNS8_17counting_iteratorIiNS8_11use_defaultESC_SC_EE11estimate_piEEPffNS8_4plusIfEEEE10hipError_tPvRmT1_T2_T3_mT4_P12ihipStream_tbEUlT_E0_NS1_11comp_targetILNS1_3genE2ELNS1_11target_archE906ELNS1_3gpuE6ELNS1_3repE0EEENS1_30default_config_static_selectorELNS0_4arch9wavefront6targetE1EEEvSM_,"axG",@progbits,_ZN7rocprim17ROCPRIM_400000_NS6detail17trampoline_kernelINS0_14default_configENS1_22reduce_config_selectorIfEEZNS1_11reduce_implILb1ES3_N6thrust23THRUST_200600_302600_NS11hip_rocprim26transform_input_iterator_tIfNS8_17counting_iteratorIiNS8_11use_defaultESC_SC_EE11estimate_piEEPffNS8_4plusIfEEEE10hipError_tPvRmT1_T2_T3_mT4_P12ihipStream_tbEUlT_E0_NS1_11comp_targetILNS1_3genE2ELNS1_11target_archE906ELNS1_3gpuE6ELNS1_3repE0EEENS1_30default_config_static_selectorELNS0_4arch9wavefront6targetE1EEEvSM_,comdat
.Lfunc_end22:
	.size	_ZN7rocprim17ROCPRIM_400000_NS6detail17trampoline_kernelINS0_14default_configENS1_22reduce_config_selectorIfEEZNS1_11reduce_implILb1ES3_N6thrust23THRUST_200600_302600_NS11hip_rocprim26transform_input_iterator_tIfNS8_17counting_iteratorIiNS8_11use_defaultESC_SC_EE11estimate_piEEPffNS8_4plusIfEEEE10hipError_tPvRmT1_T2_T3_mT4_P12ihipStream_tbEUlT_E0_NS1_11comp_targetILNS1_3genE2ELNS1_11target_archE906ELNS1_3gpuE6ELNS1_3repE0EEENS1_30default_config_static_selectorELNS0_4arch9wavefront6targetE1EEEvSM_, .Lfunc_end22-_ZN7rocprim17ROCPRIM_400000_NS6detail17trampoline_kernelINS0_14default_configENS1_22reduce_config_selectorIfEEZNS1_11reduce_implILb1ES3_N6thrust23THRUST_200600_302600_NS11hip_rocprim26transform_input_iterator_tIfNS8_17counting_iteratorIiNS8_11use_defaultESC_SC_EE11estimate_piEEPffNS8_4plusIfEEEE10hipError_tPvRmT1_T2_T3_mT4_P12ihipStream_tbEUlT_E0_NS1_11comp_targetILNS1_3genE2ELNS1_11target_archE906ELNS1_3gpuE6ELNS1_3repE0EEENS1_30default_config_static_selectorELNS0_4arch9wavefront6targetE1EEEvSM_
                                        ; -- End function
	.section	.AMDGPU.csdata,"",@progbits
; Kernel info:
; codeLenInByte = 0
; NumSgprs: 4
; NumVgprs: 0
; NumAgprs: 0
; TotalNumVgprs: 0
; ScratchSize: 0
; MemoryBound: 0
; FloatMode: 240
; IeeeMode: 1
; LDSByteSize: 0 bytes/workgroup (compile time only)
; SGPRBlocks: 0
; VGPRBlocks: 0
; NumSGPRsForWavesPerEU: 4
; NumVGPRsForWavesPerEU: 1
; AccumOffset: 4
; Occupancy: 8
; WaveLimiterHint : 0
; COMPUTE_PGM_RSRC2:SCRATCH_EN: 0
; COMPUTE_PGM_RSRC2:USER_SGPR: 6
; COMPUTE_PGM_RSRC2:TRAP_HANDLER: 0
; COMPUTE_PGM_RSRC2:TGID_X_EN: 1
; COMPUTE_PGM_RSRC2:TGID_Y_EN: 0
; COMPUTE_PGM_RSRC2:TGID_Z_EN: 0
; COMPUTE_PGM_RSRC2:TIDIG_COMP_CNT: 0
; COMPUTE_PGM_RSRC3_GFX90A:ACCUM_OFFSET: 0
; COMPUTE_PGM_RSRC3_GFX90A:TG_SPLIT: 0
	.section	.text._ZN7rocprim17ROCPRIM_400000_NS6detail17trampoline_kernelINS0_14default_configENS1_22reduce_config_selectorIfEEZNS1_11reduce_implILb1ES3_N6thrust23THRUST_200600_302600_NS11hip_rocprim26transform_input_iterator_tIfNS8_17counting_iteratorIiNS8_11use_defaultESC_SC_EE11estimate_piEEPffNS8_4plusIfEEEE10hipError_tPvRmT1_T2_T3_mT4_P12ihipStream_tbEUlT_E0_NS1_11comp_targetILNS1_3genE10ELNS1_11target_archE1201ELNS1_3gpuE5ELNS1_3repE0EEENS1_30default_config_static_selectorELNS0_4arch9wavefront6targetE1EEEvSM_,"axG",@progbits,_ZN7rocprim17ROCPRIM_400000_NS6detail17trampoline_kernelINS0_14default_configENS1_22reduce_config_selectorIfEEZNS1_11reduce_implILb1ES3_N6thrust23THRUST_200600_302600_NS11hip_rocprim26transform_input_iterator_tIfNS8_17counting_iteratorIiNS8_11use_defaultESC_SC_EE11estimate_piEEPffNS8_4plusIfEEEE10hipError_tPvRmT1_T2_T3_mT4_P12ihipStream_tbEUlT_E0_NS1_11comp_targetILNS1_3genE10ELNS1_11target_archE1201ELNS1_3gpuE5ELNS1_3repE0EEENS1_30default_config_static_selectorELNS0_4arch9wavefront6targetE1EEEvSM_,comdat
	.protected	_ZN7rocprim17ROCPRIM_400000_NS6detail17trampoline_kernelINS0_14default_configENS1_22reduce_config_selectorIfEEZNS1_11reduce_implILb1ES3_N6thrust23THRUST_200600_302600_NS11hip_rocprim26transform_input_iterator_tIfNS8_17counting_iteratorIiNS8_11use_defaultESC_SC_EE11estimate_piEEPffNS8_4plusIfEEEE10hipError_tPvRmT1_T2_T3_mT4_P12ihipStream_tbEUlT_E0_NS1_11comp_targetILNS1_3genE10ELNS1_11target_archE1201ELNS1_3gpuE5ELNS1_3repE0EEENS1_30default_config_static_selectorELNS0_4arch9wavefront6targetE1EEEvSM_ ; -- Begin function _ZN7rocprim17ROCPRIM_400000_NS6detail17trampoline_kernelINS0_14default_configENS1_22reduce_config_selectorIfEEZNS1_11reduce_implILb1ES3_N6thrust23THRUST_200600_302600_NS11hip_rocprim26transform_input_iterator_tIfNS8_17counting_iteratorIiNS8_11use_defaultESC_SC_EE11estimate_piEEPffNS8_4plusIfEEEE10hipError_tPvRmT1_T2_T3_mT4_P12ihipStream_tbEUlT_E0_NS1_11comp_targetILNS1_3genE10ELNS1_11target_archE1201ELNS1_3gpuE5ELNS1_3repE0EEENS1_30default_config_static_selectorELNS0_4arch9wavefront6targetE1EEEvSM_
	.globl	_ZN7rocprim17ROCPRIM_400000_NS6detail17trampoline_kernelINS0_14default_configENS1_22reduce_config_selectorIfEEZNS1_11reduce_implILb1ES3_N6thrust23THRUST_200600_302600_NS11hip_rocprim26transform_input_iterator_tIfNS8_17counting_iteratorIiNS8_11use_defaultESC_SC_EE11estimate_piEEPffNS8_4plusIfEEEE10hipError_tPvRmT1_T2_T3_mT4_P12ihipStream_tbEUlT_E0_NS1_11comp_targetILNS1_3genE10ELNS1_11target_archE1201ELNS1_3gpuE5ELNS1_3repE0EEENS1_30default_config_static_selectorELNS0_4arch9wavefront6targetE1EEEvSM_
	.p2align	8
	.type	_ZN7rocprim17ROCPRIM_400000_NS6detail17trampoline_kernelINS0_14default_configENS1_22reduce_config_selectorIfEEZNS1_11reduce_implILb1ES3_N6thrust23THRUST_200600_302600_NS11hip_rocprim26transform_input_iterator_tIfNS8_17counting_iteratorIiNS8_11use_defaultESC_SC_EE11estimate_piEEPffNS8_4plusIfEEEE10hipError_tPvRmT1_T2_T3_mT4_P12ihipStream_tbEUlT_E0_NS1_11comp_targetILNS1_3genE10ELNS1_11target_archE1201ELNS1_3gpuE5ELNS1_3repE0EEENS1_30default_config_static_selectorELNS0_4arch9wavefront6targetE1EEEvSM_,@function
_ZN7rocprim17ROCPRIM_400000_NS6detail17trampoline_kernelINS0_14default_configENS1_22reduce_config_selectorIfEEZNS1_11reduce_implILb1ES3_N6thrust23THRUST_200600_302600_NS11hip_rocprim26transform_input_iterator_tIfNS8_17counting_iteratorIiNS8_11use_defaultESC_SC_EE11estimate_piEEPffNS8_4plusIfEEEE10hipError_tPvRmT1_T2_T3_mT4_P12ihipStream_tbEUlT_E0_NS1_11comp_targetILNS1_3genE10ELNS1_11target_archE1201ELNS1_3gpuE5ELNS1_3repE0EEENS1_30default_config_static_selectorELNS0_4arch9wavefront6targetE1EEEvSM_: ; @_ZN7rocprim17ROCPRIM_400000_NS6detail17trampoline_kernelINS0_14default_configENS1_22reduce_config_selectorIfEEZNS1_11reduce_implILb1ES3_N6thrust23THRUST_200600_302600_NS11hip_rocprim26transform_input_iterator_tIfNS8_17counting_iteratorIiNS8_11use_defaultESC_SC_EE11estimate_piEEPffNS8_4plusIfEEEE10hipError_tPvRmT1_T2_T3_mT4_P12ihipStream_tbEUlT_E0_NS1_11comp_targetILNS1_3genE10ELNS1_11target_archE1201ELNS1_3gpuE5ELNS1_3repE0EEENS1_30default_config_static_selectorELNS0_4arch9wavefront6targetE1EEEvSM_
; %bb.0:
	.section	.rodata,"a",@progbits
	.p2align	6, 0x0
	.amdhsa_kernel _ZN7rocprim17ROCPRIM_400000_NS6detail17trampoline_kernelINS0_14default_configENS1_22reduce_config_selectorIfEEZNS1_11reduce_implILb1ES3_N6thrust23THRUST_200600_302600_NS11hip_rocprim26transform_input_iterator_tIfNS8_17counting_iteratorIiNS8_11use_defaultESC_SC_EE11estimate_piEEPffNS8_4plusIfEEEE10hipError_tPvRmT1_T2_T3_mT4_P12ihipStream_tbEUlT_E0_NS1_11comp_targetILNS1_3genE10ELNS1_11target_archE1201ELNS1_3gpuE5ELNS1_3repE0EEENS1_30default_config_static_selectorELNS0_4arch9wavefront6targetE1EEEvSM_
		.amdhsa_group_segment_fixed_size 0
		.amdhsa_private_segment_fixed_size 0
		.amdhsa_kernarg_size 56
		.amdhsa_user_sgpr_count 6
		.amdhsa_user_sgpr_private_segment_buffer 1
		.amdhsa_user_sgpr_dispatch_ptr 0
		.amdhsa_user_sgpr_queue_ptr 0
		.amdhsa_user_sgpr_kernarg_segment_ptr 1
		.amdhsa_user_sgpr_dispatch_id 0
		.amdhsa_user_sgpr_flat_scratch_init 0
		.amdhsa_user_sgpr_kernarg_preload_length 0
		.amdhsa_user_sgpr_kernarg_preload_offset 0
		.amdhsa_user_sgpr_private_segment_size 0
		.amdhsa_uses_dynamic_stack 0
		.amdhsa_system_sgpr_private_segment_wavefront_offset 0
		.amdhsa_system_sgpr_workgroup_id_x 1
		.amdhsa_system_sgpr_workgroup_id_y 0
		.amdhsa_system_sgpr_workgroup_id_z 0
		.amdhsa_system_sgpr_workgroup_info 0
		.amdhsa_system_vgpr_workitem_id 0
		.amdhsa_next_free_vgpr 1
		.amdhsa_next_free_sgpr 0
		.amdhsa_accum_offset 4
		.amdhsa_reserve_vcc 0
		.amdhsa_reserve_flat_scratch 0
		.amdhsa_float_round_mode_32 0
		.amdhsa_float_round_mode_16_64 0
		.amdhsa_float_denorm_mode_32 3
		.amdhsa_float_denorm_mode_16_64 3
		.amdhsa_dx10_clamp 1
		.amdhsa_ieee_mode 1
		.amdhsa_fp16_overflow 0
		.amdhsa_tg_split 0
		.amdhsa_exception_fp_ieee_invalid_op 0
		.amdhsa_exception_fp_denorm_src 0
		.amdhsa_exception_fp_ieee_div_zero 0
		.amdhsa_exception_fp_ieee_overflow 0
		.amdhsa_exception_fp_ieee_underflow 0
		.amdhsa_exception_fp_ieee_inexact 0
		.amdhsa_exception_int_div_zero 0
	.end_amdhsa_kernel
	.section	.text._ZN7rocprim17ROCPRIM_400000_NS6detail17trampoline_kernelINS0_14default_configENS1_22reduce_config_selectorIfEEZNS1_11reduce_implILb1ES3_N6thrust23THRUST_200600_302600_NS11hip_rocprim26transform_input_iterator_tIfNS8_17counting_iteratorIiNS8_11use_defaultESC_SC_EE11estimate_piEEPffNS8_4plusIfEEEE10hipError_tPvRmT1_T2_T3_mT4_P12ihipStream_tbEUlT_E0_NS1_11comp_targetILNS1_3genE10ELNS1_11target_archE1201ELNS1_3gpuE5ELNS1_3repE0EEENS1_30default_config_static_selectorELNS0_4arch9wavefront6targetE1EEEvSM_,"axG",@progbits,_ZN7rocprim17ROCPRIM_400000_NS6detail17trampoline_kernelINS0_14default_configENS1_22reduce_config_selectorIfEEZNS1_11reduce_implILb1ES3_N6thrust23THRUST_200600_302600_NS11hip_rocprim26transform_input_iterator_tIfNS8_17counting_iteratorIiNS8_11use_defaultESC_SC_EE11estimate_piEEPffNS8_4plusIfEEEE10hipError_tPvRmT1_T2_T3_mT4_P12ihipStream_tbEUlT_E0_NS1_11comp_targetILNS1_3genE10ELNS1_11target_archE1201ELNS1_3gpuE5ELNS1_3repE0EEENS1_30default_config_static_selectorELNS0_4arch9wavefront6targetE1EEEvSM_,comdat
.Lfunc_end23:
	.size	_ZN7rocprim17ROCPRIM_400000_NS6detail17trampoline_kernelINS0_14default_configENS1_22reduce_config_selectorIfEEZNS1_11reduce_implILb1ES3_N6thrust23THRUST_200600_302600_NS11hip_rocprim26transform_input_iterator_tIfNS8_17counting_iteratorIiNS8_11use_defaultESC_SC_EE11estimate_piEEPffNS8_4plusIfEEEE10hipError_tPvRmT1_T2_T3_mT4_P12ihipStream_tbEUlT_E0_NS1_11comp_targetILNS1_3genE10ELNS1_11target_archE1201ELNS1_3gpuE5ELNS1_3repE0EEENS1_30default_config_static_selectorELNS0_4arch9wavefront6targetE1EEEvSM_, .Lfunc_end23-_ZN7rocprim17ROCPRIM_400000_NS6detail17trampoline_kernelINS0_14default_configENS1_22reduce_config_selectorIfEEZNS1_11reduce_implILb1ES3_N6thrust23THRUST_200600_302600_NS11hip_rocprim26transform_input_iterator_tIfNS8_17counting_iteratorIiNS8_11use_defaultESC_SC_EE11estimate_piEEPffNS8_4plusIfEEEE10hipError_tPvRmT1_T2_T3_mT4_P12ihipStream_tbEUlT_E0_NS1_11comp_targetILNS1_3genE10ELNS1_11target_archE1201ELNS1_3gpuE5ELNS1_3repE0EEENS1_30default_config_static_selectorELNS0_4arch9wavefront6targetE1EEEvSM_
                                        ; -- End function
	.section	.AMDGPU.csdata,"",@progbits
; Kernel info:
; codeLenInByte = 0
; NumSgprs: 4
; NumVgprs: 0
; NumAgprs: 0
; TotalNumVgprs: 0
; ScratchSize: 0
; MemoryBound: 0
; FloatMode: 240
; IeeeMode: 1
; LDSByteSize: 0 bytes/workgroup (compile time only)
; SGPRBlocks: 0
; VGPRBlocks: 0
; NumSGPRsForWavesPerEU: 4
; NumVGPRsForWavesPerEU: 1
; AccumOffset: 4
; Occupancy: 8
; WaveLimiterHint : 0
; COMPUTE_PGM_RSRC2:SCRATCH_EN: 0
; COMPUTE_PGM_RSRC2:USER_SGPR: 6
; COMPUTE_PGM_RSRC2:TRAP_HANDLER: 0
; COMPUTE_PGM_RSRC2:TGID_X_EN: 1
; COMPUTE_PGM_RSRC2:TGID_Y_EN: 0
; COMPUTE_PGM_RSRC2:TGID_Z_EN: 0
; COMPUTE_PGM_RSRC2:TIDIG_COMP_CNT: 0
; COMPUTE_PGM_RSRC3_GFX90A:ACCUM_OFFSET: 0
; COMPUTE_PGM_RSRC3_GFX90A:TG_SPLIT: 0
	.section	.text._ZN7rocprim17ROCPRIM_400000_NS6detail17trampoline_kernelINS0_14default_configENS1_22reduce_config_selectorIfEEZNS1_11reduce_implILb1ES3_N6thrust23THRUST_200600_302600_NS11hip_rocprim26transform_input_iterator_tIfNS8_17counting_iteratorIiNS8_11use_defaultESC_SC_EE11estimate_piEEPffNS8_4plusIfEEEE10hipError_tPvRmT1_T2_T3_mT4_P12ihipStream_tbEUlT_E0_NS1_11comp_targetILNS1_3genE10ELNS1_11target_archE1200ELNS1_3gpuE4ELNS1_3repE0EEENS1_30default_config_static_selectorELNS0_4arch9wavefront6targetE1EEEvSM_,"axG",@progbits,_ZN7rocprim17ROCPRIM_400000_NS6detail17trampoline_kernelINS0_14default_configENS1_22reduce_config_selectorIfEEZNS1_11reduce_implILb1ES3_N6thrust23THRUST_200600_302600_NS11hip_rocprim26transform_input_iterator_tIfNS8_17counting_iteratorIiNS8_11use_defaultESC_SC_EE11estimate_piEEPffNS8_4plusIfEEEE10hipError_tPvRmT1_T2_T3_mT4_P12ihipStream_tbEUlT_E0_NS1_11comp_targetILNS1_3genE10ELNS1_11target_archE1200ELNS1_3gpuE4ELNS1_3repE0EEENS1_30default_config_static_selectorELNS0_4arch9wavefront6targetE1EEEvSM_,comdat
	.protected	_ZN7rocprim17ROCPRIM_400000_NS6detail17trampoline_kernelINS0_14default_configENS1_22reduce_config_selectorIfEEZNS1_11reduce_implILb1ES3_N6thrust23THRUST_200600_302600_NS11hip_rocprim26transform_input_iterator_tIfNS8_17counting_iteratorIiNS8_11use_defaultESC_SC_EE11estimate_piEEPffNS8_4plusIfEEEE10hipError_tPvRmT1_T2_T3_mT4_P12ihipStream_tbEUlT_E0_NS1_11comp_targetILNS1_3genE10ELNS1_11target_archE1200ELNS1_3gpuE4ELNS1_3repE0EEENS1_30default_config_static_selectorELNS0_4arch9wavefront6targetE1EEEvSM_ ; -- Begin function _ZN7rocprim17ROCPRIM_400000_NS6detail17trampoline_kernelINS0_14default_configENS1_22reduce_config_selectorIfEEZNS1_11reduce_implILb1ES3_N6thrust23THRUST_200600_302600_NS11hip_rocprim26transform_input_iterator_tIfNS8_17counting_iteratorIiNS8_11use_defaultESC_SC_EE11estimate_piEEPffNS8_4plusIfEEEE10hipError_tPvRmT1_T2_T3_mT4_P12ihipStream_tbEUlT_E0_NS1_11comp_targetILNS1_3genE10ELNS1_11target_archE1200ELNS1_3gpuE4ELNS1_3repE0EEENS1_30default_config_static_selectorELNS0_4arch9wavefront6targetE1EEEvSM_
	.globl	_ZN7rocprim17ROCPRIM_400000_NS6detail17trampoline_kernelINS0_14default_configENS1_22reduce_config_selectorIfEEZNS1_11reduce_implILb1ES3_N6thrust23THRUST_200600_302600_NS11hip_rocprim26transform_input_iterator_tIfNS8_17counting_iteratorIiNS8_11use_defaultESC_SC_EE11estimate_piEEPffNS8_4plusIfEEEE10hipError_tPvRmT1_T2_T3_mT4_P12ihipStream_tbEUlT_E0_NS1_11comp_targetILNS1_3genE10ELNS1_11target_archE1200ELNS1_3gpuE4ELNS1_3repE0EEENS1_30default_config_static_selectorELNS0_4arch9wavefront6targetE1EEEvSM_
	.p2align	8
	.type	_ZN7rocprim17ROCPRIM_400000_NS6detail17trampoline_kernelINS0_14default_configENS1_22reduce_config_selectorIfEEZNS1_11reduce_implILb1ES3_N6thrust23THRUST_200600_302600_NS11hip_rocprim26transform_input_iterator_tIfNS8_17counting_iteratorIiNS8_11use_defaultESC_SC_EE11estimate_piEEPffNS8_4plusIfEEEE10hipError_tPvRmT1_T2_T3_mT4_P12ihipStream_tbEUlT_E0_NS1_11comp_targetILNS1_3genE10ELNS1_11target_archE1200ELNS1_3gpuE4ELNS1_3repE0EEENS1_30default_config_static_selectorELNS0_4arch9wavefront6targetE1EEEvSM_,@function
_ZN7rocprim17ROCPRIM_400000_NS6detail17trampoline_kernelINS0_14default_configENS1_22reduce_config_selectorIfEEZNS1_11reduce_implILb1ES3_N6thrust23THRUST_200600_302600_NS11hip_rocprim26transform_input_iterator_tIfNS8_17counting_iteratorIiNS8_11use_defaultESC_SC_EE11estimate_piEEPffNS8_4plusIfEEEE10hipError_tPvRmT1_T2_T3_mT4_P12ihipStream_tbEUlT_E0_NS1_11comp_targetILNS1_3genE10ELNS1_11target_archE1200ELNS1_3gpuE4ELNS1_3repE0EEENS1_30default_config_static_selectorELNS0_4arch9wavefront6targetE1EEEvSM_: ; @_ZN7rocprim17ROCPRIM_400000_NS6detail17trampoline_kernelINS0_14default_configENS1_22reduce_config_selectorIfEEZNS1_11reduce_implILb1ES3_N6thrust23THRUST_200600_302600_NS11hip_rocprim26transform_input_iterator_tIfNS8_17counting_iteratorIiNS8_11use_defaultESC_SC_EE11estimate_piEEPffNS8_4plusIfEEEE10hipError_tPvRmT1_T2_T3_mT4_P12ihipStream_tbEUlT_E0_NS1_11comp_targetILNS1_3genE10ELNS1_11target_archE1200ELNS1_3gpuE4ELNS1_3repE0EEENS1_30default_config_static_selectorELNS0_4arch9wavefront6targetE1EEEvSM_
; %bb.0:
	.section	.rodata,"a",@progbits
	.p2align	6, 0x0
	.amdhsa_kernel _ZN7rocprim17ROCPRIM_400000_NS6detail17trampoline_kernelINS0_14default_configENS1_22reduce_config_selectorIfEEZNS1_11reduce_implILb1ES3_N6thrust23THRUST_200600_302600_NS11hip_rocprim26transform_input_iterator_tIfNS8_17counting_iteratorIiNS8_11use_defaultESC_SC_EE11estimate_piEEPffNS8_4plusIfEEEE10hipError_tPvRmT1_T2_T3_mT4_P12ihipStream_tbEUlT_E0_NS1_11comp_targetILNS1_3genE10ELNS1_11target_archE1200ELNS1_3gpuE4ELNS1_3repE0EEENS1_30default_config_static_selectorELNS0_4arch9wavefront6targetE1EEEvSM_
		.amdhsa_group_segment_fixed_size 0
		.amdhsa_private_segment_fixed_size 0
		.amdhsa_kernarg_size 56
		.amdhsa_user_sgpr_count 6
		.amdhsa_user_sgpr_private_segment_buffer 1
		.amdhsa_user_sgpr_dispatch_ptr 0
		.amdhsa_user_sgpr_queue_ptr 0
		.amdhsa_user_sgpr_kernarg_segment_ptr 1
		.amdhsa_user_sgpr_dispatch_id 0
		.amdhsa_user_sgpr_flat_scratch_init 0
		.amdhsa_user_sgpr_kernarg_preload_length 0
		.amdhsa_user_sgpr_kernarg_preload_offset 0
		.amdhsa_user_sgpr_private_segment_size 0
		.amdhsa_uses_dynamic_stack 0
		.amdhsa_system_sgpr_private_segment_wavefront_offset 0
		.amdhsa_system_sgpr_workgroup_id_x 1
		.amdhsa_system_sgpr_workgroup_id_y 0
		.amdhsa_system_sgpr_workgroup_id_z 0
		.amdhsa_system_sgpr_workgroup_info 0
		.amdhsa_system_vgpr_workitem_id 0
		.amdhsa_next_free_vgpr 1
		.amdhsa_next_free_sgpr 0
		.amdhsa_accum_offset 4
		.amdhsa_reserve_vcc 0
		.amdhsa_reserve_flat_scratch 0
		.amdhsa_float_round_mode_32 0
		.amdhsa_float_round_mode_16_64 0
		.amdhsa_float_denorm_mode_32 3
		.amdhsa_float_denorm_mode_16_64 3
		.amdhsa_dx10_clamp 1
		.amdhsa_ieee_mode 1
		.amdhsa_fp16_overflow 0
		.amdhsa_tg_split 0
		.amdhsa_exception_fp_ieee_invalid_op 0
		.amdhsa_exception_fp_denorm_src 0
		.amdhsa_exception_fp_ieee_div_zero 0
		.amdhsa_exception_fp_ieee_overflow 0
		.amdhsa_exception_fp_ieee_underflow 0
		.amdhsa_exception_fp_ieee_inexact 0
		.amdhsa_exception_int_div_zero 0
	.end_amdhsa_kernel
	.section	.text._ZN7rocprim17ROCPRIM_400000_NS6detail17trampoline_kernelINS0_14default_configENS1_22reduce_config_selectorIfEEZNS1_11reduce_implILb1ES3_N6thrust23THRUST_200600_302600_NS11hip_rocprim26transform_input_iterator_tIfNS8_17counting_iteratorIiNS8_11use_defaultESC_SC_EE11estimate_piEEPffNS8_4plusIfEEEE10hipError_tPvRmT1_T2_T3_mT4_P12ihipStream_tbEUlT_E0_NS1_11comp_targetILNS1_3genE10ELNS1_11target_archE1200ELNS1_3gpuE4ELNS1_3repE0EEENS1_30default_config_static_selectorELNS0_4arch9wavefront6targetE1EEEvSM_,"axG",@progbits,_ZN7rocprim17ROCPRIM_400000_NS6detail17trampoline_kernelINS0_14default_configENS1_22reduce_config_selectorIfEEZNS1_11reduce_implILb1ES3_N6thrust23THRUST_200600_302600_NS11hip_rocprim26transform_input_iterator_tIfNS8_17counting_iteratorIiNS8_11use_defaultESC_SC_EE11estimate_piEEPffNS8_4plusIfEEEE10hipError_tPvRmT1_T2_T3_mT4_P12ihipStream_tbEUlT_E0_NS1_11comp_targetILNS1_3genE10ELNS1_11target_archE1200ELNS1_3gpuE4ELNS1_3repE0EEENS1_30default_config_static_selectorELNS0_4arch9wavefront6targetE1EEEvSM_,comdat
.Lfunc_end24:
	.size	_ZN7rocprim17ROCPRIM_400000_NS6detail17trampoline_kernelINS0_14default_configENS1_22reduce_config_selectorIfEEZNS1_11reduce_implILb1ES3_N6thrust23THRUST_200600_302600_NS11hip_rocprim26transform_input_iterator_tIfNS8_17counting_iteratorIiNS8_11use_defaultESC_SC_EE11estimate_piEEPffNS8_4plusIfEEEE10hipError_tPvRmT1_T2_T3_mT4_P12ihipStream_tbEUlT_E0_NS1_11comp_targetILNS1_3genE10ELNS1_11target_archE1200ELNS1_3gpuE4ELNS1_3repE0EEENS1_30default_config_static_selectorELNS0_4arch9wavefront6targetE1EEEvSM_, .Lfunc_end24-_ZN7rocprim17ROCPRIM_400000_NS6detail17trampoline_kernelINS0_14default_configENS1_22reduce_config_selectorIfEEZNS1_11reduce_implILb1ES3_N6thrust23THRUST_200600_302600_NS11hip_rocprim26transform_input_iterator_tIfNS8_17counting_iteratorIiNS8_11use_defaultESC_SC_EE11estimate_piEEPffNS8_4plusIfEEEE10hipError_tPvRmT1_T2_T3_mT4_P12ihipStream_tbEUlT_E0_NS1_11comp_targetILNS1_3genE10ELNS1_11target_archE1200ELNS1_3gpuE4ELNS1_3repE0EEENS1_30default_config_static_selectorELNS0_4arch9wavefront6targetE1EEEvSM_
                                        ; -- End function
	.section	.AMDGPU.csdata,"",@progbits
; Kernel info:
; codeLenInByte = 0
; NumSgprs: 4
; NumVgprs: 0
; NumAgprs: 0
; TotalNumVgprs: 0
; ScratchSize: 0
; MemoryBound: 0
; FloatMode: 240
; IeeeMode: 1
; LDSByteSize: 0 bytes/workgroup (compile time only)
; SGPRBlocks: 0
; VGPRBlocks: 0
; NumSGPRsForWavesPerEU: 4
; NumVGPRsForWavesPerEU: 1
; AccumOffset: 4
; Occupancy: 8
; WaveLimiterHint : 0
; COMPUTE_PGM_RSRC2:SCRATCH_EN: 0
; COMPUTE_PGM_RSRC2:USER_SGPR: 6
; COMPUTE_PGM_RSRC2:TRAP_HANDLER: 0
; COMPUTE_PGM_RSRC2:TGID_X_EN: 1
; COMPUTE_PGM_RSRC2:TGID_Y_EN: 0
; COMPUTE_PGM_RSRC2:TGID_Z_EN: 0
; COMPUTE_PGM_RSRC2:TIDIG_COMP_CNT: 0
; COMPUTE_PGM_RSRC3_GFX90A:ACCUM_OFFSET: 0
; COMPUTE_PGM_RSRC3_GFX90A:TG_SPLIT: 0
	.section	.text._ZN7rocprim17ROCPRIM_400000_NS6detail17trampoline_kernelINS0_14default_configENS1_22reduce_config_selectorIfEEZNS1_11reduce_implILb1ES3_N6thrust23THRUST_200600_302600_NS11hip_rocprim26transform_input_iterator_tIfNS8_17counting_iteratorIiNS8_11use_defaultESC_SC_EE11estimate_piEEPffNS8_4plusIfEEEE10hipError_tPvRmT1_T2_T3_mT4_P12ihipStream_tbEUlT_E0_NS1_11comp_targetILNS1_3genE9ELNS1_11target_archE1100ELNS1_3gpuE3ELNS1_3repE0EEENS1_30default_config_static_selectorELNS0_4arch9wavefront6targetE1EEEvSM_,"axG",@progbits,_ZN7rocprim17ROCPRIM_400000_NS6detail17trampoline_kernelINS0_14default_configENS1_22reduce_config_selectorIfEEZNS1_11reduce_implILb1ES3_N6thrust23THRUST_200600_302600_NS11hip_rocprim26transform_input_iterator_tIfNS8_17counting_iteratorIiNS8_11use_defaultESC_SC_EE11estimate_piEEPffNS8_4plusIfEEEE10hipError_tPvRmT1_T2_T3_mT4_P12ihipStream_tbEUlT_E0_NS1_11comp_targetILNS1_3genE9ELNS1_11target_archE1100ELNS1_3gpuE3ELNS1_3repE0EEENS1_30default_config_static_selectorELNS0_4arch9wavefront6targetE1EEEvSM_,comdat
	.protected	_ZN7rocprim17ROCPRIM_400000_NS6detail17trampoline_kernelINS0_14default_configENS1_22reduce_config_selectorIfEEZNS1_11reduce_implILb1ES3_N6thrust23THRUST_200600_302600_NS11hip_rocprim26transform_input_iterator_tIfNS8_17counting_iteratorIiNS8_11use_defaultESC_SC_EE11estimate_piEEPffNS8_4plusIfEEEE10hipError_tPvRmT1_T2_T3_mT4_P12ihipStream_tbEUlT_E0_NS1_11comp_targetILNS1_3genE9ELNS1_11target_archE1100ELNS1_3gpuE3ELNS1_3repE0EEENS1_30default_config_static_selectorELNS0_4arch9wavefront6targetE1EEEvSM_ ; -- Begin function _ZN7rocprim17ROCPRIM_400000_NS6detail17trampoline_kernelINS0_14default_configENS1_22reduce_config_selectorIfEEZNS1_11reduce_implILb1ES3_N6thrust23THRUST_200600_302600_NS11hip_rocprim26transform_input_iterator_tIfNS8_17counting_iteratorIiNS8_11use_defaultESC_SC_EE11estimate_piEEPffNS8_4plusIfEEEE10hipError_tPvRmT1_T2_T3_mT4_P12ihipStream_tbEUlT_E0_NS1_11comp_targetILNS1_3genE9ELNS1_11target_archE1100ELNS1_3gpuE3ELNS1_3repE0EEENS1_30default_config_static_selectorELNS0_4arch9wavefront6targetE1EEEvSM_
	.globl	_ZN7rocprim17ROCPRIM_400000_NS6detail17trampoline_kernelINS0_14default_configENS1_22reduce_config_selectorIfEEZNS1_11reduce_implILb1ES3_N6thrust23THRUST_200600_302600_NS11hip_rocprim26transform_input_iterator_tIfNS8_17counting_iteratorIiNS8_11use_defaultESC_SC_EE11estimate_piEEPffNS8_4plusIfEEEE10hipError_tPvRmT1_T2_T3_mT4_P12ihipStream_tbEUlT_E0_NS1_11comp_targetILNS1_3genE9ELNS1_11target_archE1100ELNS1_3gpuE3ELNS1_3repE0EEENS1_30default_config_static_selectorELNS0_4arch9wavefront6targetE1EEEvSM_
	.p2align	8
	.type	_ZN7rocprim17ROCPRIM_400000_NS6detail17trampoline_kernelINS0_14default_configENS1_22reduce_config_selectorIfEEZNS1_11reduce_implILb1ES3_N6thrust23THRUST_200600_302600_NS11hip_rocprim26transform_input_iterator_tIfNS8_17counting_iteratorIiNS8_11use_defaultESC_SC_EE11estimate_piEEPffNS8_4plusIfEEEE10hipError_tPvRmT1_T2_T3_mT4_P12ihipStream_tbEUlT_E0_NS1_11comp_targetILNS1_3genE9ELNS1_11target_archE1100ELNS1_3gpuE3ELNS1_3repE0EEENS1_30default_config_static_selectorELNS0_4arch9wavefront6targetE1EEEvSM_,@function
_ZN7rocprim17ROCPRIM_400000_NS6detail17trampoline_kernelINS0_14default_configENS1_22reduce_config_selectorIfEEZNS1_11reduce_implILb1ES3_N6thrust23THRUST_200600_302600_NS11hip_rocprim26transform_input_iterator_tIfNS8_17counting_iteratorIiNS8_11use_defaultESC_SC_EE11estimate_piEEPffNS8_4plusIfEEEE10hipError_tPvRmT1_T2_T3_mT4_P12ihipStream_tbEUlT_E0_NS1_11comp_targetILNS1_3genE9ELNS1_11target_archE1100ELNS1_3gpuE3ELNS1_3repE0EEENS1_30default_config_static_selectorELNS0_4arch9wavefront6targetE1EEEvSM_: ; @_ZN7rocprim17ROCPRIM_400000_NS6detail17trampoline_kernelINS0_14default_configENS1_22reduce_config_selectorIfEEZNS1_11reduce_implILb1ES3_N6thrust23THRUST_200600_302600_NS11hip_rocprim26transform_input_iterator_tIfNS8_17counting_iteratorIiNS8_11use_defaultESC_SC_EE11estimate_piEEPffNS8_4plusIfEEEE10hipError_tPvRmT1_T2_T3_mT4_P12ihipStream_tbEUlT_E0_NS1_11comp_targetILNS1_3genE9ELNS1_11target_archE1100ELNS1_3gpuE3ELNS1_3repE0EEENS1_30default_config_static_selectorELNS0_4arch9wavefront6targetE1EEEvSM_
; %bb.0:
	.section	.rodata,"a",@progbits
	.p2align	6, 0x0
	.amdhsa_kernel _ZN7rocprim17ROCPRIM_400000_NS6detail17trampoline_kernelINS0_14default_configENS1_22reduce_config_selectorIfEEZNS1_11reduce_implILb1ES3_N6thrust23THRUST_200600_302600_NS11hip_rocprim26transform_input_iterator_tIfNS8_17counting_iteratorIiNS8_11use_defaultESC_SC_EE11estimate_piEEPffNS8_4plusIfEEEE10hipError_tPvRmT1_T2_T3_mT4_P12ihipStream_tbEUlT_E0_NS1_11comp_targetILNS1_3genE9ELNS1_11target_archE1100ELNS1_3gpuE3ELNS1_3repE0EEENS1_30default_config_static_selectorELNS0_4arch9wavefront6targetE1EEEvSM_
		.amdhsa_group_segment_fixed_size 0
		.amdhsa_private_segment_fixed_size 0
		.amdhsa_kernarg_size 56
		.amdhsa_user_sgpr_count 6
		.amdhsa_user_sgpr_private_segment_buffer 1
		.amdhsa_user_sgpr_dispatch_ptr 0
		.amdhsa_user_sgpr_queue_ptr 0
		.amdhsa_user_sgpr_kernarg_segment_ptr 1
		.amdhsa_user_sgpr_dispatch_id 0
		.amdhsa_user_sgpr_flat_scratch_init 0
		.amdhsa_user_sgpr_kernarg_preload_length 0
		.amdhsa_user_sgpr_kernarg_preload_offset 0
		.amdhsa_user_sgpr_private_segment_size 0
		.amdhsa_uses_dynamic_stack 0
		.amdhsa_system_sgpr_private_segment_wavefront_offset 0
		.amdhsa_system_sgpr_workgroup_id_x 1
		.amdhsa_system_sgpr_workgroup_id_y 0
		.amdhsa_system_sgpr_workgroup_id_z 0
		.amdhsa_system_sgpr_workgroup_info 0
		.amdhsa_system_vgpr_workitem_id 0
		.amdhsa_next_free_vgpr 1
		.amdhsa_next_free_sgpr 0
		.amdhsa_accum_offset 4
		.amdhsa_reserve_vcc 0
		.amdhsa_reserve_flat_scratch 0
		.amdhsa_float_round_mode_32 0
		.amdhsa_float_round_mode_16_64 0
		.amdhsa_float_denorm_mode_32 3
		.amdhsa_float_denorm_mode_16_64 3
		.amdhsa_dx10_clamp 1
		.amdhsa_ieee_mode 1
		.amdhsa_fp16_overflow 0
		.amdhsa_tg_split 0
		.amdhsa_exception_fp_ieee_invalid_op 0
		.amdhsa_exception_fp_denorm_src 0
		.amdhsa_exception_fp_ieee_div_zero 0
		.amdhsa_exception_fp_ieee_overflow 0
		.amdhsa_exception_fp_ieee_underflow 0
		.amdhsa_exception_fp_ieee_inexact 0
		.amdhsa_exception_int_div_zero 0
	.end_amdhsa_kernel
	.section	.text._ZN7rocprim17ROCPRIM_400000_NS6detail17trampoline_kernelINS0_14default_configENS1_22reduce_config_selectorIfEEZNS1_11reduce_implILb1ES3_N6thrust23THRUST_200600_302600_NS11hip_rocprim26transform_input_iterator_tIfNS8_17counting_iteratorIiNS8_11use_defaultESC_SC_EE11estimate_piEEPffNS8_4plusIfEEEE10hipError_tPvRmT1_T2_T3_mT4_P12ihipStream_tbEUlT_E0_NS1_11comp_targetILNS1_3genE9ELNS1_11target_archE1100ELNS1_3gpuE3ELNS1_3repE0EEENS1_30default_config_static_selectorELNS0_4arch9wavefront6targetE1EEEvSM_,"axG",@progbits,_ZN7rocprim17ROCPRIM_400000_NS6detail17trampoline_kernelINS0_14default_configENS1_22reduce_config_selectorIfEEZNS1_11reduce_implILb1ES3_N6thrust23THRUST_200600_302600_NS11hip_rocprim26transform_input_iterator_tIfNS8_17counting_iteratorIiNS8_11use_defaultESC_SC_EE11estimate_piEEPffNS8_4plusIfEEEE10hipError_tPvRmT1_T2_T3_mT4_P12ihipStream_tbEUlT_E0_NS1_11comp_targetILNS1_3genE9ELNS1_11target_archE1100ELNS1_3gpuE3ELNS1_3repE0EEENS1_30default_config_static_selectorELNS0_4arch9wavefront6targetE1EEEvSM_,comdat
.Lfunc_end25:
	.size	_ZN7rocprim17ROCPRIM_400000_NS6detail17trampoline_kernelINS0_14default_configENS1_22reduce_config_selectorIfEEZNS1_11reduce_implILb1ES3_N6thrust23THRUST_200600_302600_NS11hip_rocprim26transform_input_iterator_tIfNS8_17counting_iteratorIiNS8_11use_defaultESC_SC_EE11estimate_piEEPffNS8_4plusIfEEEE10hipError_tPvRmT1_T2_T3_mT4_P12ihipStream_tbEUlT_E0_NS1_11comp_targetILNS1_3genE9ELNS1_11target_archE1100ELNS1_3gpuE3ELNS1_3repE0EEENS1_30default_config_static_selectorELNS0_4arch9wavefront6targetE1EEEvSM_, .Lfunc_end25-_ZN7rocprim17ROCPRIM_400000_NS6detail17trampoline_kernelINS0_14default_configENS1_22reduce_config_selectorIfEEZNS1_11reduce_implILb1ES3_N6thrust23THRUST_200600_302600_NS11hip_rocprim26transform_input_iterator_tIfNS8_17counting_iteratorIiNS8_11use_defaultESC_SC_EE11estimate_piEEPffNS8_4plusIfEEEE10hipError_tPvRmT1_T2_T3_mT4_P12ihipStream_tbEUlT_E0_NS1_11comp_targetILNS1_3genE9ELNS1_11target_archE1100ELNS1_3gpuE3ELNS1_3repE0EEENS1_30default_config_static_selectorELNS0_4arch9wavefront6targetE1EEEvSM_
                                        ; -- End function
	.section	.AMDGPU.csdata,"",@progbits
; Kernel info:
; codeLenInByte = 0
; NumSgprs: 4
; NumVgprs: 0
; NumAgprs: 0
; TotalNumVgprs: 0
; ScratchSize: 0
; MemoryBound: 0
; FloatMode: 240
; IeeeMode: 1
; LDSByteSize: 0 bytes/workgroup (compile time only)
; SGPRBlocks: 0
; VGPRBlocks: 0
; NumSGPRsForWavesPerEU: 4
; NumVGPRsForWavesPerEU: 1
; AccumOffset: 4
; Occupancy: 8
; WaveLimiterHint : 0
; COMPUTE_PGM_RSRC2:SCRATCH_EN: 0
; COMPUTE_PGM_RSRC2:USER_SGPR: 6
; COMPUTE_PGM_RSRC2:TRAP_HANDLER: 0
; COMPUTE_PGM_RSRC2:TGID_X_EN: 1
; COMPUTE_PGM_RSRC2:TGID_Y_EN: 0
; COMPUTE_PGM_RSRC2:TGID_Z_EN: 0
; COMPUTE_PGM_RSRC2:TIDIG_COMP_CNT: 0
; COMPUTE_PGM_RSRC3_GFX90A:ACCUM_OFFSET: 0
; COMPUTE_PGM_RSRC3_GFX90A:TG_SPLIT: 0
	.section	.text._ZN7rocprim17ROCPRIM_400000_NS6detail17trampoline_kernelINS0_14default_configENS1_22reduce_config_selectorIfEEZNS1_11reduce_implILb1ES3_N6thrust23THRUST_200600_302600_NS11hip_rocprim26transform_input_iterator_tIfNS8_17counting_iteratorIiNS8_11use_defaultESC_SC_EE11estimate_piEEPffNS8_4plusIfEEEE10hipError_tPvRmT1_T2_T3_mT4_P12ihipStream_tbEUlT_E0_NS1_11comp_targetILNS1_3genE8ELNS1_11target_archE1030ELNS1_3gpuE2ELNS1_3repE0EEENS1_30default_config_static_selectorELNS0_4arch9wavefront6targetE1EEEvSM_,"axG",@progbits,_ZN7rocprim17ROCPRIM_400000_NS6detail17trampoline_kernelINS0_14default_configENS1_22reduce_config_selectorIfEEZNS1_11reduce_implILb1ES3_N6thrust23THRUST_200600_302600_NS11hip_rocprim26transform_input_iterator_tIfNS8_17counting_iteratorIiNS8_11use_defaultESC_SC_EE11estimate_piEEPffNS8_4plusIfEEEE10hipError_tPvRmT1_T2_T3_mT4_P12ihipStream_tbEUlT_E0_NS1_11comp_targetILNS1_3genE8ELNS1_11target_archE1030ELNS1_3gpuE2ELNS1_3repE0EEENS1_30default_config_static_selectorELNS0_4arch9wavefront6targetE1EEEvSM_,comdat
	.protected	_ZN7rocprim17ROCPRIM_400000_NS6detail17trampoline_kernelINS0_14default_configENS1_22reduce_config_selectorIfEEZNS1_11reduce_implILb1ES3_N6thrust23THRUST_200600_302600_NS11hip_rocprim26transform_input_iterator_tIfNS8_17counting_iteratorIiNS8_11use_defaultESC_SC_EE11estimate_piEEPffNS8_4plusIfEEEE10hipError_tPvRmT1_T2_T3_mT4_P12ihipStream_tbEUlT_E0_NS1_11comp_targetILNS1_3genE8ELNS1_11target_archE1030ELNS1_3gpuE2ELNS1_3repE0EEENS1_30default_config_static_selectorELNS0_4arch9wavefront6targetE1EEEvSM_ ; -- Begin function _ZN7rocprim17ROCPRIM_400000_NS6detail17trampoline_kernelINS0_14default_configENS1_22reduce_config_selectorIfEEZNS1_11reduce_implILb1ES3_N6thrust23THRUST_200600_302600_NS11hip_rocprim26transform_input_iterator_tIfNS8_17counting_iteratorIiNS8_11use_defaultESC_SC_EE11estimate_piEEPffNS8_4plusIfEEEE10hipError_tPvRmT1_T2_T3_mT4_P12ihipStream_tbEUlT_E0_NS1_11comp_targetILNS1_3genE8ELNS1_11target_archE1030ELNS1_3gpuE2ELNS1_3repE0EEENS1_30default_config_static_selectorELNS0_4arch9wavefront6targetE1EEEvSM_
	.globl	_ZN7rocprim17ROCPRIM_400000_NS6detail17trampoline_kernelINS0_14default_configENS1_22reduce_config_selectorIfEEZNS1_11reduce_implILb1ES3_N6thrust23THRUST_200600_302600_NS11hip_rocprim26transform_input_iterator_tIfNS8_17counting_iteratorIiNS8_11use_defaultESC_SC_EE11estimate_piEEPffNS8_4plusIfEEEE10hipError_tPvRmT1_T2_T3_mT4_P12ihipStream_tbEUlT_E0_NS1_11comp_targetILNS1_3genE8ELNS1_11target_archE1030ELNS1_3gpuE2ELNS1_3repE0EEENS1_30default_config_static_selectorELNS0_4arch9wavefront6targetE1EEEvSM_
	.p2align	8
	.type	_ZN7rocprim17ROCPRIM_400000_NS6detail17trampoline_kernelINS0_14default_configENS1_22reduce_config_selectorIfEEZNS1_11reduce_implILb1ES3_N6thrust23THRUST_200600_302600_NS11hip_rocprim26transform_input_iterator_tIfNS8_17counting_iteratorIiNS8_11use_defaultESC_SC_EE11estimate_piEEPffNS8_4plusIfEEEE10hipError_tPvRmT1_T2_T3_mT4_P12ihipStream_tbEUlT_E0_NS1_11comp_targetILNS1_3genE8ELNS1_11target_archE1030ELNS1_3gpuE2ELNS1_3repE0EEENS1_30default_config_static_selectorELNS0_4arch9wavefront6targetE1EEEvSM_,@function
_ZN7rocprim17ROCPRIM_400000_NS6detail17trampoline_kernelINS0_14default_configENS1_22reduce_config_selectorIfEEZNS1_11reduce_implILb1ES3_N6thrust23THRUST_200600_302600_NS11hip_rocprim26transform_input_iterator_tIfNS8_17counting_iteratorIiNS8_11use_defaultESC_SC_EE11estimate_piEEPffNS8_4plusIfEEEE10hipError_tPvRmT1_T2_T3_mT4_P12ihipStream_tbEUlT_E0_NS1_11comp_targetILNS1_3genE8ELNS1_11target_archE1030ELNS1_3gpuE2ELNS1_3repE0EEENS1_30default_config_static_selectorELNS0_4arch9wavefront6targetE1EEEvSM_: ; @_ZN7rocprim17ROCPRIM_400000_NS6detail17trampoline_kernelINS0_14default_configENS1_22reduce_config_selectorIfEEZNS1_11reduce_implILb1ES3_N6thrust23THRUST_200600_302600_NS11hip_rocprim26transform_input_iterator_tIfNS8_17counting_iteratorIiNS8_11use_defaultESC_SC_EE11estimate_piEEPffNS8_4plusIfEEEE10hipError_tPvRmT1_T2_T3_mT4_P12ihipStream_tbEUlT_E0_NS1_11comp_targetILNS1_3genE8ELNS1_11target_archE1030ELNS1_3gpuE2ELNS1_3repE0EEENS1_30default_config_static_selectorELNS0_4arch9wavefront6targetE1EEEvSM_
; %bb.0:
	.section	.rodata,"a",@progbits
	.p2align	6, 0x0
	.amdhsa_kernel _ZN7rocprim17ROCPRIM_400000_NS6detail17trampoline_kernelINS0_14default_configENS1_22reduce_config_selectorIfEEZNS1_11reduce_implILb1ES3_N6thrust23THRUST_200600_302600_NS11hip_rocprim26transform_input_iterator_tIfNS8_17counting_iteratorIiNS8_11use_defaultESC_SC_EE11estimate_piEEPffNS8_4plusIfEEEE10hipError_tPvRmT1_T2_T3_mT4_P12ihipStream_tbEUlT_E0_NS1_11comp_targetILNS1_3genE8ELNS1_11target_archE1030ELNS1_3gpuE2ELNS1_3repE0EEENS1_30default_config_static_selectorELNS0_4arch9wavefront6targetE1EEEvSM_
		.amdhsa_group_segment_fixed_size 0
		.amdhsa_private_segment_fixed_size 0
		.amdhsa_kernarg_size 56
		.amdhsa_user_sgpr_count 6
		.amdhsa_user_sgpr_private_segment_buffer 1
		.amdhsa_user_sgpr_dispatch_ptr 0
		.amdhsa_user_sgpr_queue_ptr 0
		.amdhsa_user_sgpr_kernarg_segment_ptr 1
		.amdhsa_user_sgpr_dispatch_id 0
		.amdhsa_user_sgpr_flat_scratch_init 0
		.amdhsa_user_sgpr_kernarg_preload_length 0
		.amdhsa_user_sgpr_kernarg_preload_offset 0
		.amdhsa_user_sgpr_private_segment_size 0
		.amdhsa_uses_dynamic_stack 0
		.amdhsa_system_sgpr_private_segment_wavefront_offset 0
		.amdhsa_system_sgpr_workgroup_id_x 1
		.amdhsa_system_sgpr_workgroup_id_y 0
		.amdhsa_system_sgpr_workgroup_id_z 0
		.amdhsa_system_sgpr_workgroup_info 0
		.amdhsa_system_vgpr_workitem_id 0
		.amdhsa_next_free_vgpr 1
		.amdhsa_next_free_sgpr 0
		.amdhsa_accum_offset 4
		.amdhsa_reserve_vcc 0
		.amdhsa_reserve_flat_scratch 0
		.amdhsa_float_round_mode_32 0
		.amdhsa_float_round_mode_16_64 0
		.amdhsa_float_denorm_mode_32 3
		.amdhsa_float_denorm_mode_16_64 3
		.amdhsa_dx10_clamp 1
		.amdhsa_ieee_mode 1
		.amdhsa_fp16_overflow 0
		.amdhsa_tg_split 0
		.amdhsa_exception_fp_ieee_invalid_op 0
		.amdhsa_exception_fp_denorm_src 0
		.amdhsa_exception_fp_ieee_div_zero 0
		.amdhsa_exception_fp_ieee_overflow 0
		.amdhsa_exception_fp_ieee_underflow 0
		.amdhsa_exception_fp_ieee_inexact 0
		.amdhsa_exception_int_div_zero 0
	.end_amdhsa_kernel
	.section	.text._ZN7rocprim17ROCPRIM_400000_NS6detail17trampoline_kernelINS0_14default_configENS1_22reduce_config_selectorIfEEZNS1_11reduce_implILb1ES3_N6thrust23THRUST_200600_302600_NS11hip_rocprim26transform_input_iterator_tIfNS8_17counting_iteratorIiNS8_11use_defaultESC_SC_EE11estimate_piEEPffNS8_4plusIfEEEE10hipError_tPvRmT1_T2_T3_mT4_P12ihipStream_tbEUlT_E0_NS1_11comp_targetILNS1_3genE8ELNS1_11target_archE1030ELNS1_3gpuE2ELNS1_3repE0EEENS1_30default_config_static_selectorELNS0_4arch9wavefront6targetE1EEEvSM_,"axG",@progbits,_ZN7rocprim17ROCPRIM_400000_NS6detail17trampoline_kernelINS0_14default_configENS1_22reduce_config_selectorIfEEZNS1_11reduce_implILb1ES3_N6thrust23THRUST_200600_302600_NS11hip_rocprim26transform_input_iterator_tIfNS8_17counting_iteratorIiNS8_11use_defaultESC_SC_EE11estimate_piEEPffNS8_4plusIfEEEE10hipError_tPvRmT1_T2_T3_mT4_P12ihipStream_tbEUlT_E0_NS1_11comp_targetILNS1_3genE8ELNS1_11target_archE1030ELNS1_3gpuE2ELNS1_3repE0EEENS1_30default_config_static_selectorELNS0_4arch9wavefront6targetE1EEEvSM_,comdat
.Lfunc_end26:
	.size	_ZN7rocprim17ROCPRIM_400000_NS6detail17trampoline_kernelINS0_14default_configENS1_22reduce_config_selectorIfEEZNS1_11reduce_implILb1ES3_N6thrust23THRUST_200600_302600_NS11hip_rocprim26transform_input_iterator_tIfNS8_17counting_iteratorIiNS8_11use_defaultESC_SC_EE11estimate_piEEPffNS8_4plusIfEEEE10hipError_tPvRmT1_T2_T3_mT4_P12ihipStream_tbEUlT_E0_NS1_11comp_targetILNS1_3genE8ELNS1_11target_archE1030ELNS1_3gpuE2ELNS1_3repE0EEENS1_30default_config_static_selectorELNS0_4arch9wavefront6targetE1EEEvSM_, .Lfunc_end26-_ZN7rocprim17ROCPRIM_400000_NS6detail17trampoline_kernelINS0_14default_configENS1_22reduce_config_selectorIfEEZNS1_11reduce_implILb1ES3_N6thrust23THRUST_200600_302600_NS11hip_rocprim26transform_input_iterator_tIfNS8_17counting_iteratorIiNS8_11use_defaultESC_SC_EE11estimate_piEEPffNS8_4plusIfEEEE10hipError_tPvRmT1_T2_T3_mT4_P12ihipStream_tbEUlT_E0_NS1_11comp_targetILNS1_3genE8ELNS1_11target_archE1030ELNS1_3gpuE2ELNS1_3repE0EEENS1_30default_config_static_selectorELNS0_4arch9wavefront6targetE1EEEvSM_
                                        ; -- End function
	.section	.AMDGPU.csdata,"",@progbits
; Kernel info:
; codeLenInByte = 0
; NumSgprs: 4
; NumVgprs: 0
; NumAgprs: 0
; TotalNumVgprs: 0
; ScratchSize: 0
; MemoryBound: 0
; FloatMode: 240
; IeeeMode: 1
; LDSByteSize: 0 bytes/workgroup (compile time only)
; SGPRBlocks: 0
; VGPRBlocks: 0
; NumSGPRsForWavesPerEU: 4
; NumVGPRsForWavesPerEU: 1
; AccumOffset: 4
; Occupancy: 8
; WaveLimiterHint : 0
; COMPUTE_PGM_RSRC2:SCRATCH_EN: 0
; COMPUTE_PGM_RSRC2:USER_SGPR: 6
; COMPUTE_PGM_RSRC2:TRAP_HANDLER: 0
; COMPUTE_PGM_RSRC2:TGID_X_EN: 1
; COMPUTE_PGM_RSRC2:TGID_Y_EN: 0
; COMPUTE_PGM_RSRC2:TGID_Z_EN: 0
; COMPUTE_PGM_RSRC2:TIDIG_COMP_CNT: 0
; COMPUTE_PGM_RSRC3_GFX90A:ACCUM_OFFSET: 0
; COMPUTE_PGM_RSRC3_GFX90A:TG_SPLIT: 0
	.section	.text._ZN7rocprim17ROCPRIM_400000_NS6detail17trampoline_kernelINS0_14default_configENS1_22reduce_config_selectorIfEEZNS1_11reduce_implILb1ES3_N6thrust23THRUST_200600_302600_NS11hip_rocprim26transform_input_iterator_tIfNS8_17counting_iteratorIiNS8_11use_defaultESC_SC_EE11estimate_piEEPffNS8_4plusIfEEEE10hipError_tPvRmT1_T2_T3_mT4_P12ihipStream_tbEUlT_E1_NS1_11comp_targetILNS1_3genE0ELNS1_11target_archE4294967295ELNS1_3gpuE0ELNS1_3repE0EEENS1_30default_config_static_selectorELNS0_4arch9wavefront6targetE1EEEvSM_,"axG",@progbits,_ZN7rocprim17ROCPRIM_400000_NS6detail17trampoline_kernelINS0_14default_configENS1_22reduce_config_selectorIfEEZNS1_11reduce_implILb1ES3_N6thrust23THRUST_200600_302600_NS11hip_rocprim26transform_input_iterator_tIfNS8_17counting_iteratorIiNS8_11use_defaultESC_SC_EE11estimate_piEEPffNS8_4plusIfEEEE10hipError_tPvRmT1_T2_T3_mT4_P12ihipStream_tbEUlT_E1_NS1_11comp_targetILNS1_3genE0ELNS1_11target_archE4294967295ELNS1_3gpuE0ELNS1_3repE0EEENS1_30default_config_static_selectorELNS0_4arch9wavefront6targetE1EEEvSM_,comdat
	.protected	_ZN7rocprim17ROCPRIM_400000_NS6detail17trampoline_kernelINS0_14default_configENS1_22reduce_config_selectorIfEEZNS1_11reduce_implILb1ES3_N6thrust23THRUST_200600_302600_NS11hip_rocprim26transform_input_iterator_tIfNS8_17counting_iteratorIiNS8_11use_defaultESC_SC_EE11estimate_piEEPffNS8_4plusIfEEEE10hipError_tPvRmT1_T2_T3_mT4_P12ihipStream_tbEUlT_E1_NS1_11comp_targetILNS1_3genE0ELNS1_11target_archE4294967295ELNS1_3gpuE0ELNS1_3repE0EEENS1_30default_config_static_selectorELNS0_4arch9wavefront6targetE1EEEvSM_ ; -- Begin function _ZN7rocprim17ROCPRIM_400000_NS6detail17trampoline_kernelINS0_14default_configENS1_22reduce_config_selectorIfEEZNS1_11reduce_implILb1ES3_N6thrust23THRUST_200600_302600_NS11hip_rocprim26transform_input_iterator_tIfNS8_17counting_iteratorIiNS8_11use_defaultESC_SC_EE11estimate_piEEPffNS8_4plusIfEEEE10hipError_tPvRmT1_T2_T3_mT4_P12ihipStream_tbEUlT_E1_NS1_11comp_targetILNS1_3genE0ELNS1_11target_archE4294967295ELNS1_3gpuE0ELNS1_3repE0EEENS1_30default_config_static_selectorELNS0_4arch9wavefront6targetE1EEEvSM_
	.globl	_ZN7rocprim17ROCPRIM_400000_NS6detail17trampoline_kernelINS0_14default_configENS1_22reduce_config_selectorIfEEZNS1_11reduce_implILb1ES3_N6thrust23THRUST_200600_302600_NS11hip_rocprim26transform_input_iterator_tIfNS8_17counting_iteratorIiNS8_11use_defaultESC_SC_EE11estimate_piEEPffNS8_4plusIfEEEE10hipError_tPvRmT1_T2_T3_mT4_P12ihipStream_tbEUlT_E1_NS1_11comp_targetILNS1_3genE0ELNS1_11target_archE4294967295ELNS1_3gpuE0ELNS1_3repE0EEENS1_30default_config_static_selectorELNS0_4arch9wavefront6targetE1EEEvSM_
	.p2align	8
	.type	_ZN7rocprim17ROCPRIM_400000_NS6detail17trampoline_kernelINS0_14default_configENS1_22reduce_config_selectorIfEEZNS1_11reduce_implILb1ES3_N6thrust23THRUST_200600_302600_NS11hip_rocprim26transform_input_iterator_tIfNS8_17counting_iteratorIiNS8_11use_defaultESC_SC_EE11estimate_piEEPffNS8_4plusIfEEEE10hipError_tPvRmT1_T2_T3_mT4_P12ihipStream_tbEUlT_E1_NS1_11comp_targetILNS1_3genE0ELNS1_11target_archE4294967295ELNS1_3gpuE0ELNS1_3repE0EEENS1_30default_config_static_selectorELNS0_4arch9wavefront6targetE1EEEvSM_,@function
_ZN7rocprim17ROCPRIM_400000_NS6detail17trampoline_kernelINS0_14default_configENS1_22reduce_config_selectorIfEEZNS1_11reduce_implILb1ES3_N6thrust23THRUST_200600_302600_NS11hip_rocprim26transform_input_iterator_tIfNS8_17counting_iteratorIiNS8_11use_defaultESC_SC_EE11estimate_piEEPffNS8_4plusIfEEEE10hipError_tPvRmT1_T2_T3_mT4_P12ihipStream_tbEUlT_E1_NS1_11comp_targetILNS1_3genE0ELNS1_11target_archE4294967295ELNS1_3gpuE0ELNS1_3repE0EEENS1_30default_config_static_selectorELNS0_4arch9wavefront6targetE1EEEvSM_: ; @_ZN7rocprim17ROCPRIM_400000_NS6detail17trampoline_kernelINS0_14default_configENS1_22reduce_config_selectorIfEEZNS1_11reduce_implILb1ES3_N6thrust23THRUST_200600_302600_NS11hip_rocprim26transform_input_iterator_tIfNS8_17counting_iteratorIiNS8_11use_defaultESC_SC_EE11estimate_piEEPffNS8_4plusIfEEEE10hipError_tPvRmT1_T2_T3_mT4_P12ihipStream_tbEUlT_E1_NS1_11comp_targetILNS1_3genE0ELNS1_11target_archE4294967295ELNS1_3gpuE0ELNS1_3repE0EEENS1_30default_config_static_selectorELNS0_4arch9wavefront6targetE1EEEvSM_
; %bb.0:
	.section	.rodata,"a",@progbits
	.p2align	6, 0x0
	.amdhsa_kernel _ZN7rocprim17ROCPRIM_400000_NS6detail17trampoline_kernelINS0_14default_configENS1_22reduce_config_selectorIfEEZNS1_11reduce_implILb1ES3_N6thrust23THRUST_200600_302600_NS11hip_rocprim26transform_input_iterator_tIfNS8_17counting_iteratorIiNS8_11use_defaultESC_SC_EE11estimate_piEEPffNS8_4plusIfEEEE10hipError_tPvRmT1_T2_T3_mT4_P12ihipStream_tbEUlT_E1_NS1_11comp_targetILNS1_3genE0ELNS1_11target_archE4294967295ELNS1_3gpuE0ELNS1_3repE0EEENS1_30default_config_static_selectorELNS0_4arch9wavefront6targetE1EEEvSM_
		.amdhsa_group_segment_fixed_size 0
		.amdhsa_private_segment_fixed_size 0
		.amdhsa_kernarg_size 40
		.amdhsa_user_sgpr_count 6
		.amdhsa_user_sgpr_private_segment_buffer 1
		.amdhsa_user_sgpr_dispatch_ptr 0
		.amdhsa_user_sgpr_queue_ptr 0
		.amdhsa_user_sgpr_kernarg_segment_ptr 1
		.amdhsa_user_sgpr_dispatch_id 0
		.amdhsa_user_sgpr_flat_scratch_init 0
		.amdhsa_user_sgpr_kernarg_preload_length 0
		.amdhsa_user_sgpr_kernarg_preload_offset 0
		.amdhsa_user_sgpr_private_segment_size 0
		.amdhsa_uses_dynamic_stack 0
		.amdhsa_system_sgpr_private_segment_wavefront_offset 0
		.amdhsa_system_sgpr_workgroup_id_x 1
		.amdhsa_system_sgpr_workgroup_id_y 0
		.amdhsa_system_sgpr_workgroup_id_z 0
		.amdhsa_system_sgpr_workgroup_info 0
		.amdhsa_system_vgpr_workitem_id 0
		.amdhsa_next_free_vgpr 1
		.amdhsa_next_free_sgpr 0
		.amdhsa_accum_offset 4
		.amdhsa_reserve_vcc 0
		.amdhsa_reserve_flat_scratch 0
		.amdhsa_float_round_mode_32 0
		.amdhsa_float_round_mode_16_64 0
		.amdhsa_float_denorm_mode_32 3
		.amdhsa_float_denorm_mode_16_64 3
		.amdhsa_dx10_clamp 1
		.amdhsa_ieee_mode 1
		.amdhsa_fp16_overflow 0
		.amdhsa_tg_split 0
		.amdhsa_exception_fp_ieee_invalid_op 0
		.amdhsa_exception_fp_denorm_src 0
		.amdhsa_exception_fp_ieee_div_zero 0
		.amdhsa_exception_fp_ieee_overflow 0
		.amdhsa_exception_fp_ieee_underflow 0
		.amdhsa_exception_fp_ieee_inexact 0
		.amdhsa_exception_int_div_zero 0
	.end_amdhsa_kernel
	.section	.text._ZN7rocprim17ROCPRIM_400000_NS6detail17trampoline_kernelINS0_14default_configENS1_22reduce_config_selectorIfEEZNS1_11reduce_implILb1ES3_N6thrust23THRUST_200600_302600_NS11hip_rocprim26transform_input_iterator_tIfNS8_17counting_iteratorIiNS8_11use_defaultESC_SC_EE11estimate_piEEPffNS8_4plusIfEEEE10hipError_tPvRmT1_T2_T3_mT4_P12ihipStream_tbEUlT_E1_NS1_11comp_targetILNS1_3genE0ELNS1_11target_archE4294967295ELNS1_3gpuE0ELNS1_3repE0EEENS1_30default_config_static_selectorELNS0_4arch9wavefront6targetE1EEEvSM_,"axG",@progbits,_ZN7rocprim17ROCPRIM_400000_NS6detail17trampoline_kernelINS0_14default_configENS1_22reduce_config_selectorIfEEZNS1_11reduce_implILb1ES3_N6thrust23THRUST_200600_302600_NS11hip_rocprim26transform_input_iterator_tIfNS8_17counting_iteratorIiNS8_11use_defaultESC_SC_EE11estimate_piEEPffNS8_4plusIfEEEE10hipError_tPvRmT1_T2_T3_mT4_P12ihipStream_tbEUlT_E1_NS1_11comp_targetILNS1_3genE0ELNS1_11target_archE4294967295ELNS1_3gpuE0ELNS1_3repE0EEENS1_30default_config_static_selectorELNS0_4arch9wavefront6targetE1EEEvSM_,comdat
.Lfunc_end27:
	.size	_ZN7rocprim17ROCPRIM_400000_NS6detail17trampoline_kernelINS0_14default_configENS1_22reduce_config_selectorIfEEZNS1_11reduce_implILb1ES3_N6thrust23THRUST_200600_302600_NS11hip_rocprim26transform_input_iterator_tIfNS8_17counting_iteratorIiNS8_11use_defaultESC_SC_EE11estimate_piEEPffNS8_4plusIfEEEE10hipError_tPvRmT1_T2_T3_mT4_P12ihipStream_tbEUlT_E1_NS1_11comp_targetILNS1_3genE0ELNS1_11target_archE4294967295ELNS1_3gpuE0ELNS1_3repE0EEENS1_30default_config_static_selectorELNS0_4arch9wavefront6targetE1EEEvSM_, .Lfunc_end27-_ZN7rocprim17ROCPRIM_400000_NS6detail17trampoline_kernelINS0_14default_configENS1_22reduce_config_selectorIfEEZNS1_11reduce_implILb1ES3_N6thrust23THRUST_200600_302600_NS11hip_rocprim26transform_input_iterator_tIfNS8_17counting_iteratorIiNS8_11use_defaultESC_SC_EE11estimate_piEEPffNS8_4plusIfEEEE10hipError_tPvRmT1_T2_T3_mT4_P12ihipStream_tbEUlT_E1_NS1_11comp_targetILNS1_3genE0ELNS1_11target_archE4294967295ELNS1_3gpuE0ELNS1_3repE0EEENS1_30default_config_static_selectorELNS0_4arch9wavefront6targetE1EEEvSM_
                                        ; -- End function
	.section	.AMDGPU.csdata,"",@progbits
; Kernel info:
; codeLenInByte = 0
; NumSgprs: 4
; NumVgprs: 0
; NumAgprs: 0
; TotalNumVgprs: 0
; ScratchSize: 0
; MemoryBound: 0
; FloatMode: 240
; IeeeMode: 1
; LDSByteSize: 0 bytes/workgroup (compile time only)
; SGPRBlocks: 0
; VGPRBlocks: 0
; NumSGPRsForWavesPerEU: 4
; NumVGPRsForWavesPerEU: 1
; AccumOffset: 4
; Occupancy: 8
; WaveLimiterHint : 0
; COMPUTE_PGM_RSRC2:SCRATCH_EN: 0
; COMPUTE_PGM_RSRC2:USER_SGPR: 6
; COMPUTE_PGM_RSRC2:TRAP_HANDLER: 0
; COMPUTE_PGM_RSRC2:TGID_X_EN: 1
; COMPUTE_PGM_RSRC2:TGID_Y_EN: 0
; COMPUTE_PGM_RSRC2:TGID_Z_EN: 0
; COMPUTE_PGM_RSRC2:TIDIG_COMP_CNT: 0
; COMPUTE_PGM_RSRC3_GFX90A:ACCUM_OFFSET: 0
; COMPUTE_PGM_RSRC3_GFX90A:TG_SPLIT: 0
	.section	.text._ZN7rocprim17ROCPRIM_400000_NS6detail17trampoline_kernelINS0_14default_configENS1_22reduce_config_selectorIfEEZNS1_11reduce_implILb1ES3_N6thrust23THRUST_200600_302600_NS11hip_rocprim26transform_input_iterator_tIfNS8_17counting_iteratorIiNS8_11use_defaultESC_SC_EE11estimate_piEEPffNS8_4plusIfEEEE10hipError_tPvRmT1_T2_T3_mT4_P12ihipStream_tbEUlT_E1_NS1_11comp_targetILNS1_3genE5ELNS1_11target_archE942ELNS1_3gpuE9ELNS1_3repE0EEENS1_30default_config_static_selectorELNS0_4arch9wavefront6targetE1EEEvSM_,"axG",@progbits,_ZN7rocprim17ROCPRIM_400000_NS6detail17trampoline_kernelINS0_14default_configENS1_22reduce_config_selectorIfEEZNS1_11reduce_implILb1ES3_N6thrust23THRUST_200600_302600_NS11hip_rocprim26transform_input_iterator_tIfNS8_17counting_iteratorIiNS8_11use_defaultESC_SC_EE11estimate_piEEPffNS8_4plusIfEEEE10hipError_tPvRmT1_T2_T3_mT4_P12ihipStream_tbEUlT_E1_NS1_11comp_targetILNS1_3genE5ELNS1_11target_archE942ELNS1_3gpuE9ELNS1_3repE0EEENS1_30default_config_static_selectorELNS0_4arch9wavefront6targetE1EEEvSM_,comdat
	.protected	_ZN7rocprim17ROCPRIM_400000_NS6detail17trampoline_kernelINS0_14default_configENS1_22reduce_config_selectorIfEEZNS1_11reduce_implILb1ES3_N6thrust23THRUST_200600_302600_NS11hip_rocprim26transform_input_iterator_tIfNS8_17counting_iteratorIiNS8_11use_defaultESC_SC_EE11estimate_piEEPffNS8_4plusIfEEEE10hipError_tPvRmT1_T2_T3_mT4_P12ihipStream_tbEUlT_E1_NS1_11comp_targetILNS1_3genE5ELNS1_11target_archE942ELNS1_3gpuE9ELNS1_3repE0EEENS1_30default_config_static_selectorELNS0_4arch9wavefront6targetE1EEEvSM_ ; -- Begin function _ZN7rocprim17ROCPRIM_400000_NS6detail17trampoline_kernelINS0_14default_configENS1_22reduce_config_selectorIfEEZNS1_11reduce_implILb1ES3_N6thrust23THRUST_200600_302600_NS11hip_rocprim26transform_input_iterator_tIfNS8_17counting_iteratorIiNS8_11use_defaultESC_SC_EE11estimate_piEEPffNS8_4plusIfEEEE10hipError_tPvRmT1_T2_T3_mT4_P12ihipStream_tbEUlT_E1_NS1_11comp_targetILNS1_3genE5ELNS1_11target_archE942ELNS1_3gpuE9ELNS1_3repE0EEENS1_30default_config_static_selectorELNS0_4arch9wavefront6targetE1EEEvSM_
	.globl	_ZN7rocprim17ROCPRIM_400000_NS6detail17trampoline_kernelINS0_14default_configENS1_22reduce_config_selectorIfEEZNS1_11reduce_implILb1ES3_N6thrust23THRUST_200600_302600_NS11hip_rocprim26transform_input_iterator_tIfNS8_17counting_iteratorIiNS8_11use_defaultESC_SC_EE11estimate_piEEPffNS8_4plusIfEEEE10hipError_tPvRmT1_T2_T3_mT4_P12ihipStream_tbEUlT_E1_NS1_11comp_targetILNS1_3genE5ELNS1_11target_archE942ELNS1_3gpuE9ELNS1_3repE0EEENS1_30default_config_static_selectorELNS0_4arch9wavefront6targetE1EEEvSM_
	.p2align	8
	.type	_ZN7rocprim17ROCPRIM_400000_NS6detail17trampoline_kernelINS0_14default_configENS1_22reduce_config_selectorIfEEZNS1_11reduce_implILb1ES3_N6thrust23THRUST_200600_302600_NS11hip_rocprim26transform_input_iterator_tIfNS8_17counting_iteratorIiNS8_11use_defaultESC_SC_EE11estimate_piEEPffNS8_4plusIfEEEE10hipError_tPvRmT1_T2_T3_mT4_P12ihipStream_tbEUlT_E1_NS1_11comp_targetILNS1_3genE5ELNS1_11target_archE942ELNS1_3gpuE9ELNS1_3repE0EEENS1_30default_config_static_selectorELNS0_4arch9wavefront6targetE1EEEvSM_,@function
_ZN7rocprim17ROCPRIM_400000_NS6detail17trampoline_kernelINS0_14default_configENS1_22reduce_config_selectorIfEEZNS1_11reduce_implILb1ES3_N6thrust23THRUST_200600_302600_NS11hip_rocprim26transform_input_iterator_tIfNS8_17counting_iteratorIiNS8_11use_defaultESC_SC_EE11estimate_piEEPffNS8_4plusIfEEEE10hipError_tPvRmT1_T2_T3_mT4_P12ihipStream_tbEUlT_E1_NS1_11comp_targetILNS1_3genE5ELNS1_11target_archE942ELNS1_3gpuE9ELNS1_3repE0EEENS1_30default_config_static_selectorELNS0_4arch9wavefront6targetE1EEEvSM_: ; @_ZN7rocprim17ROCPRIM_400000_NS6detail17trampoline_kernelINS0_14default_configENS1_22reduce_config_selectorIfEEZNS1_11reduce_implILb1ES3_N6thrust23THRUST_200600_302600_NS11hip_rocprim26transform_input_iterator_tIfNS8_17counting_iteratorIiNS8_11use_defaultESC_SC_EE11estimate_piEEPffNS8_4plusIfEEEE10hipError_tPvRmT1_T2_T3_mT4_P12ihipStream_tbEUlT_E1_NS1_11comp_targetILNS1_3genE5ELNS1_11target_archE942ELNS1_3gpuE9ELNS1_3repE0EEENS1_30default_config_static_selectorELNS0_4arch9wavefront6targetE1EEEvSM_
; %bb.0:
	.section	.rodata,"a",@progbits
	.p2align	6, 0x0
	.amdhsa_kernel _ZN7rocprim17ROCPRIM_400000_NS6detail17trampoline_kernelINS0_14default_configENS1_22reduce_config_selectorIfEEZNS1_11reduce_implILb1ES3_N6thrust23THRUST_200600_302600_NS11hip_rocprim26transform_input_iterator_tIfNS8_17counting_iteratorIiNS8_11use_defaultESC_SC_EE11estimate_piEEPffNS8_4plusIfEEEE10hipError_tPvRmT1_T2_T3_mT4_P12ihipStream_tbEUlT_E1_NS1_11comp_targetILNS1_3genE5ELNS1_11target_archE942ELNS1_3gpuE9ELNS1_3repE0EEENS1_30default_config_static_selectorELNS0_4arch9wavefront6targetE1EEEvSM_
		.amdhsa_group_segment_fixed_size 0
		.amdhsa_private_segment_fixed_size 0
		.amdhsa_kernarg_size 40
		.amdhsa_user_sgpr_count 6
		.amdhsa_user_sgpr_private_segment_buffer 1
		.amdhsa_user_sgpr_dispatch_ptr 0
		.amdhsa_user_sgpr_queue_ptr 0
		.amdhsa_user_sgpr_kernarg_segment_ptr 1
		.amdhsa_user_sgpr_dispatch_id 0
		.amdhsa_user_sgpr_flat_scratch_init 0
		.amdhsa_user_sgpr_kernarg_preload_length 0
		.amdhsa_user_sgpr_kernarg_preload_offset 0
		.amdhsa_user_sgpr_private_segment_size 0
		.amdhsa_uses_dynamic_stack 0
		.amdhsa_system_sgpr_private_segment_wavefront_offset 0
		.amdhsa_system_sgpr_workgroup_id_x 1
		.amdhsa_system_sgpr_workgroup_id_y 0
		.amdhsa_system_sgpr_workgroup_id_z 0
		.amdhsa_system_sgpr_workgroup_info 0
		.amdhsa_system_vgpr_workitem_id 0
		.amdhsa_next_free_vgpr 1
		.amdhsa_next_free_sgpr 0
		.amdhsa_accum_offset 4
		.amdhsa_reserve_vcc 0
		.amdhsa_reserve_flat_scratch 0
		.amdhsa_float_round_mode_32 0
		.amdhsa_float_round_mode_16_64 0
		.amdhsa_float_denorm_mode_32 3
		.amdhsa_float_denorm_mode_16_64 3
		.amdhsa_dx10_clamp 1
		.amdhsa_ieee_mode 1
		.amdhsa_fp16_overflow 0
		.amdhsa_tg_split 0
		.amdhsa_exception_fp_ieee_invalid_op 0
		.amdhsa_exception_fp_denorm_src 0
		.amdhsa_exception_fp_ieee_div_zero 0
		.amdhsa_exception_fp_ieee_overflow 0
		.amdhsa_exception_fp_ieee_underflow 0
		.amdhsa_exception_fp_ieee_inexact 0
		.amdhsa_exception_int_div_zero 0
	.end_amdhsa_kernel
	.section	.text._ZN7rocprim17ROCPRIM_400000_NS6detail17trampoline_kernelINS0_14default_configENS1_22reduce_config_selectorIfEEZNS1_11reduce_implILb1ES3_N6thrust23THRUST_200600_302600_NS11hip_rocprim26transform_input_iterator_tIfNS8_17counting_iteratorIiNS8_11use_defaultESC_SC_EE11estimate_piEEPffNS8_4plusIfEEEE10hipError_tPvRmT1_T2_T3_mT4_P12ihipStream_tbEUlT_E1_NS1_11comp_targetILNS1_3genE5ELNS1_11target_archE942ELNS1_3gpuE9ELNS1_3repE0EEENS1_30default_config_static_selectorELNS0_4arch9wavefront6targetE1EEEvSM_,"axG",@progbits,_ZN7rocprim17ROCPRIM_400000_NS6detail17trampoline_kernelINS0_14default_configENS1_22reduce_config_selectorIfEEZNS1_11reduce_implILb1ES3_N6thrust23THRUST_200600_302600_NS11hip_rocprim26transform_input_iterator_tIfNS8_17counting_iteratorIiNS8_11use_defaultESC_SC_EE11estimate_piEEPffNS8_4plusIfEEEE10hipError_tPvRmT1_T2_T3_mT4_P12ihipStream_tbEUlT_E1_NS1_11comp_targetILNS1_3genE5ELNS1_11target_archE942ELNS1_3gpuE9ELNS1_3repE0EEENS1_30default_config_static_selectorELNS0_4arch9wavefront6targetE1EEEvSM_,comdat
.Lfunc_end28:
	.size	_ZN7rocprim17ROCPRIM_400000_NS6detail17trampoline_kernelINS0_14default_configENS1_22reduce_config_selectorIfEEZNS1_11reduce_implILb1ES3_N6thrust23THRUST_200600_302600_NS11hip_rocprim26transform_input_iterator_tIfNS8_17counting_iteratorIiNS8_11use_defaultESC_SC_EE11estimate_piEEPffNS8_4plusIfEEEE10hipError_tPvRmT1_T2_T3_mT4_P12ihipStream_tbEUlT_E1_NS1_11comp_targetILNS1_3genE5ELNS1_11target_archE942ELNS1_3gpuE9ELNS1_3repE0EEENS1_30default_config_static_selectorELNS0_4arch9wavefront6targetE1EEEvSM_, .Lfunc_end28-_ZN7rocprim17ROCPRIM_400000_NS6detail17trampoline_kernelINS0_14default_configENS1_22reduce_config_selectorIfEEZNS1_11reduce_implILb1ES3_N6thrust23THRUST_200600_302600_NS11hip_rocprim26transform_input_iterator_tIfNS8_17counting_iteratorIiNS8_11use_defaultESC_SC_EE11estimate_piEEPffNS8_4plusIfEEEE10hipError_tPvRmT1_T2_T3_mT4_P12ihipStream_tbEUlT_E1_NS1_11comp_targetILNS1_3genE5ELNS1_11target_archE942ELNS1_3gpuE9ELNS1_3repE0EEENS1_30default_config_static_selectorELNS0_4arch9wavefront6targetE1EEEvSM_
                                        ; -- End function
	.section	.AMDGPU.csdata,"",@progbits
; Kernel info:
; codeLenInByte = 0
; NumSgprs: 4
; NumVgprs: 0
; NumAgprs: 0
; TotalNumVgprs: 0
; ScratchSize: 0
; MemoryBound: 0
; FloatMode: 240
; IeeeMode: 1
; LDSByteSize: 0 bytes/workgroup (compile time only)
; SGPRBlocks: 0
; VGPRBlocks: 0
; NumSGPRsForWavesPerEU: 4
; NumVGPRsForWavesPerEU: 1
; AccumOffset: 4
; Occupancy: 8
; WaveLimiterHint : 0
; COMPUTE_PGM_RSRC2:SCRATCH_EN: 0
; COMPUTE_PGM_RSRC2:USER_SGPR: 6
; COMPUTE_PGM_RSRC2:TRAP_HANDLER: 0
; COMPUTE_PGM_RSRC2:TGID_X_EN: 1
; COMPUTE_PGM_RSRC2:TGID_Y_EN: 0
; COMPUTE_PGM_RSRC2:TGID_Z_EN: 0
; COMPUTE_PGM_RSRC2:TIDIG_COMP_CNT: 0
; COMPUTE_PGM_RSRC3_GFX90A:ACCUM_OFFSET: 0
; COMPUTE_PGM_RSRC3_GFX90A:TG_SPLIT: 0
	.text
	.p2align	2                               ; -- Begin function _ZN7rocprim17ROCPRIM_400000_NS6detail18constexpr_for_implIZZNS1_11reduce_implILb1ENS0_14default_configEN6thrust23THRUST_200600_302600_NS11hip_rocprim26transform_input_iterator_tIfNS6_17counting_iteratorIiNS6_11use_defaultESA_SA_EE11estimate_piEEPffNS6_4plusIfEEEE10hipError_tPvRmT1_T2_T3_mT4_P12ihipStream_tbENUlT_E1_clINS1_13target_configIS4_NS1_22reduce_config_selectorIfEENS1_11comp_targetILNS1_3genE4ELNS1_11target_archE910ELNS1_3gpuE8ELNS1_3repE0EEELNS0_4arch9wavefront6targetE1EEEEEDaSQ_EUlSQ_E_TnDaLi0ETnDaLi1EJLm0ELm1ELm2ELm3ELm4ELm5EEEEvOSQ_St16integer_sequenceImJXspT2_EEE
	.type	_ZN7rocprim17ROCPRIM_400000_NS6detail18constexpr_for_implIZZNS1_11reduce_implILb1ENS0_14default_configEN6thrust23THRUST_200600_302600_NS11hip_rocprim26transform_input_iterator_tIfNS6_17counting_iteratorIiNS6_11use_defaultESA_SA_EE11estimate_piEEPffNS6_4plusIfEEEE10hipError_tPvRmT1_T2_T3_mT4_P12ihipStream_tbENUlT_E1_clINS1_13target_configIS4_NS1_22reduce_config_selectorIfEENS1_11comp_targetILNS1_3genE4ELNS1_11target_archE910ELNS1_3gpuE8ELNS1_3repE0EEELNS0_4arch9wavefront6targetE1EEEEEDaSQ_EUlSQ_E_TnDaLi0ETnDaLi1EJLm0ELm1ELm2ELm3ELm4ELm5EEEEvOSQ_St16integer_sequenceImJXspT2_EEE,@function
_ZN7rocprim17ROCPRIM_400000_NS6detail18constexpr_for_implIZZNS1_11reduce_implILb1ENS0_14default_configEN6thrust23THRUST_200600_302600_NS11hip_rocprim26transform_input_iterator_tIfNS6_17counting_iteratorIiNS6_11use_defaultESA_SA_EE11estimate_piEEPffNS6_4plusIfEEEE10hipError_tPvRmT1_T2_T3_mT4_P12ihipStream_tbENUlT_E1_clINS1_13target_configIS4_NS1_22reduce_config_selectorIfEENS1_11comp_targetILNS1_3genE4ELNS1_11target_archE910ELNS1_3gpuE8ELNS1_3repE0EEELNS0_4arch9wavefront6targetE1EEEEEDaSQ_EUlSQ_E_TnDaLi0ETnDaLi1EJLm0ELm1ELm2ELm3ELm4ELm5EEEEvOSQ_St16integer_sequenceImJXspT2_EEE: ; @_ZN7rocprim17ROCPRIM_400000_NS6detail18constexpr_for_implIZZNS1_11reduce_implILb1ENS0_14default_configEN6thrust23THRUST_200600_302600_NS11hip_rocprim26transform_input_iterator_tIfNS6_17counting_iteratorIiNS6_11use_defaultESA_SA_EE11estimate_piEEPffNS6_4plusIfEEEE10hipError_tPvRmT1_T2_T3_mT4_P12ihipStream_tbENUlT_E1_clINS1_13target_configIS4_NS1_22reduce_config_selectorIfEENS1_11comp_targetILNS1_3genE4ELNS1_11target_archE910ELNS1_3gpuE8ELNS1_3repE0EEELNS0_4arch9wavefront6targetE1EEEEEDaSQ_EUlSQ_E_TnDaLi0ETnDaLi1EJLm0ELm1ELm2ELm3ELm4ELm5EEEEvOSQ_St16integer_sequenceImJXspT2_EEE
; %bb.0:
	s_waitcnt vmcnt(0) expcnt(0) lgkmcnt(0)
	s_or_saveexec_b64 s[4:5], -1
	buffer_store_dword v40, off, s[0:3], s32 ; 4-byte Folded Spill
	s_mov_b64 exec, s[4:5]
	v_writelane_b32 v40, s30, 0
	v_writelane_b32 v40, s31, 1
	flat_load_dwordx2 v[2:3], v[0:1]
	s_waitcnt vmcnt(0) lgkmcnt(0)
	flat_load_dword v2, v[2:3]
	s_waitcnt vmcnt(0) lgkmcnt(0)
	v_cmp_eq_u32_e32 vcc, 1, v2
	s_and_saveexec_b64 s[6:7], vcc
	s_cbranch_execz .LBB29_5
; %bb.1:
	flat_load_dwordx4 v[12:15], v[0:1] offset:8
	flat_load_dwordx4 v[16:19], v[0:1] offset:24
	s_mov_b32 s13, 0
	v_and_b32_e32 v11, 0x3ff, v31
	s_lshl_b32 s20, s12, 7
	s_waitcnt vmcnt(0) lgkmcnt(0)
	flat_load_dword v6, v[12:13]
	flat_load_dwordx2 v[2:3], v[14:15]
	flat_load_dwordx2 v[4:5], v[16:17]
	flat_load_dword v10, v[18:19]
	s_waitcnt vmcnt(0) lgkmcnt(0)
	v_lshrrev_b64 v[8:9], 7, v[2:3]
	v_cmp_ne_u64_e32 vcc, s[12:13], v[8:9]
                                        ; implicit-def: $vgpr8
	s_and_saveexec_b64 s[4:5], vcc
	s_xor_b64 s[8:9], exec, s[4:5]
	s_cbranch_execnz .LBB29_31
; %bb.2:
	s_andn2_saveexec_b64 s[8:9], s[8:9]
	s_cbranch_execnz .LBB29_69
.LBB29_3:
	s_or_b64 exec, exec, s[8:9]
	v_cmp_eq_u32_e32 vcc, 0, v11
	s_and_b64 exec, exec, vcc
	s_cbranch_execz .LBB29_5
.LBB29_4:
	v_add_f32_e32 v6, v10, v8
	v_cmp_eq_u64_e32 vcc, 0, v[2:3]
	s_lshl_b64 s[4:5], s[12:13], 2
	v_cndmask_b32_e32 v6, v6, v10, vcc
	v_mov_b32_e32 v3, s5
	v_add_co_u32_e32 v2, vcc, s4, v4
	v_addc_co_u32_e32 v3, vcc, v5, v3, vcc
	flat_store_dword v[2:3], v6
.LBB29_5:
	s_or_b64 exec, exec, s[6:7]
	flat_load_dwordx2 v[2:3], v[0:1]
	s_waitcnt vmcnt(0) lgkmcnt(0)
	flat_load_dword v2, v[2:3]
	s_waitcnt vmcnt(0) lgkmcnt(0)
	v_cmp_eq_u32_e32 vcc, 2, v2
	s_and_saveexec_b64 s[8:9], vcc
	s_cbranch_execz .LBB29_10
; %bb.6:
	flat_load_dwordx4 v[6:9], v[0:1] offset:8
	flat_load_dwordx4 v[14:17], v[0:1] offset:24
	s_lshl_b32 s20, s12, 8
	s_mov_b32 s13, 0
	v_and_b32_e32 v13, 0x3ff, v31
	s_waitcnt vmcnt(0) lgkmcnt(0)
	flat_load_dwordx2 v[2:3], v[8:9]
	flat_load_dword v10, v[6:7]
	flat_load_dwordx2 v[4:5], v[14:15]
	flat_load_dword v12, v[16:17]
                                        ; implicit-def: $vgpr8
	s_waitcnt vmcnt(0) lgkmcnt(0)
	v_lshrrev_b64 v[6:7], 8, v[2:3]
	v_cmp_ne_u64_e32 vcc, s[12:13], v[6:7]
	v_add_u32_e32 v10, s20, v10
	s_and_saveexec_b64 s[4:5], vcc
	s_xor_b64 s[6:7], exec, s[4:5]
	s_cbranch_execnz .LBB29_36
; %bb.7:
	s_andn2_saveexec_b64 s[10:11], s[6:7]
	s_cbranch_execnz .LBB29_123
.LBB29_8:
	s_or_b64 exec, exec, s[10:11]
	v_cmp_eq_u32_e32 vcc, 0, v13
	s_and_b64 exec, exec, vcc
	s_cbranch_execz .LBB29_10
.LBB29_9:
	v_add_f32_e32 v6, v12, v8
	v_cmp_eq_u64_e32 vcc, 0, v[2:3]
	s_lshl_b64 s[4:5], s[12:13], 2
	v_cndmask_b32_e32 v6, v6, v12, vcc
	v_mov_b32_e32 v3, s5
	v_add_co_u32_e32 v2, vcc, s4, v4
	v_addc_co_u32_e32 v3, vcc, v5, v3, vcc
	flat_store_dword v[2:3], v6
.LBB29_10:
	s_or_b64 exec, exec, s[8:9]
	flat_load_dwordx2 v[2:3], v[0:1]
	s_waitcnt vmcnt(0) lgkmcnt(0)
	flat_load_dword v2, v[2:3]
	s_waitcnt vmcnt(0) lgkmcnt(0)
	v_cmp_eq_u32_e32 vcc, 4, v2
	s_and_saveexec_b64 s[14:15], vcc
	s_cbranch_execz .LBB29_15
; %bb.11:
	flat_load_dwordx4 v[2:5], v[0:1] offset:8
	flat_load_dwordx4 v[10:13], v[0:1] offset:24
	s_lshl_b32 s20, s12, 9
	s_mov_b32 s13, 0
	v_and_b32_e32 v15, 0x3ff, v31
	s_waitcnt vmcnt(0) lgkmcnt(0)
	flat_load_dwordx2 v[6:7], v[4:5]
	flat_load_dword v16, v[2:3]
	flat_load_dwordx2 v[8:9], v[10:11]
	flat_load_dword v14, v[12:13]
                                        ; implicit-def: $vgpr4
	s_waitcnt vmcnt(0) lgkmcnt(0)
	v_lshrrev_b64 v[2:3], 9, v[6:7]
	v_cmp_ne_u64_e32 vcc, s[12:13], v[2:3]
	v_add_u32_e32 v17, s20, v16
	s_and_saveexec_b64 s[4:5], vcc
	s_xor_b64 s[6:7], exec, s[4:5]
	s_cbranch_execnz .LBB29_41
; %bb.12:
	s_andn2_saveexec_b64 s[16:17], s[6:7]
	s_cbranch_execnz .LBB29_201
.LBB29_13:
	s_or_b64 exec, exec, s[16:17]
	v_cmp_eq_u32_e32 vcc, 0, v15
	s_and_b64 exec, exec, vcc
	s_cbranch_execz .LBB29_15
.LBB29_14:
	v_add_f32_e32 v2, v14, v4
	v_cmp_eq_u64_e32 vcc, 0, v[6:7]
	s_lshl_b64 s[4:5], s[12:13], 2
	v_cndmask_b32_e32 v4, v2, v14, vcc
	v_mov_b32_e32 v3, s5
	v_add_co_u32_e32 v2, vcc, s4, v8
	v_addc_co_u32_e32 v3, vcc, v9, v3, vcc
	flat_store_dword v[2:3], v4
.LBB29_15:
	s_or_b64 exec, exec, s[14:15]
	flat_load_dwordx2 v[2:3], v[0:1]
	s_waitcnt vmcnt(0) lgkmcnt(0)
	flat_load_dword v2, v[2:3]
	s_waitcnt vmcnt(0) lgkmcnt(0)
	v_cmp_eq_u32_e32 vcc, 8, v2
	s_and_saveexec_b64 s[22:23], vcc
	s_cbranch_execz .LBB29_20
; %bb.16:
	flat_load_dwordx4 v[2:5], v[0:1] offset:8
	flat_load_dwordx4 v[6:9], v[0:1] offset:24
	s_lshl_b32 s18, s12, 10
	s_mov_b32 s13, 0
	v_and_b32_e32 v19, 0x3ff, v31
	s_waitcnt vmcnt(0) lgkmcnt(0)
	flat_load_dwordx2 v[10:11], v[4:5]
	flat_load_dword v14, v[2:3]
	flat_load_dwordx2 v[12:13], v[6:7]
	flat_load_dword v18, v[8:9]
                                        ; implicit-def: $vgpr4
	s_waitcnt vmcnt(0) lgkmcnt(0)
	v_lshrrev_b64 v[2:3], 10, v[10:11]
	v_cmp_ne_u64_e32 vcc, s[12:13], v[2:3]
	v_add_u32_e32 v21, s18, v14
	s_and_saveexec_b64 s[4:5], vcc
	s_xor_b64 s[6:7], exec, s[4:5]
	s_cbranch_execnz .LBB29_46
; %bb.17:
	s_andn2_saveexec_b64 s[24:25], s[6:7]
	s_cbranch_execnz .LBB29_311
.LBB29_18:
	s_or_b64 exec, exec, s[24:25]
	v_cmp_eq_u32_e32 vcc, 0, v19
	s_and_b64 exec, exec, vcc
	s_cbranch_execz .LBB29_20
.LBB29_19:
	v_add_f32_e32 v2, v18, v4
	v_cmp_eq_u64_e32 vcc, 0, v[10:11]
	s_lshl_b64 s[4:5], s[12:13], 2
	v_cndmask_b32_e32 v4, v2, v18, vcc
	v_mov_b32_e32 v3, s5
	v_add_co_u32_e32 v2, vcc, s4, v12
	v_addc_co_u32_e32 v3, vcc, v13, v3, vcc
	flat_store_dword v[2:3], v4
.LBB29_20:
	s_or_b64 exec, exec, s[22:23]
	flat_load_dwordx2 v[2:3], v[0:1]
	s_waitcnt vmcnt(0) lgkmcnt(0)
	flat_load_dword v2, v[2:3]
	s_waitcnt vmcnt(0) lgkmcnt(0)
	v_cmp_eq_u32_e32 vcc, 16, v2
	s_and_saveexec_b64 s[40:41], vcc
	s_cbranch_execz .LBB29_25
; %bb.21:
	flat_load_dwordx4 v[2:5], v[0:1] offset:8
	flat_load_dwordx4 v[6:9], v[0:1] offset:24
	s_lshl_b32 s18, s12, 11
	s_mov_b32 s13, 0
	v_and_b32_e32 v27, 0x3ff, v31
	s_waitcnt vmcnt(0) lgkmcnt(0)
	flat_load_dwordx2 v[18:19], v[4:5]
	flat_load_dword v10, v[2:3]
	flat_load_dwordx2 v[20:21], v[6:7]
	flat_load_dword v26, v[8:9]
                                        ; implicit-def: $vgpr4
	s_waitcnt vmcnt(0) lgkmcnt(0)
	v_lshrrev_b64 v[2:3], 11, v[18:19]
	v_cmp_ne_u64_e32 vcc, s[12:13], v[2:3]
	v_add_u32_e32 v29, s18, v10
	s_and_saveexec_b64 s[4:5], vcc
	s_xor_b64 s[6:7], exec, s[4:5]
	s_cbranch_execnz .LBB29_51
; %bb.22:
	s_andn2_saveexec_b64 s[42:43], s[6:7]
	s_cbranch_execnz .LBB29_453
.LBB29_23:
	s_or_b64 exec, exec, s[42:43]
	v_cmp_eq_u32_e32 vcc, 0, v27
	s_and_b64 exec, exec, vcc
	s_cbranch_execz .LBB29_25
.LBB29_24:
	v_add_f32_e32 v2, v26, v4
	v_cmp_eq_u64_e32 vcc, 0, v[18:19]
	s_lshl_b64 s[4:5], s[12:13], 2
	v_cndmask_b32_e32 v4, v2, v26, vcc
	v_mov_b32_e32 v3, s5
	v_add_co_u32_e32 v2, vcc, s4, v20
	v_addc_co_u32_e32 v3, vcc, v21, v3, vcc
	flat_store_dword v[2:3], v4
.LBB29_25:
	s_or_b64 exec, exec, s[40:41]
	flat_load_dwordx2 v[2:3], v[0:1]
	s_waitcnt vmcnt(0) lgkmcnt(0)
	flat_load_dword v2, v[2:3]
	s_waitcnt vmcnt(0) lgkmcnt(0)
	v_cmp_eq_u32_e32 vcc, 32, v2
	s_and_saveexec_b64 s[72:73], vcc
	s_cbranch_execz .LBB29_30
; %bb.26:
	flat_load_dwordx4 v[4:7], v[0:1] offset:8
	flat_load_dwordx4 v[12:15], v[0:1] offset:24
	s_lshl_b32 s18, s12, 12
	s_mov_b32 s13, 0
	v_and_b32_e32 v11, 0x3ff, v31
	s_waitcnt vmcnt(0) lgkmcnt(0)
	flat_load_dwordx2 v[0:1], v[6:7]
	flat_load_dword v8, v[4:5]
	flat_load_dwordx2 v[2:3], v[12:13]
	flat_load_dword v10, v[14:15]
                                        ; implicit-def: $vgpr6
	s_waitcnt vmcnt(0) lgkmcnt(0)
	v_lshrrev_b64 v[4:5], 12, v[0:1]
	v_cmp_ne_u64_e32 vcc, s[12:13], v[4:5]
	v_add_u32_e32 v9, s18, v8
	s_and_saveexec_b64 s[4:5], vcc
	s_xor_b64 s[6:7], exec, s[4:5]
	s_cbranch_execnz .LBB29_56
; %bb.27:
	s_andn2_saveexec_b64 s[74:75], s[6:7]
	s_cbranch_execnz .LBB29_595
.LBB29_28:
	s_or_b64 exec, exec, s[74:75]
	v_cmp_eq_u32_e32 vcc, 0, v11
	s_and_b64 exec, exec, vcc
	s_cbranch_execz .LBB29_30
.LBB29_29:
	v_add_f32_e32 v4, v10, v6
	v_cmp_eq_u64_e32 vcc, 0, v[0:1]
	s_lshl_b64 s[4:5], s[12:13], 2
	v_cndmask_b32_e32 v4, v4, v10, vcc
	v_mov_b32_e32 v1, s5
	v_add_co_u32_e32 v0, vcc, s4, v2
	v_addc_co_u32_e32 v1, vcc, v3, v1, vcc
	flat_store_dword v[0:1], v4
.LBB29_30:
	s_or_b64 exec, exec, s[72:73]
	v_readlane_b32 s30, v40, 0
	v_readlane_b32 s31, v40, 1
	s_or_saveexec_b64 s[4:5], -1
	buffer_load_dword v40, off, s[0:3], s32 ; 4-byte Folded Reload
	s_mov_b64 exec, s[4:5]
	s_waitcnt vmcnt(0) lgkmcnt(0)
	s_setpc_b64 s[30:31]
.LBB29_31:
	v_add3_u32 v6, s20, v11, v6
	s_movk_i32 s4, 0x1388
	v_mul_lo_u32 v6, v6, s4
	v_cmp_ne_u32_e32 vcc, 0, v6
	v_mov_b32_e32 v8, 1
	s_and_saveexec_b64 s[10:11], vcc
	s_cbranch_execz .LBB29_62
; %bb.32:
	v_mov_b32_e32 v8, 1
	v_mov_b32_e32 v7, 0
	s_mov_b64 s[16:17], 0xbc8f
	s_mov_b64 s[14:15], 0
	v_mov_b32_e32 v9, 0
	s_brev_b32 s21, -2
	s_mov_b32 s22, 0x7ffffffe
	v_mov_b32_e32 v12, 0xfffff800
	s_movk_i32 s23, 0x401
	s_branch .LBB29_34
.LBB29_33:                              ;   in Loop: Header=BB29_34 Depth=1
	s_or_b64 exec, exec, s[18:19]
	s_mul_i32 s4, s16, s17
	s_mul_hi_u32 s5, s16, s16
	s_add_i32 s5, s5, s4
	s_add_i32 s4, s5, s4
	s_mul_i32 s5, s16, s16
	s_add_u32 s16, 0x402, s23
	s_addc_u32 s17, 0, 0
	v_add_co_u32_e32 v13, vcc, s16, v12
	s_cmp_lg_u64 vcc, 0
	v_readfirstlane_b32 s18, v13
	s_addc_u32 s16, s17, 1
	s_mul_hi_u32 s19, s18, 0x80000001
	s_mul_i32 s17, s16, 0x80000001
	s_sub_i32 s19, s19, s18
	s_add_i32 s19, s19, s17
	s_mul_i32 s25, s18, 0x80000001
	s_mul_hi_u32 s17, s18, s19
	s_mul_i32 s24, s18, s19
	s_mul_hi_u32 s18, s18, s25
	s_add_u32 s18, s18, s24
	s_addc_u32 s17, 0, s17
	s_mul_hi_u32 s26, s16, s25
	s_mul_i32 s25, s16, s25
	s_add_u32 s18, s18, s25
	s_mul_hi_u32 s24, s16, s19
	s_addc_u32 s17, s17, s26
	s_addc_u32 s18, s24, 0
	s_mul_i32 s19, s16, s19
	s_add_u32 s17, s17, s19
	s_addc_u32 s18, 0, s18
	v_add_co_u32_e32 v13, vcc, s17, v13
	s_cmp_lg_u64 vcc, 0
	s_addc_u32 s16, s16, s18
	v_readfirstlane_b32 s19, v13
	s_mul_i32 s18, s5, s16
	s_mul_hi_u32 s24, s5, s19
	s_mul_hi_u32 s17, s5, s16
	s_add_u32 s18, s24, s18
	s_addc_u32 s17, 0, s17
	s_mul_hi_u32 s25, s4, s19
	s_mul_i32 s19, s4, s19
	s_add_u32 s18, s18, s19
	s_mul_hi_u32 s24, s4, s16
	s_addc_u32 s17, s17, s25
	s_addc_u32 s18, s24, 0
	s_mul_i32 s16, s4, s16
	s_add_u32 s16, s17, s16
	s_addc_u32 s17, 0, s18
	s_mul_hi_u32 s18, s16, 0x7fffffff
	s_mul_i32 s16, s16, 0x7fffffff
	s_mul_i32 s17, s17, 0x7fffffff
	v_mov_b32_e32 v13, s16
	s_add_i32 s18, s18, s17
	v_sub_co_u32_e32 v13, vcc, s5, v13
	s_cmp_lg_u64 vcc, 0
	s_subb_u32 s4, s4, s18
	v_subrev_co_u32_e32 v16, vcc, s21, v13
	s_cmp_lg_u64 vcc, 0
	s_subb_u32 s5, s4, 0
	v_subrev_co_u32_e32 v17, vcc, s21, v16
	s_cmp_lg_u64 vcc, 0
	s_subb_u32 s16, s5, 0
	v_readfirstlane_b32 s17, v16
	s_cmp_gt_u32 s17, 0x7ffffffe
	s_cselect_b32 s18, -1, 0
	s_cmp_eq_u32 s5, 0
	s_cselect_b32 s18, s18, -1
	s_cmp_lg_u32 s18, 0
	s_cselect_b32 s5, s16, s5
	v_readfirstlane_b32 s16, v17
	v_readfirstlane_b32 s18, v13
	s_cselect_b32 s16, s16, s17
	s_cmp_gt_u32 s18, 0x7ffffffe
	s_cselect_b32 s17, -1, 0
	s_cmp_eq_u32 s4, 0
	s_cselect_b32 s17, s17, -1
	v_lshrrev_b64 v[14:15], 1, v[6:7]
	s_cmp_lg_u32 s17, 0
	v_cmp_gt_u64_e32 vcc, 2, v[6:7]
	s_cselect_b32 s17, s5, s4
	s_cselect_b32 s16, s16, s18
	s_or_b64 s[14:15], vcc, s[14:15]
	v_pk_mov_b32 v[6:7], v[14:15], v[14:15] op_sel:[0,1]
	s_andn2_b64 exec, exec, s[14:15]
	s_cbranch_execz .LBB29_61
.LBB29_34:                              ; =>This Inner Loop Header: Depth=1
	v_and_b32_e32 v13, 1, v6
	v_cmp_eq_u32_e32 vcc, 1, v13
	s_and_saveexec_b64 s[18:19], vcc
	s_cbranch_execz .LBB29_33
; %bb.35:                               ;   in Loop: Header=BB29_34 Depth=1
	v_mul_lo_u32 v13, s17, v8
	v_mul_lo_u32 v14, s16, v9
	v_mad_u64_u32 v[8:9], s[4:5], s16, v8, 0
	s_add_u32 s4, 0x402, s23
	v_add3_u32 v9, v9, v14, v13
	s_addc_u32 s5, 0, 0
	v_add_co_u32_e32 v13, vcc, s4, v12
	s_cmp_lg_u64 vcc, 0
	v_readfirstlane_b32 s24, v13
	s_addc_u32 s4, s5, 1
	s_mul_hi_u32 s25, s24, 0x80000001
	s_mul_i32 s5, s4, 0x80000001
	s_sub_i32 s25, s25, s24
	s_add_i32 s25, s25, s5
	s_mul_i32 s27, s24, 0x80000001
	s_mul_hi_u32 s5, s24, s25
	s_mul_i32 s26, s24, s25
	s_mul_hi_u32 s24, s24, s27
	s_add_u32 s24, s24, s26
	s_addc_u32 s5, 0, s5
	s_mul_hi_u32 s28, s4, s27
	s_mul_i32 s27, s4, s27
	s_add_u32 s24, s24, s27
	s_mul_hi_u32 s26, s4, s25
	s_addc_u32 s5, s5, s28
	s_addc_u32 s24, s26, 0
	s_mul_i32 s25, s4, s25
	s_add_u32 s5, s5, s25
	s_addc_u32 s24, 0, s24
	v_add_co_u32_e32 v13, vcc, s5, v13
	s_cmp_lg_u64 vcc, 0
	s_addc_u32 s24, s4, s24
	v_mad_u64_u32 v[14:15], s[4:5], v8, s24, 0
	v_mul_hi_u32 v16, v8, v13
	v_add_co_u32_e32 v18, vcc, v16, v14
	v_addc_co_u32_e32 v19, vcc, 0, v15, vcc
	v_mad_u64_u32 v[16:17], s[4:5], v9, v13, 0
	v_add_co_u32_e32 v13, vcc, v18, v16
	v_mad_u64_u32 v[14:15], s[4:5], v9, s24, 0
	v_addc_co_u32_e32 v13, vcc, v19, v17, vcc
	v_addc_co_u32_e32 v15, vcc, 0, v15, vcc
	v_add_co_u32_e32 v13, vcc, v13, v14
	v_addc_co_u32_e32 v17, vcc, 0, v15, vcc
	v_mad_u64_u32 v[14:15], s[4:5], v13, s21, 0
	v_mov_b32_e32 v16, v15
	v_mad_u64_u32 v[16:17], s[4:5], v17, s21, v[16:17]
	v_sub_co_u32_e32 v8, vcc, v8, v14
	v_subb_co_u32_e32 v9, vcc, v9, v16, vcc
	v_subrev_co_u32_e32 v13, vcc, s21, v8
	v_subbrev_co_u32_e32 v14, vcc, 0, v9, vcc
	v_subrev_co_u32_e32 v15, vcc, s21, v13
	v_subbrev_co_u32_e32 v16, vcc, 0, v14, vcc
	v_cmp_lt_u32_e32 vcc, s22, v13
	v_cndmask_b32_e64 v17, 0, -1, vcc
	v_cmp_eq_u32_e32 vcc, 0, v14
	v_cndmask_b32_e32 v17, -1, v17, vcc
	v_cmp_ne_u32_e32 vcc, 0, v17
	v_cmp_lt_u32_e64 s[4:5], s22, v8
	v_cndmask_b32_e32 v14, v14, v16, vcc
	v_cndmask_b32_e64 v16, 0, -1, s[4:5]
	v_cmp_eq_u32_e64 s[4:5], 0, v9
	v_cndmask_b32_e64 v16, -1, v16, s[4:5]
	v_cmp_ne_u32_e64 s[4:5], 0, v16
	v_cndmask_b32_e32 v13, v13, v15, vcc
	v_cndmask_b32_e64 v9, v9, v14, s[4:5]
	v_cndmask_b32_e64 v8, v8, v13, s[4:5]
	s_branch .LBB29_33
.LBB29_36:
	v_add_u32_e32 v6, v10, v13
	s_movk_i32 s4, 0x1388
	v_mul_lo_u32 v6, v6, s4
	v_cmp_ne_u32_e32 vcc, 0, v6
	v_mov_b32_e32 v8, 1
	s_and_saveexec_b64 s[10:11], vcc
	s_cbranch_execz .LBB29_76
; %bb.37:
	v_mov_b32_e32 v7, 0
	v_mov_b32_e32 v10, 1
	s_mov_b64 s[16:17], 0xbc8f
	s_mov_b64 s[14:15], 0
	v_mov_b32_e32 v11, 0
	s_brev_b32 s21, -2
	s_mov_b32 s22, 0x7ffffffe
	v_mov_b32_e32 v14, 0xfffff800
	s_movk_i32 s23, 0x401
	v_pk_mov_b32 v[8:9], v[6:7], v[6:7] op_sel:[0,1]
	s_branch .LBB29_39
.LBB29_38:                              ;   in Loop: Header=BB29_39 Depth=1
	s_or_b64 exec, exec, s[18:19]
	s_mul_i32 s4, s16, s17
	s_mul_hi_u32 s5, s16, s16
	s_add_i32 s5, s5, s4
	s_add_i32 s4, s5, s4
	s_mul_i32 s5, s16, s16
	s_add_u32 s16, 0x402, s23
	s_addc_u32 s17, 0, 0
	v_add_co_u32_e32 v7, vcc, s16, v14
	s_cmp_lg_u64 vcc, 0
	v_readfirstlane_b32 s18, v7
	s_addc_u32 s16, s17, 1
	s_mul_hi_u32 s19, s18, 0x80000001
	s_mul_i32 s17, s16, 0x80000001
	s_sub_i32 s19, s19, s18
	s_add_i32 s19, s19, s17
	s_mul_i32 s25, s18, 0x80000001
	s_mul_hi_u32 s17, s18, s19
	s_mul_i32 s24, s18, s19
	s_mul_hi_u32 s18, s18, s25
	s_add_u32 s18, s18, s24
	s_addc_u32 s17, 0, s17
	s_mul_hi_u32 s26, s16, s25
	s_mul_i32 s25, s16, s25
	s_add_u32 s18, s18, s25
	s_mul_hi_u32 s24, s16, s19
	s_addc_u32 s17, s17, s26
	s_addc_u32 s18, s24, 0
	s_mul_i32 s19, s16, s19
	s_add_u32 s17, s17, s19
	s_addc_u32 s18, 0, s18
	v_add_co_u32_e32 v7, vcc, s17, v7
	s_cmp_lg_u64 vcc, 0
	s_addc_u32 s16, s16, s18
	v_readfirstlane_b32 s19, v7
	s_mul_i32 s18, s5, s16
	s_mul_hi_u32 s24, s5, s19
	s_mul_hi_u32 s17, s5, s16
	s_add_u32 s18, s24, s18
	s_addc_u32 s17, 0, s17
	s_mul_hi_u32 s25, s4, s19
	s_mul_i32 s19, s4, s19
	s_add_u32 s18, s18, s19
	s_mul_hi_u32 s24, s4, s16
	s_addc_u32 s17, s17, s25
	s_addc_u32 s18, s24, 0
	s_mul_i32 s16, s4, s16
	s_add_u32 s16, s17, s16
	s_addc_u32 s17, 0, s18
	s_mul_hi_u32 s18, s16, 0x7fffffff
	s_mul_i32 s16, s16, 0x7fffffff
	s_mul_i32 s17, s17, 0x7fffffff
	v_mov_b32_e32 v7, s16
	s_add_i32 s18, s18, s17
	v_sub_co_u32_e32 v7, vcc, s5, v7
	s_cmp_lg_u64 vcc, 0
	s_subb_u32 s4, s4, s18
	v_subrev_co_u32_e32 v15, vcc, s21, v7
	s_cmp_lg_u64 vcc, 0
	s_subb_u32 s5, s4, 0
	v_subrev_co_u32_e32 v18, vcc, s21, v15
	s_cmp_lg_u64 vcc, 0
	s_subb_u32 s16, s5, 0
	v_readfirstlane_b32 s17, v15
	s_cmp_gt_u32 s17, 0x7ffffffe
	s_cselect_b32 s18, -1, 0
	s_cmp_eq_u32 s5, 0
	s_cselect_b32 s18, s18, -1
	s_cmp_lg_u32 s18, 0
	s_cselect_b32 s5, s16, s5
	v_readfirstlane_b32 s16, v18
	v_readfirstlane_b32 s18, v7
	s_cselect_b32 s16, s16, s17
	s_cmp_gt_u32 s18, 0x7ffffffe
	s_cselect_b32 s17, -1, 0
	s_cmp_eq_u32 s4, 0
	s_cselect_b32 s17, s17, -1
	v_lshrrev_b64 v[16:17], 1, v[8:9]
	s_cmp_lg_u32 s17, 0
	v_cmp_gt_u64_e32 vcc, 2, v[8:9]
	s_cselect_b32 s17, s5, s4
	s_cselect_b32 s16, s16, s18
	s_or_b64 s[14:15], vcc, s[14:15]
	v_pk_mov_b32 v[8:9], v[16:17], v[16:17] op_sel:[0,1]
	s_andn2_b64 exec, exec, s[14:15]
	s_cbranch_execz .LBB29_75
.LBB29_39:                              ; =>This Inner Loop Header: Depth=1
	v_and_b32_e32 v7, 1, v8
	v_cmp_eq_u32_e32 vcc, 1, v7
	s_and_saveexec_b64 s[18:19], vcc
	s_cbranch_execz .LBB29_38
; %bb.40:                               ;   in Loop: Header=BB29_39 Depth=1
	v_mul_lo_u32 v7, s17, v10
	v_mul_lo_u32 v15, s16, v11
	v_mad_u64_u32 v[10:11], s[4:5], s16, v10, 0
	s_add_u32 s4, 0x402, s23
	v_add3_u32 v7, v11, v15, v7
	s_addc_u32 s5, 0, 0
	v_add_co_u32_e32 v11, vcc, s4, v14
	s_cmp_lg_u64 vcc, 0
	v_readfirstlane_b32 s24, v11
	s_addc_u32 s4, s5, 1
	s_mul_hi_u32 s25, s24, 0x80000001
	s_mul_i32 s5, s4, 0x80000001
	s_sub_i32 s25, s25, s24
	s_add_i32 s25, s25, s5
	s_mul_i32 s27, s24, 0x80000001
	s_mul_hi_u32 s5, s24, s25
	s_mul_i32 s26, s24, s25
	s_mul_hi_u32 s24, s24, s27
	s_add_u32 s24, s24, s26
	s_addc_u32 s5, 0, s5
	s_mul_hi_u32 s28, s4, s27
	s_mul_i32 s27, s4, s27
	s_add_u32 s24, s24, s27
	s_mul_hi_u32 s26, s4, s25
	s_addc_u32 s5, s5, s28
	s_addc_u32 s24, s26, 0
	s_mul_i32 s25, s4, s25
	s_add_u32 s5, s5, s25
	s_addc_u32 s24, 0, s24
	v_add_co_u32_e32 v11, vcc, s5, v11
	s_cmp_lg_u64 vcc, 0
	s_addc_u32 s24, s4, s24
	v_mad_u64_u32 v[16:17], s[4:5], v10, s24, 0
	v_mul_hi_u32 v15, v10, v11
	v_add_co_u32_e32 v15, vcc, v15, v16
	v_addc_co_u32_e32 v20, vcc, 0, v17, vcc
	v_mad_u64_u32 v[18:19], s[4:5], v7, v11, 0
	v_add_co_u32_e32 v11, vcc, v15, v18
	v_mad_u64_u32 v[16:17], s[4:5], v7, s24, 0
	v_addc_co_u32_e32 v11, vcc, v20, v19, vcc
	v_addc_co_u32_e32 v15, vcc, 0, v17, vcc
	v_add_co_u32_e32 v11, vcc, v11, v16
	v_mad_u64_u32 v[16:17], s[4:5], v11, s21, 0
	v_addc_co_u32_e32 v15, vcc, 0, v15, vcc
	v_mov_b32_e32 v18, v17
	v_mad_u64_u32 v[18:19], s[4:5], v15, s21, v[18:19]
	v_sub_co_u32_e32 v10, vcc, v10, v16
	v_subb_co_u32_e32 v7, vcc, v7, v18, vcc
	v_subrev_co_u32_e32 v15, vcc, s21, v10
	v_subbrev_co_u32_e32 v11, vcc, 0, v7, vcc
	v_subrev_co_u32_e32 v16, vcc, s21, v15
	v_subbrev_co_u32_e32 v17, vcc, 0, v11, vcc
	v_cmp_lt_u32_e32 vcc, s22, v15
	v_cndmask_b32_e64 v18, 0, -1, vcc
	v_cmp_eq_u32_e32 vcc, 0, v11
	v_cndmask_b32_e32 v18, -1, v18, vcc
	v_cmp_ne_u32_e32 vcc, 0, v18
	v_cmp_lt_u32_e64 s[4:5], s22, v10
	v_cndmask_b32_e32 v11, v11, v17, vcc
	v_cndmask_b32_e64 v17, 0, -1, s[4:5]
	v_cmp_eq_u32_e64 s[4:5], 0, v7
	v_cndmask_b32_e64 v17, -1, v17, s[4:5]
	v_cmp_ne_u32_e64 s[4:5], 0, v17
	v_cndmask_b32_e64 v11, v7, v11, s[4:5]
	v_cndmask_b32_e32 v7, v15, v16, vcc
	v_cndmask_b32_e64 v10, v10, v7, s[4:5]
	s_branch .LBB29_38
.LBB29_41:
	v_add_u32_e32 v2, v17, v15
	s_movk_i32 s4, 0x1388
	v_mul_lo_u32 v2, v2, s4
	v_cmp_ne_u32_e32 vcc, 0, v2
	v_mov_b32_e32 v4, 1
	s_and_saveexec_b64 s[8:9], vcc
	s_cbranch_execz .LBB29_84
; %bb.42:
	v_mov_b32_e32 v3, 0
	v_mov_b32_e32 v10, 1
	s_mov_b64 s[16:17], 0xbc8f
	s_mov_b64 s[10:11], 0
	v_mov_b32_e32 v11, 0
	s_brev_b32 s21, -2
	s_mov_b32 s22, 0x7ffffffe
	v_mov_b32_e32 v12, 0xfffff800
	s_movk_i32 s23, 0x401
	v_pk_mov_b32 v[4:5], v[2:3], v[2:3] op_sel:[0,1]
	s_branch .LBB29_44
.LBB29_43:                              ;   in Loop: Header=BB29_44 Depth=1
	s_or_b64 exec, exec, s[18:19]
	s_mul_i32 s4, s16, s17
	s_mul_hi_u32 s5, s16, s16
	s_add_i32 s5, s5, s4
	s_add_i32 s4, s5, s4
	s_mul_i32 s5, s16, s16
	s_add_u32 s16, 0x402, s23
	s_addc_u32 s17, 0, 0
	v_add_co_u32_e32 v3, vcc, s16, v12
	s_cmp_lg_u64 vcc, 0
	v_readfirstlane_b32 s18, v3
	s_addc_u32 s16, s17, 1
	s_mul_hi_u32 s19, s18, 0x80000001
	s_mul_i32 s17, s16, 0x80000001
	s_sub_i32 s19, s19, s18
	s_add_i32 s19, s19, s17
	s_mul_i32 s25, s18, 0x80000001
	s_mul_hi_u32 s17, s18, s19
	s_mul_i32 s24, s18, s19
	s_mul_hi_u32 s18, s18, s25
	s_add_u32 s18, s18, s24
	s_addc_u32 s17, 0, s17
	s_mul_hi_u32 s26, s16, s25
	s_mul_i32 s25, s16, s25
	s_add_u32 s18, s18, s25
	s_mul_hi_u32 s24, s16, s19
	s_addc_u32 s17, s17, s26
	s_addc_u32 s18, s24, 0
	s_mul_i32 s19, s16, s19
	s_add_u32 s17, s17, s19
	s_addc_u32 s18, 0, s18
	v_add_co_u32_e32 v3, vcc, s17, v3
	s_cmp_lg_u64 vcc, 0
	s_addc_u32 s16, s16, s18
	v_readfirstlane_b32 s19, v3
	s_mul_i32 s18, s5, s16
	s_mul_hi_u32 s24, s5, s19
	s_mul_hi_u32 s17, s5, s16
	s_add_u32 s18, s24, s18
	s_addc_u32 s17, 0, s17
	s_mul_hi_u32 s25, s4, s19
	s_mul_i32 s19, s4, s19
	s_add_u32 s18, s18, s19
	s_mul_hi_u32 s24, s4, s16
	s_addc_u32 s17, s17, s25
	s_addc_u32 s18, s24, 0
	s_mul_i32 s16, s4, s16
	s_add_u32 s16, s17, s16
	s_addc_u32 s17, 0, s18
	s_mul_hi_u32 s18, s16, 0x7fffffff
	s_mul_i32 s16, s16, 0x7fffffff
	s_mul_i32 s17, s17, 0x7fffffff
	v_mov_b32_e32 v3, s16
	s_add_i32 s18, s18, s17
	v_sub_co_u32_e32 v3, vcc, s5, v3
	s_cmp_lg_u64 vcc, 0
	s_subb_u32 s4, s4, s18
	v_subrev_co_u32_e32 v13, vcc, s21, v3
	s_cmp_lg_u64 vcc, 0
	s_subb_u32 s5, s4, 0
	v_subrev_co_u32_e32 v18, vcc, s21, v13
	s_cmp_lg_u64 vcc, 0
	s_subb_u32 s16, s5, 0
	v_readfirstlane_b32 s17, v13
	s_cmp_gt_u32 s17, 0x7ffffffe
	s_cselect_b32 s18, -1, 0
	s_cmp_eq_u32 s5, 0
	s_cselect_b32 s18, s18, -1
	s_cmp_lg_u32 s18, 0
	s_cselect_b32 s5, s16, s5
	v_readfirstlane_b32 s16, v18
	v_readfirstlane_b32 s18, v3
	s_cselect_b32 s16, s16, s17
	s_cmp_gt_u32 s18, 0x7ffffffe
	s_cselect_b32 s17, -1, 0
	s_cmp_eq_u32 s4, 0
	s_cselect_b32 s17, s17, -1
	v_lshrrev_b64 v[16:17], 1, v[4:5]
	s_cmp_lg_u32 s17, 0
	v_cmp_gt_u64_e32 vcc, 2, v[4:5]
	s_cselect_b32 s17, s5, s4
	s_cselect_b32 s16, s16, s18
	s_or_b64 s[10:11], vcc, s[10:11]
	v_pk_mov_b32 v[4:5], v[16:17], v[16:17] op_sel:[0,1]
	s_andn2_b64 exec, exec, s[10:11]
	s_cbranch_execz .LBB29_83
.LBB29_44:                              ; =>This Inner Loop Header: Depth=1
	v_and_b32_e32 v3, 1, v4
	v_cmp_eq_u32_e32 vcc, 1, v3
	s_and_saveexec_b64 s[18:19], vcc
	s_cbranch_execz .LBB29_43
; %bb.45:                               ;   in Loop: Header=BB29_44 Depth=1
	v_mul_lo_u32 v3, s17, v10
	v_mul_lo_u32 v13, s16, v11
	v_mad_u64_u32 v[10:11], s[4:5], s16, v10, 0
	s_add_u32 s4, 0x402, s23
	v_add3_u32 v3, v11, v13, v3
	s_addc_u32 s5, 0, 0
	v_add_co_u32_e32 v11, vcc, s4, v12
	s_cmp_lg_u64 vcc, 0
	v_readfirstlane_b32 s24, v11
	s_addc_u32 s4, s5, 1
	s_mul_hi_u32 s25, s24, 0x80000001
	s_mul_i32 s5, s4, 0x80000001
	s_sub_i32 s25, s25, s24
	s_add_i32 s25, s25, s5
	s_mul_i32 s27, s24, 0x80000001
	s_mul_hi_u32 s5, s24, s25
	s_mul_i32 s26, s24, s25
	s_mul_hi_u32 s24, s24, s27
	s_add_u32 s24, s24, s26
	s_addc_u32 s5, 0, s5
	s_mul_hi_u32 s28, s4, s27
	s_mul_i32 s27, s4, s27
	s_add_u32 s24, s24, s27
	s_mul_hi_u32 s26, s4, s25
	s_addc_u32 s5, s5, s28
	s_addc_u32 s24, s26, 0
	s_mul_i32 s25, s4, s25
	s_add_u32 s5, s5, s25
	s_addc_u32 s24, 0, s24
	v_add_co_u32_e32 v11, vcc, s5, v11
	s_cmp_lg_u64 vcc, 0
	s_addc_u32 s24, s4, s24
	v_mad_u64_u32 v[16:17], s[4:5], v10, s24, 0
	v_mul_hi_u32 v13, v10, v11
	v_add_co_u32_e32 v13, vcc, v13, v16
	v_addc_co_u32_e32 v20, vcc, 0, v17, vcc
	v_mad_u64_u32 v[18:19], s[4:5], v3, v11, 0
	v_add_co_u32_e32 v11, vcc, v13, v18
	v_mad_u64_u32 v[16:17], s[4:5], v3, s24, 0
	v_addc_co_u32_e32 v11, vcc, v20, v19, vcc
	v_addc_co_u32_e32 v13, vcc, 0, v17, vcc
	v_add_co_u32_e32 v11, vcc, v11, v16
	v_mad_u64_u32 v[16:17], s[4:5], v11, s21, 0
	v_addc_co_u32_e32 v13, vcc, 0, v13, vcc
	v_mov_b32_e32 v18, v17
	v_mad_u64_u32 v[18:19], s[4:5], v13, s21, v[18:19]
	v_sub_co_u32_e32 v10, vcc, v10, v16
	v_subb_co_u32_e32 v3, vcc, v3, v18, vcc
	v_subrev_co_u32_e32 v13, vcc, s21, v10
	v_subbrev_co_u32_e32 v11, vcc, 0, v3, vcc
	v_subrev_co_u32_e32 v16, vcc, s21, v13
	v_subbrev_co_u32_e32 v17, vcc, 0, v11, vcc
	v_cmp_lt_u32_e32 vcc, s22, v13
	v_cndmask_b32_e64 v18, 0, -1, vcc
	v_cmp_eq_u32_e32 vcc, 0, v11
	v_cndmask_b32_e32 v18, -1, v18, vcc
	v_cmp_ne_u32_e32 vcc, 0, v18
	v_cmp_lt_u32_e64 s[4:5], s22, v10
	v_cndmask_b32_e32 v11, v11, v17, vcc
	v_cndmask_b32_e64 v17, 0, -1, s[4:5]
	v_cmp_eq_u32_e64 s[4:5], 0, v3
	v_cndmask_b32_e64 v17, -1, v17, s[4:5]
	v_cmp_ne_u32_e64 s[4:5], 0, v17
	v_cndmask_b32_e64 v11, v3, v11, s[4:5]
	v_cndmask_b32_e32 v3, v13, v16, vcc
	v_cndmask_b32_e64 v10, v10, v3, s[4:5]
	s_branch .LBB29_43
.LBB29_46:
	v_add_u32_e32 v2, v21, v19
	s_movk_i32 s4, 0x1388
	v_mul_lo_u32 v2, v2, s4
	v_cmp_ne_u32_e32 vcc, 0, v2
	v_mov_b32_e32 v4, 1
	s_and_saveexec_b64 s[8:9], vcc
	s_cbranch_execz .LBB29_92
; %bb.47:
	v_mov_b32_e32 v3, 0
	v_mov_b32_e32 v6, 1
	s_mov_b64 s[14:15], 0xbc8f
	s_mov_b64 s[10:11], 0
	v_mov_b32_e32 v7, 0
	s_brev_b32 s19, -2
	s_mov_b32 s20, 0x7ffffffe
	v_mov_b32_e32 v8, 0xfffff800
	s_movk_i32 s21, 0x401
	v_pk_mov_b32 v[4:5], v[2:3], v[2:3] op_sel:[0,1]
	s_branch .LBB29_49
.LBB29_48:                              ;   in Loop: Header=BB29_49 Depth=1
	s_or_b64 exec, exec, s[16:17]
	s_mul_i32 s4, s14, s15
	s_mul_hi_u32 s5, s14, s14
	s_add_i32 s5, s5, s4
	s_add_i32 s4, s5, s4
	s_mul_i32 s5, s14, s14
	s_add_u32 s14, 0x402, s21
	s_addc_u32 s15, 0, 0
	v_add_co_u32_e32 v3, vcc, s14, v8
	s_cmp_lg_u64 vcc, 0
	v_readfirstlane_b32 s16, v3
	s_addc_u32 s14, s15, 1
	s_mul_hi_u32 s17, s16, 0x80000001
	s_mul_i32 s15, s14, 0x80000001
	s_sub_i32 s17, s17, s16
	s_add_i32 s17, s17, s15
	s_mul_i32 s25, s16, 0x80000001
	s_mul_hi_u32 s15, s16, s17
	s_mul_i32 s24, s16, s17
	s_mul_hi_u32 s16, s16, s25
	s_add_u32 s16, s16, s24
	s_addc_u32 s15, 0, s15
	s_mul_hi_u32 s26, s14, s25
	s_mul_i32 s25, s14, s25
	s_add_u32 s16, s16, s25
	s_mul_hi_u32 s24, s14, s17
	s_addc_u32 s15, s15, s26
	s_addc_u32 s16, s24, 0
	s_mul_i32 s17, s14, s17
	s_add_u32 s15, s15, s17
	s_addc_u32 s16, 0, s16
	v_add_co_u32_e32 v3, vcc, s15, v3
	s_cmp_lg_u64 vcc, 0
	s_addc_u32 s14, s14, s16
	v_readfirstlane_b32 s17, v3
	s_mul_i32 s16, s5, s14
	s_mul_hi_u32 s24, s5, s17
	s_mul_hi_u32 s15, s5, s14
	s_add_u32 s16, s24, s16
	s_addc_u32 s15, 0, s15
	s_mul_hi_u32 s25, s4, s17
	s_mul_i32 s17, s4, s17
	s_add_u32 s16, s16, s17
	s_mul_hi_u32 s24, s4, s14
	s_addc_u32 s15, s15, s25
	s_addc_u32 s16, s24, 0
	s_mul_i32 s14, s4, s14
	s_add_u32 s14, s15, s14
	s_addc_u32 s15, 0, s16
	s_mul_hi_u32 s16, s14, 0x7fffffff
	s_mul_i32 s14, s14, 0x7fffffff
	s_mul_i32 s15, s15, 0x7fffffff
	v_mov_b32_e32 v3, s14
	s_add_i32 s16, s16, s15
	v_sub_co_u32_e32 v3, vcc, s5, v3
	s_cmp_lg_u64 vcc, 0
	s_subb_u32 s4, s4, s16
	v_subrev_co_u32_e32 v9, vcc, s19, v3
	s_cmp_lg_u64 vcc, 0
	s_subb_u32 s5, s4, 0
	v_subrev_co_u32_e32 v16, vcc, s19, v9
	s_cmp_lg_u64 vcc, 0
	s_subb_u32 s14, s5, 0
	v_readfirstlane_b32 s15, v9
	s_cmp_gt_u32 s15, 0x7ffffffe
	s_cselect_b32 s16, -1, 0
	s_cmp_eq_u32 s5, 0
	s_cselect_b32 s16, s16, -1
	s_cmp_lg_u32 s16, 0
	s_cselect_b32 s5, s14, s5
	v_readfirstlane_b32 s14, v16
	v_readfirstlane_b32 s16, v3
	s_cselect_b32 s14, s14, s15
	s_cmp_gt_u32 s16, 0x7ffffffe
	s_cselect_b32 s15, -1, 0
	s_cmp_eq_u32 s4, 0
	s_cselect_b32 s15, s15, -1
	v_lshrrev_b64 v[14:15], 1, v[4:5]
	s_cmp_lg_u32 s15, 0
	v_cmp_gt_u64_e32 vcc, 2, v[4:5]
	s_cselect_b32 s15, s5, s4
	s_cselect_b32 s14, s14, s16
	s_or_b64 s[10:11], vcc, s[10:11]
	v_pk_mov_b32 v[4:5], v[14:15], v[14:15] op_sel:[0,1]
	s_andn2_b64 exec, exec, s[10:11]
	s_cbranch_execz .LBB29_91
.LBB29_49:                              ; =>This Inner Loop Header: Depth=1
	v_and_b32_e32 v3, 1, v4
	v_cmp_eq_u32_e32 vcc, 1, v3
	s_and_saveexec_b64 s[16:17], vcc
	s_cbranch_execz .LBB29_48
; %bb.50:                               ;   in Loop: Header=BB29_49 Depth=1
	v_mul_lo_u32 v3, s15, v6
	v_mul_lo_u32 v9, s14, v7
	v_mad_u64_u32 v[6:7], s[4:5], s14, v6, 0
	s_add_u32 s4, 0x402, s21
	v_add3_u32 v3, v7, v9, v3
	s_addc_u32 s5, 0, 0
	v_add_co_u32_e32 v7, vcc, s4, v8
	s_cmp_lg_u64 vcc, 0
	v_readfirstlane_b32 s24, v7
	s_addc_u32 s4, s5, 1
	s_mul_hi_u32 s25, s24, 0x80000001
	s_mul_i32 s5, s4, 0x80000001
	s_sub_i32 s25, s25, s24
	s_add_i32 s25, s25, s5
	s_mul_i32 s27, s24, 0x80000001
	s_mul_hi_u32 s5, s24, s25
	s_mul_i32 s26, s24, s25
	s_mul_hi_u32 s24, s24, s27
	s_add_u32 s24, s24, s26
	s_addc_u32 s5, 0, s5
	s_mul_hi_u32 s28, s4, s27
	s_mul_i32 s27, s4, s27
	s_add_u32 s24, s24, s27
	s_mul_hi_u32 s26, s4, s25
	s_addc_u32 s5, s5, s28
	s_addc_u32 s24, s26, 0
	s_mul_i32 s25, s4, s25
	s_add_u32 s5, s5, s25
	s_addc_u32 s24, 0, s24
	v_add_co_u32_e32 v7, vcc, s5, v7
	s_cmp_lg_u64 vcc, 0
	s_addc_u32 s24, s4, s24
	v_mad_u64_u32 v[14:15], s[4:5], v6, s24, 0
	v_mul_hi_u32 v9, v6, v7
	v_add_co_u32_e32 v9, vcc, v9, v14
	v_addc_co_u32_e32 v20, vcc, 0, v15, vcc
	v_mad_u64_u32 v[16:17], s[4:5], v3, v7, 0
	v_add_co_u32_e32 v7, vcc, v9, v16
	v_mad_u64_u32 v[14:15], s[4:5], v3, s24, 0
	v_addc_co_u32_e32 v7, vcc, v20, v17, vcc
	v_addc_co_u32_e32 v9, vcc, 0, v15, vcc
	v_add_co_u32_e32 v7, vcc, v7, v14
	v_mad_u64_u32 v[14:15], s[4:5], v7, s19, 0
	v_addc_co_u32_e32 v9, vcc, 0, v9, vcc
	v_mov_b32_e32 v16, v15
	v_mad_u64_u32 v[16:17], s[4:5], v9, s19, v[16:17]
	v_sub_co_u32_e32 v6, vcc, v6, v14
	v_subb_co_u32_e32 v3, vcc, v3, v16, vcc
	v_subrev_co_u32_e32 v9, vcc, s19, v6
	v_subbrev_co_u32_e32 v7, vcc, 0, v3, vcc
	v_subrev_co_u32_e32 v14, vcc, s19, v9
	v_subbrev_co_u32_e32 v15, vcc, 0, v7, vcc
	v_cmp_lt_u32_e32 vcc, s20, v9
	v_cndmask_b32_e64 v16, 0, -1, vcc
	v_cmp_eq_u32_e32 vcc, 0, v7
	v_cndmask_b32_e32 v16, -1, v16, vcc
	v_cmp_ne_u32_e32 vcc, 0, v16
	v_cmp_lt_u32_e64 s[4:5], s20, v6
	v_cndmask_b32_e32 v7, v7, v15, vcc
	v_cndmask_b32_e64 v15, 0, -1, s[4:5]
	v_cmp_eq_u32_e64 s[4:5], 0, v3
	v_cndmask_b32_e64 v15, -1, v15, s[4:5]
	v_cmp_ne_u32_e64 s[4:5], 0, v15
	v_cndmask_b32_e64 v7, v3, v7, s[4:5]
	v_cndmask_b32_e32 v3, v9, v14, vcc
	v_cndmask_b32_e64 v6, v6, v3, s[4:5]
	s_branch .LBB29_48
.LBB29_51:
	v_add_u32_e32 v2, v29, v27
	s_movk_i32 s4, 0x1388
	v_mul_lo_u32 v2, v2, s4
	v_cmp_ne_u32_e32 vcc, 0, v2
	v_mov_b32_e32 v4, 1
	s_and_saveexec_b64 s[8:9], vcc
	s_cbranch_execz .LBB29_100
; %bb.52:
	v_mov_b32_e32 v3, 0
	v_mov_b32_e32 v6, 1
	s_mov_b64 s[14:15], 0xbc8f
	s_mov_b64 s[10:11], 0
	v_mov_b32_e32 v7, 0
	s_brev_b32 s19, -2
	s_mov_b32 s20, 0x7ffffffe
	v_mov_b32_e32 v8, 0xfffff800
	s_movk_i32 s21, 0x401
	v_pk_mov_b32 v[4:5], v[2:3], v[2:3] op_sel:[0,1]
	s_branch .LBB29_54
.LBB29_53:                              ;   in Loop: Header=BB29_54 Depth=1
	s_or_b64 exec, exec, s[16:17]
	s_mul_i32 s4, s14, s15
	s_mul_hi_u32 s5, s14, s14
	s_add_i32 s5, s5, s4
	s_add_i32 s4, s5, s4
	s_mul_i32 s5, s14, s14
	s_add_u32 s14, 0x402, s21
	s_addc_u32 s15, 0, 0
	v_add_co_u32_e32 v3, vcc, s14, v8
	s_cmp_lg_u64 vcc, 0
	v_readfirstlane_b32 s16, v3
	s_addc_u32 s14, s15, 1
	s_mul_hi_u32 s17, s16, 0x80000001
	s_mul_i32 s15, s14, 0x80000001
	s_sub_i32 s17, s17, s16
	s_add_i32 s17, s17, s15
	s_mul_i32 s23, s16, 0x80000001
	s_mul_hi_u32 s15, s16, s17
	s_mul_i32 s22, s16, s17
	s_mul_hi_u32 s16, s16, s23
	s_add_u32 s16, s16, s22
	s_addc_u32 s15, 0, s15
	s_mul_hi_u32 s24, s14, s23
	s_mul_i32 s23, s14, s23
	s_add_u32 s16, s16, s23
	s_mul_hi_u32 s22, s14, s17
	s_addc_u32 s15, s15, s24
	s_addc_u32 s16, s22, 0
	s_mul_i32 s17, s14, s17
	s_add_u32 s15, s15, s17
	s_addc_u32 s16, 0, s16
	v_add_co_u32_e32 v3, vcc, s15, v3
	s_cmp_lg_u64 vcc, 0
	s_addc_u32 s14, s14, s16
	v_readfirstlane_b32 s17, v3
	s_mul_i32 s16, s5, s14
	s_mul_hi_u32 s22, s5, s17
	s_mul_hi_u32 s15, s5, s14
	s_add_u32 s16, s22, s16
	s_addc_u32 s15, 0, s15
	s_mul_hi_u32 s23, s4, s17
	s_mul_i32 s17, s4, s17
	s_add_u32 s16, s16, s17
	s_mul_hi_u32 s22, s4, s14
	s_addc_u32 s15, s15, s23
	s_addc_u32 s16, s22, 0
	s_mul_i32 s14, s4, s14
	s_add_u32 s14, s15, s14
	s_addc_u32 s15, 0, s16
	s_mul_hi_u32 s16, s14, 0x7fffffff
	s_mul_i32 s14, s14, 0x7fffffff
	s_mul_i32 s15, s15, 0x7fffffff
	v_mov_b32_e32 v3, s14
	s_add_i32 s16, s16, s15
	v_sub_co_u32_e32 v3, vcc, s5, v3
	s_cmp_lg_u64 vcc, 0
	s_subb_u32 s4, s4, s16
	v_subrev_co_u32_e32 v9, vcc, s19, v3
	s_cmp_lg_u64 vcc, 0
	s_subb_u32 s5, s4, 0
	v_subrev_co_u32_e32 v12, vcc, s19, v9
	s_cmp_lg_u64 vcc, 0
	s_subb_u32 s14, s5, 0
	v_readfirstlane_b32 s15, v9
	s_cmp_gt_u32 s15, 0x7ffffffe
	s_cselect_b32 s16, -1, 0
	s_cmp_eq_u32 s5, 0
	s_cselect_b32 s16, s16, -1
	s_cmp_lg_u32 s16, 0
	s_cselect_b32 s5, s14, s5
	v_readfirstlane_b32 s14, v12
	v_readfirstlane_b32 s16, v3
	s_cselect_b32 s14, s14, s15
	s_cmp_gt_u32 s16, 0x7ffffffe
	s_cselect_b32 s15, -1, 0
	s_cmp_eq_u32 s4, 0
	s_cselect_b32 s15, s15, -1
	v_lshrrev_b64 v[10:11], 1, v[4:5]
	s_cmp_lg_u32 s15, 0
	v_cmp_gt_u64_e32 vcc, 2, v[4:5]
	s_cselect_b32 s15, s5, s4
	s_cselect_b32 s14, s14, s16
	s_or_b64 s[10:11], vcc, s[10:11]
	v_pk_mov_b32 v[4:5], v[10:11], v[10:11] op_sel:[0,1]
	s_andn2_b64 exec, exec, s[10:11]
	s_cbranch_execz .LBB29_99
.LBB29_54:                              ; =>This Inner Loop Header: Depth=1
	v_and_b32_e32 v3, 1, v4
	v_cmp_eq_u32_e32 vcc, 1, v3
	s_and_saveexec_b64 s[16:17], vcc
	s_cbranch_execz .LBB29_53
; %bb.55:                               ;   in Loop: Header=BB29_54 Depth=1
	v_mul_lo_u32 v3, s15, v6
	v_mul_lo_u32 v9, s14, v7
	v_mad_u64_u32 v[6:7], s[4:5], s14, v6, 0
	s_add_u32 s4, 0x402, s21
	v_add3_u32 v3, v7, v9, v3
	s_addc_u32 s5, 0, 0
	v_add_co_u32_e32 v7, vcc, s4, v8
	s_cmp_lg_u64 vcc, 0
	v_readfirstlane_b32 s22, v7
	s_addc_u32 s4, s5, 1
	s_mul_hi_u32 s23, s22, 0x80000001
	s_mul_i32 s5, s4, 0x80000001
	s_sub_i32 s23, s23, s22
	s_add_i32 s23, s23, s5
	s_mul_i32 s25, s22, 0x80000001
	s_mul_hi_u32 s5, s22, s23
	s_mul_i32 s24, s22, s23
	s_mul_hi_u32 s22, s22, s25
	s_add_u32 s22, s22, s24
	s_addc_u32 s5, 0, s5
	s_mul_hi_u32 s26, s4, s25
	s_mul_i32 s25, s4, s25
	s_add_u32 s22, s22, s25
	s_mul_hi_u32 s24, s4, s23
	s_addc_u32 s5, s5, s26
	s_addc_u32 s22, s24, 0
	s_mul_i32 s23, s4, s23
	s_add_u32 s5, s5, s23
	s_addc_u32 s22, 0, s22
	v_add_co_u32_e32 v7, vcc, s5, v7
	s_cmp_lg_u64 vcc, 0
	s_addc_u32 s22, s4, s22
	v_mad_u64_u32 v[10:11], s[4:5], v6, s22, 0
	v_mul_hi_u32 v9, v6, v7
	v_add_co_u32_e32 v9, vcc, v9, v10
	v_addc_co_u32_e32 v14, vcc, 0, v11, vcc
	v_mad_u64_u32 v[12:13], s[4:5], v3, v7, 0
	v_add_co_u32_e32 v7, vcc, v9, v12
	v_mad_u64_u32 v[10:11], s[4:5], v3, s22, 0
	v_addc_co_u32_e32 v7, vcc, v14, v13, vcc
	v_addc_co_u32_e32 v9, vcc, 0, v11, vcc
	v_add_co_u32_e32 v7, vcc, v7, v10
	v_mad_u64_u32 v[10:11], s[4:5], v7, s19, 0
	v_addc_co_u32_e32 v9, vcc, 0, v9, vcc
	v_mov_b32_e32 v12, v11
	v_mad_u64_u32 v[12:13], s[4:5], v9, s19, v[12:13]
	v_sub_co_u32_e32 v6, vcc, v6, v10
	v_subb_co_u32_e32 v3, vcc, v3, v12, vcc
	v_subrev_co_u32_e32 v9, vcc, s19, v6
	v_subbrev_co_u32_e32 v7, vcc, 0, v3, vcc
	v_subrev_co_u32_e32 v10, vcc, s19, v9
	v_subbrev_co_u32_e32 v11, vcc, 0, v7, vcc
	v_cmp_lt_u32_e32 vcc, s20, v9
	v_cndmask_b32_e64 v12, 0, -1, vcc
	v_cmp_eq_u32_e32 vcc, 0, v7
	v_cndmask_b32_e32 v12, -1, v12, vcc
	v_cmp_ne_u32_e32 vcc, 0, v12
	v_cmp_lt_u32_e64 s[4:5], s20, v6
	v_cndmask_b32_e32 v7, v7, v11, vcc
	v_cndmask_b32_e64 v11, 0, -1, s[4:5]
	v_cmp_eq_u32_e64 s[4:5], 0, v3
	v_cndmask_b32_e64 v11, -1, v11, s[4:5]
	v_cmp_ne_u32_e64 s[4:5], 0, v11
	v_cndmask_b32_e64 v7, v3, v7, s[4:5]
	v_cndmask_b32_e32 v3, v9, v10, vcc
	v_cndmask_b32_e64 v6, v6, v3, s[4:5]
	s_branch .LBB29_53
.LBB29_56:
	v_add_u32_e32 v4, v9, v11
	s_movk_i32 s4, 0x1388
	v_mul_lo_u32 v4, v4, s4
	v_cmp_ne_u32_e32 vcc, 0, v4
	v_mov_b32_e32 v6, 1
	s_and_saveexec_b64 s[8:9], vcc
	s_cbranch_execz .LBB29_108
; %bb.57:
	v_mov_b32_e32 v5, 0
	v_mov_b32_e32 v8, 1
	s_mov_b64 s[14:15], 0xbc8f
	s_mov_b64 s[10:11], 0
	v_mov_b32_e32 v9, 0
	s_brev_b32 s19, -2
	s_mov_b32 s20, 0x7ffffffe
	v_mov_b32_e32 v12, 0xfffff800
	s_movk_i32 s21, 0x401
	v_pk_mov_b32 v[6:7], v[4:5], v[4:5] op_sel:[0,1]
	s_branch .LBB29_59
.LBB29_58:                              ;   in Loop: Header=BB29_59 Depth=1
	s_or_b64 exec, exec, s[16:17]
	s_mul_i32 s4, s14, s15
	s_mul_hi_u32 s5, s14, s14
	s_add_i32 s5, s5, s4
	s_add_i32 s4, s5, s4
	s_mul_i32 s5, s14, s14
	s_add_u32 s14, 0x402, s21
	s_addc_u32 s15, 0, 0
	v_add_co_u32_e32 v5, vcc, s14, v12
	s_cmp_lg_u64 vcc, 0
	v_readfirstlane_b32 s16, v5
	s_addc_u32 s14, s15, 1
	s_mul_hi_u32 s17, s16, 0x80000001
	s_mul_i32 s15, s14, 0x80000001
	s_sub_i32 s17, s17, s16
	s_add_i32 s17, s17, s15
	s_mul_i32 s23, s16, 0x80000001
	s_mul_hi_u32 s15, s16, s17
	s_mul_i32 s22, s16, s17
	s_mul_hi_u32 s16, s16, s23
	s_add_u32 s16, s16, s22
	s_addc_u32 s15, 0, s15
	s_mul_hi_u32 s24, s14, s23
	s_mul_i32 s23, s14, s23
	s_add_u32 s16, s16, s23
	s_mul_hi_u32 s22, s14, s17
	s_addc_u32 s15, s15, s24
	s_addc_u32 s16, s22, 0
	s_mul_i32 s17, s14, s17
	s_add_u32 s15, s15, s17
	s_addc_u32 s16, 0, s16
	v_add_co_u32_e32 v5, vcc, s15, v5
	s_cmp_lg_u64 vcc, 0
	s_addc_u32 s14, s14, s16
	v_readfirstlane_b32 s17, v5
	s_mul_i32 s16, s5, s14
	s_mul_hi_u32 s22, s5, s17
	s_mul_hi_u32 s15, s5, s14
	s_add_u32 s16, s22, s16
	s_addc_u32 s15, 0, s15
	s_mul_hi_u32 s23, s4, s17
	s_mul_i32 s17, s4, s17
	s_add_u32 s16, s16, s17
	s_mul_hi_u32 s22, s4, s14
	s_addc_u32 s15, s15, s23
	s_addc_u32 s16, s22, 0
	s_mul_i32 s14, s4, s14
	s_add_u32 s14, s15, s14
	s_addc_u32 s15, 0, s16
	s_mul_hi_u32 s16, s14, 0x7fffffff
	s_mul_i32 s14, s14, 0x7fffffff
	s_mul_i32 s15, s15, 0x7fffffff
	v_mov_b32_e32 v5, s14
	s_add_i32 s16, s16, s15
	v_sub_co_u32_e32 v5, vcc, s5, v5
	s_cmp_lg_u64 vcc, 0
	s_subb_u32 s4, s4, s16
	v_subrev_co_u32_e32 v13, vcc, s19, v5
	s_cmp_lg_u64 vcc, 0
	s_subb_u32 s5, s4, 0
	v_subrev_co_u32_e32 v16, vcc, s19, v13
	s_cmp_lg_u64 vcc, 0
	s_subb_u32 s14, s5, 0
	v_readfirstlane_b32 s15, v13
	s_cmp_gt_u32 s15, 0x7ffffffe
	s_cselect_b32 s16, -1, 0
	s_cmp_eq_u32 s5, 0
	s_cselect_b32 s16, s16, -1
	s_cmp_lg_u32 s16, 0
	s_cselect_b32 s5, s14, s5
	v_readfirstlane_b32 s14, v16
	v_readfirstlane_b32 s16, v5
	s_cselect_b32 s14, s14, s15
	s_cmp_gt_u32 s16, 0x7ffffffe
	s_cselect_b32 s15, -1, 0
	s_cmp_eq_u32 s4, 0
	s_cselect_b32 s15, s15, -1
	v_lshrrev_b64 v[14:15], 1, v[6:7]
	s_cmp_lg_u32 s15, 0
	v_cmp_gt_u64_e32 vcc, 2, v[6:7]
	s_cselect_b32 s15, s5, s4
	s_cselect_b32 s14, s14, s16
	s_or_b64 s[10:11], vcc, s[10:11]
	v_pk_mov_b32 v[6:7], v[14:15], v[14:15] op_sel:[0,1]
	s_andn2_b64 exec, exec, s[10:11]
	s_cbranch_execz .LBB29_107
.LBB29_59:                              ; =>This Inner Loop Header: Depth=1
	v_and_b32_e32 v5, 1, v6
	v_cmp_eq_u32_e32 vcc, 1, v5
	s_and_saveexec_b64 s[16:17], vcc
	s_cbranch_execz .LBB29_58
; %bb.60:                               ;   in Loop: Header=BB29_59 Depth=1
	v_mul_lo_u32 v5, s15, v8
	v_mul_lo_u32 v13, s14, v9
	v_mad_u64_u32 v[8:9], s[4:5], s14, v8, 0
	s_add_u32 s4, 0x402, s21
	v_add3_u32 v5, v9, v13, v5
	s_addc_u32 s5, 0, 0
	v_add_co_u32_e32 v9, vcc, s4, v12
	s_cmp_lg_u64 vcc, 0
	v_readfirstlane_b32 s22, v9
	s_addc_u32 s4, s5, 1
	s_mul_hi_u32 s23, s22, 0x80000001
	s_mul_i32 s5, s4, 0x80000001
	s_sub_i32 s23, s23, s22
	s_add_i32 s23, s23, s5
	s_mul_i32 s25, s22, 0x80000001
	s_mul_hi_u32 s5, s22, s23
	s_mul_i32 s24, s22, s23
	s_mul_hi_u32 s22, s22, s25
	s_add_u32 s22, s22, s24
	s_addc_u32 s5, 0, s5
	s_mul_hi_u32 s26, s4, s25
	s_mul_i32 s25, s4, s25
	s_add_u32 s22, s22, s25
	s_mul_hi_u32 s24, s4, s23
	s_addc_u32 s5, s5, s26
	s_addc_u32 s22, s24, 0
	s_mul_i32 s23, s4, s23
	s_add_u32 s5, s5, s23
	s_addc_u32 s22, 0, s22
	v_add_co_u32_e32 v9, vcc, s5, v9
	s_cmp_lg_u64 vcc, 0
	s_addc_u32 s22, s4, s22
	v_mad_u64_u32 v[14:15], s[4:5], v8, s22, 0
	v_mul_hi_u32 v13, v8, v9
	v_add_co_u32_e32 v13, vcc, v13, v14
	v_addc_co_u32_e32 v18, vcc, 0, v15, vcc
	v_mad_u64_u32 v[16:17], s[4:5], v5, v9, 0
	v_add_co_u32_e32 v9, vcc, v13, v16
	v_mad_u64_u32 v[14:15], s[4:5], v5, s22, 0
	v_addc_co_u32_e32 v9, vcc, v18, v17, vcc
	v_addc_co_u32_e32 v13, vcc, 0, v15, vcc
	v_add_co_u32_e32 v9, vcc, v9, v14
	v_mad_u64_u32 v[14:15], s[4:5], v9, s19, 0
	v_addc_co_u32_e32 v13, vcc, 0, v13, vcc
	v_mov_b32_e32 v16, v15
	v_mad_u64_u32 v[16:17], s[4:5], v13, s19, v[16:17]
	v_sub_co_u32_e32 v8, vcc, v8, v14
	v_subb_co_u32_e32 v5, vcc, v5, v16, vcc
	v_subrev_co_u32_e32 v13, vcc, s19, v8
	v_subbrev_co_u32_e32 v9, vcc, 0, v5, vcc
	v_subrev_co_u32_e32 v14, vcc, s19, v13
	v_subbrev_co_u32_e32 v15, vcc, 0, v9, vcc
	v_cmp_lt_u32_e32 vcc, s20, v13
	v_cndmask_b32_e64 v16, 0, -1, vcc
	v_cmp_eq_u32_e32 vcc, 0, v9
	v_cndmask_b32_e32 v16, -1, v16, vcc
	v_cmp_ne_u32_e32 vcc, 0, v16
	v_cmp_lt_u32_e64 s[4:5], s20, v8
	v_cndmask_b32_e32 v9, v9, v15, vcc
	v_cndmask_b32_e64 v15, 0, -1, s[4:5]
	v_cmp_eq_u32_e64 s[4:5], 0, v5
	v_cndmask_b32_e64 v15, -1, v15, s[4:5]
	v_cmp_ne_u32_e64 s[4:5], 0, v15
	v_cndmask_b32_e64 v9, v5, v9, s[4:5]
	v_cndmask_b32_e32 v5, v13, v14, vcc
	v_cndmask_b32_e64 v8, v8, v5, s[4:5]
	s_branch .LBB29_58
.LBB29_61:
	s_or_b64 exec, exec, s[14:15]
	s_movk_i32 s4, 0x401
	s_add_u32 s4, 0x402, s4
	v_mov_b32_e32 v6, 0xfffff800
	s_addc_u32 s5, 0, 0
	v_add_co_u32_e32 v6, vcc, s4, v6
	s_cmp_lg_u64 vcc, 0
	v_readfirstlane_b32 s14, v6
	s_addc_u32 s4, s5, 1
	s_mul_hi_u32 s15, s14, 0x80000001
	s_mul_i32 s5, s4, 0x80000001
	s_sub_i32 s15, s15, s14
	s_add_i32 s15, s15, s5
	s_mul_i32 s17, s14, 0x80000001
	s_mul_hi_u32 s5, s14, s15
	s_mul_i32 s16, s14, s15
	s_mul_hi_u32 s14, s14, s17
	s_add_u32 s14, s14, s16
	s_addc_u32 s5, 0, s5
	s_mul_hi_u32 s18, s4, s17
	s_mul_i32 s17, s4, s17
	s_add_u32 s14, s14, s17
	s_mul_hi_u32 s16, s4, s15
	s_addc_u32 s5, s5, s18
	s_addc_u32 s14, s16, 0
	s_mul_i32 s15, s4, s15
	s_add_u32 s5, s5, s15
	s_addc_u32 s14, 0, s14
	v_add_co_u32_e32 v12, vcc, s5, v6
	s_cmp_lg_u64 vcc, 0
	s_addc_u32 s14, s4, s14
	v_mad_u64_u32 v[6:7], s[4:5], v8, s14, 0
	v_mul_hi_u32 v13, v8, v12
	v_add_co_u32_e32 v14, vcc, v13, v6
	v_addc_co_u32_e32 v15, vcc, 0, v7, vcc
	v_mad_u64_u32 v[12:13], s[4:5], v9, v12, 0
	v_add_co_u32_e32 v12, vcc, v14, v12
	v_mad_u64_u32 v[6:7], s[4:5], v9, s14, 0
	v_addc_co_u32_e32 v12, vcc, v15, v13, vcc
	v_addc_co_u32_e32 v7, vcc, 0, v7, vcc
	v_add_co_u32_e32 v6, vcc, v12, v6
	s_brev_b32 s14, -2
	v_addc_co_u32_e32 v13, vcc, 0, v7, vcc
	v_mad_u64_u32 v[6:7], s[4:5], v6, s14, 0
	v_mov_b32_e32 v12, v7
	v_mad_u64_u32 v[12:13], s[4:5], v13, s14, v[12:13]
	v_sub_co_u32_e32 v6, vcc, v8, v6
	v_subb_co_u32_e32 v7, vcc, v9, v12, vcc
	v_subrev_co_u32_e32 v8, vcc, 0x7fffffff, v6
	v_subbrev_co_u32_e32 v9, vcc, 0, v7, vcc
	s_mov_b32 s4, 0x7ffffffe
	v_cmp_lt_u32_e32 vcc, s4, v8
	v_cndmask_b32_e64 v12, 0, -1, vcc
	v_cmp_eq_u32_e32 vcc, 0, v9
	v_cndmask_b32_e32 v9, -1, v12, vcc
	v_add_u32_e32 v12, 0x80000001, v8
	v_cmp_ne_u32_e32 vcc, 0, v9
	v_cndmask_b32_e32 v8, v8, v12, vcc
	v_cmp_lt_u32_e32 vcc, s4, v6
	v_cndmask_b32_e64 v9, 0, -1, vcc
	v_cmp_eq_u32_e32 vcc, 0, v7
	v_cndmask_b32_e32 v7, -1, v9, vcc
	v_cmp_ne_u32_e32 vcc, 0, v7
	v_cndmask_b32_e32 v8, v6, v8, vcc
.LBB29_62:
	s_or_b64 exec, exec, s[10:11]
	s_movk_i32 s10, 0x1388
	v_mov_b32_e32 v7, 0
	s_mov_b32 s11, 0xbc8f1391
	s_mov_b32 s14, 0xbc8f
	s_brev_b32 s15, 12
	s_mov_b32 s16, 0xf800000
	v_mov_b32_e32 v6, 0x260
.LBB29_63:                              ; =>This Inner Loop Header: Depth=1
	v_mul_hi_u32 v9, v8, s11
	v_lshrrev_b32_e32 v9, 15, v9
	v_mul_u32_u24_e32 v13, 0xadc8, v9
	v_sub_u32_e32 v8, v8, v13
	v_mul_u32_u24_e32 v9, 0xd47, v9
	v_mul_lo_u32 v8, v8, s14
	v_xor_b32_e32 v13, 0x7fffffff, v9
	v_sub_u32_e32 v14, 0, v9
	v_cmp_lt_u32_e32 vcc, v8, v9
	v_cndmask_b32_e32 v9, v14, v13, vcc
	v_add_u32_e32 v8, v9, v8
	v_mul_hi_u32 v13, v8, s11
	v_lshrrev_b32_e32 v13, 15, v13
	v_mul_u32_u24_e32 v14, 0xadc8, v13
	v_add_u32_e32 v9, -1, v8
	v_sub_u32_e32 v8, v8, v14
	v_mul_u32_u24_e32 v13, 0xd47, v13
	v_mul_lo_u32 v8, v8, s14
	v_xor_b32_e32 v14, 0x7fffffff, v13
	v_sub_u32_e32 v15, 0, v13
	v_cmp_lt_u32_e32 vcc, v8, v13
	v_cndmask_b32_e32 v13, v15, v14, vcc
	v_add_u32_e32 v8, v13, v8
	v_mul_hi_u32 v14, v8, s11
	v_add_u32_e32 v13, -1, v8
	v_lshrrev_b32_e32 v14, 15, v14
	v_cvt_f32_u32_e32 v13, v13
	v_mul_u32_u24_e32 v15, 0xadc8, v14
	v_cvt_f32_u32_e32 v9, v9
	v_sub_u32_e32 v8, v8, v15
	v_mul_u32_u24_e32 v14, 0xd47, v14
	v_mul_lo_u32 v8, v8, s14
	v_xor_b32_e32 v15, 0x7fffffff, v14
	v_sub_u32_e32 v16, 0, v14
	v_cmp_lt_u32_e32 vcc, v8, v14
	v_fma_f32 v13, v13, s15, 0
	v_cndmask_b32_e32 v14, v16, v15, vcc
	v_fma_f32 v9, v9, s15, 0
	v_mul_f32_e32 v13, v13, v13
	v_add_u32_e32 v8, v14, v8
	v_fmac_f32_e32 v13, v9, v9
	v_mul_hi_u32 v14, v8, s11
	v_mul_f32_e32 v15, 0x4f800000, v13
	v_lshrrev_b32_e32 v14, 15, v14
	v_cmp_gt_f32_e32 vcc, s16, v13
	v_cndmask_b32_e32 v13, v13, v15, vcc
	v_mul_u32_u24_e32 v15, 0xadc8, v14
	v_add_u32_e32 v9, -1, v8
	v_sqrt_f32_e32 v16, v13
	v_sub_u32_e32 v8, v8, v15
	v_mul_u32_u24_e32 v14, 0xd47, v14
	v_mul_lo_u32 v8, v8, s14
	v_xor_b32_e32 v15, 0x7fffffff, v14
	v_sub_u32_e32 v17, 0, v14
	v_cmp_lt_u32_e64 s[4:5], v8, v14
	v_cndmask_b32_e64 v14, v17, v15, s[4:5]
	v_add_u32_e32 v8, v14, v8
	v_add_u32_e32 v14, -1, v16
	v_add_u32_e32 v15, 1, v16
	v_add_u32_e32 v17, -1, v8
	v_fma_f32 v18, -v14, v16, v13
	v_fma_f32 v19, -v15, v16, v13
	v_cvt_f32_u32_e32 v17, v17
	v_cmp_ge_f32_e64 s[4:5], 0, v18
	v_cvt_f32_u32_e32 v9, v9
	v_cndmask_b32_e64 v14, v16, v14, s[4:5]
	v_cmp_lt_f32_e64 s[4:5], 0, v19
	v_cndmask_b32_e64 v14, v14, v15, s[4:5]
	v_mul_f32_e32 v15, 0x37800000, v14
	v_cndmask_b32_e32 v14, v14, v15, vcc
	v_fma_f32 v15, v17, s15, 0
	v_cmp_class_f32_e32 vcc, v13, v6
	v_fma_f32 v9, v9, s15, 0
	v_cndmask_b32_e32 v13, v14, v13, vcc
	v_mul_f32_e32 v14, v15, v15
	v_add_f32_e32 v12, 1.0, v7
	v_cmp_nge_f32_e32 vcc, 1.0, v13
	v_fmac_f32_e32 v14, v9, v9
	v_cndmask_b32_e32 v7, v12, v7, vcc
	v_mul_f32_e32 v9, 0x4f800000, v14
	v_cmp_gt_f32_e32 vcc, s16, v14
	v_cndmask_b32_e32 v9, v14, v9, vcc
	v_sqrt_f32_e32 v13, v9
	s_add_i32 s10, s10, -2
	v_add_f32_e32 v12, 1.0, v7
	s_cmp_lg_u32 s10, 0
	v_add_u32_e32 v14, -1, v13
	v_add_u32_e32 v15, 1, v13
	v_fma_f32 v16, -v14, v13, v9
	v_fma_f32 v17, -v15, v13, v9
	v_cmp_ge_f32_e64 s[4:5], 0, v16
	v_cndmask_b32_e64 v13, v13, v14, s[4:5]
	v_cmp_lt_f32_e64 s[4:5], 0, v17
	v_cndmask_b32_e64 v13, v13, v15, s[4:5]
	v_mul_f32_e32 v14, 0x37800000, v13
	v_cndmask_b32_e32 v13, v13, v14, vcc
	v_cmp_class_f32_e32 vcc, v9, v6
	v_cndmask_b32_e32 v9, v13, v9, vcc
	v_cmp_nge_f32_e32 vcc, 1.0, v9
	v_cndmask_b32_e32 v7, v12, v7, vcc
	s_cbranch_scc1 .LBB29_63
; %bb.64:
	v_mul_f32_e32 v6, 4.0, v7
	s_mov_b32 s10, 0x459c4000
	v_div_scale_f32 v7, s[4:5], s10, s10, v6
	v_rcp_f32_e32 v8, v7
	v_fma_f32 v9, -v7, v8, 1.0
	v_fmac_f32_e32 v8, v9, v8
	v_div_scale_f32 v9, vcc, v6, s10, v6
	v_mul_f32_e32 v12, v9, v8
	v_fma_f32 v13, -v7, v12, v9
	v_fmac_f32_e32 v12, v13, v8
	v_fma_f32 v7, -v7, v12, v9
	v_div_fmas_f32 v7, v7, v8, v12
	v_div_fixup_f32 v7, v7, s10, v6
	v_mbcnt_lo_u32_b32 v6, -1, 0
	v_mbcnt_hi_u32_b32 v6, -1, v6
	v_add_f32_dpp v7, v7, v7 quad_perm:[1,0,3,2] row_mask:0xf bank_mask:0xf bound_ctrl:1
	v_cmp_eq_u32_e32 vcc, 0, v6
	s_nop 0
	v_add_f32_dpp v7, v7, v7 quad_perm:[2,3,0,1] row_mask:0xf bank_mask:0xf bound_ctrl:1
	s_nop 1
	v_add_f32_dpp v7, v7, v7 row_ror:4 row_mask:0xf bank_mask:0xf bound_ctrl:1
	s_nop 1
	v_add_f32_dpp v7, v7, v7 row_ror:8 row_mask:0xf bank_mask:0xf bound_ctrl:1
	s_nop 1
	v_add_f32_dpp v7, v7, v7 row_bcast:15 row_mask:0xf bank_mask:0xf bound_ctrl:1
	s_nop 1
	v_add_f32_dpp v8, v7, v7 row_bcast:31 row_mask:0xf bank_mask:0xf bound_ctrl:1
	v_lshlrev_b32_e32 v7, 2, v6
	v_or_b32_e32 v9, 0xfc, v7
	ds_bpermute_b32 v8, v9, v8
	s_and_saveexec_b64 s[4:5], vcc
	s_cbranch_execz .LBB29_66
; %bb.65:
	v_lshrrev_b32_e32 v9, 4, v11
	v_and_b32_e32 v9, 60, v9
	s_waitcnt lgkmcnt(0)
	ds_write_b32 v9, v8 offset:8
.LBB29_66:
	s_or_b64 exec, exec, s[4:5]
	v_cmp_gt_u32_e32 vcc, 64, v11
	s_waitcnt lgkmcnt(0)
	s_barrier
	s_and_saveexec_b64 s[4:5], vcc
	s_cbranch_execz .LBB29_68
; %bb.67:
	v_and_b32_e32 v6, 1, v6
	v_lshlrev_b32_e32 v6, 2, v6
	ds_read_b32 v6, v6 offset:8
	v_or_b32_e32 v7, 4, v7
	s_waitcnt lgkmcnt(0)
	ds_bpermute_b32 v7, v7, v6
	s_waitcnt lgkmcnt(0)
	v_add_f32_e32 v8, v6, v7
.LBB29_68:
	s_or_b64 exec, exec, s[4:5]
                                        ; implicit-def: $vgpr6
	s_andn2_saveexec_b64 s[8:9], s[8:9]
	s_cbranch_execz .LBB29_3
.LBB29_69:
	v_subrev_u32_e32 v12, s20, v2
	v_cmp_lt_u32_e32 vcc, v11, v12
                                        ; implicit-def: $vgpr8
	s_and_saveexec_b64 s[10:11], vcc
	s_cbranch_execz .LBB29_605
; %bb.70:
	v_add3_u32 v6, s20, v11, v6
	s_movk_i32 s4, 0x1388
	v_mul_lo_u32 v6, v6, s4
	v_cmp_ne_u32_e32 vcc, 0, v6
	v_mov_b32_e32 v8, 1
	s_and_saveexec_b64 s[14:15], vcc
	s_cbranch_execz .LBB29_602
; %bb.71:
	v_mov_b32_e32 v8, 1
	v_mov_b32_e32 v7, 0
	s_mov_b64 s[18:19], 0xbc8f
	s_mov_b64 s[16:17], 0
	v_mov_b32_e32 v9, 0
	s_brev_b32 s22, -2
	s_mov_b32 s23, 0x7ffffffe
	v_mov_b32_e32 v13, 0xfffff800
	s_movk_i32 s24, 0x401
	s_branch .LBB29_73
.LBB29_72:                              ;   in Loop: Header=BB29_73 Depth=1
	s_or_b64 exec, exec, s[20:21]
	s_mul_i32 s4, s18, s19
	s_mul_hi_u32 s5, s18, s18
	s_add_i32 s5, s5, s4
	s_add_i32 s4, s5, s4
	s_mul_i32 s5, s18, s18
	s_add_u32 s18, 0x402, s24
	s_addc_u32 s19, 0, 0
	v_add_co_u32_e32 v16, vcc, s18, v13
	s_cmp_lg_u64 vcc, 0
	v_readfirstlane_b32 s20, v16
	s_addc_u32 s18, s19, 1
	s_mul_hi_u32 s21, s20, 0x80000001
	s_mul_i32 s19, s18, 0x80000001
	s_sub_i32 s21, s21, s20
	s_add_i32 s21, s21, s19
	s_mul_i32 s26, s20, 0x80000001
	s_mul_hi_u32 s19, s20, s21
	s_mul_i32 s25, s20, s21
	s_mul_hi_u32 s20, s20, s26
	s_add_u32 s20, s20, s25
	s_addc_u32 s19, 0, s19
	s_mul_hi_u32 s27, s18, s26
	s_mul_i32 s26, s18, s26
	s_add_u32 s20, s20, s26
	s_mul_hi_u32 s25, s18, s21
	s_addc_u32 s19, s19, s27
	s_addc_u32 s20, s25, 0
	s_mul_i32 s21, s18, s21
	s_add_u32 s19, s19, s21
	s_addc_u32 s20, 0, s20
	v_add_co_u32_e32 v16, vcc, s19, v16
	s_cmp_lg_u64 vcc, 0
	s_addc_u32 s18, s18, s20
	v_readfirstlane_b32 s21, v16
	s_mul_i32 s20, s5, s18
	s_mul_hi_u32 s25, s5, s21
	s_mul_hi_u32 s19, s5, s18
	s_add_u32 s20, s25, s20
	s_addc_u32 s19, 0, s19
	s_mul_hi_u32 s26, s4, s21
	s_mul_i32 s21, s4, s21
	s_add_u32 s20, s20, s21
	s_mul_hi_u32 s25, s4, s18
	s_addc_u32 s19, s19, s26
	s_addc_u32 s20, s25, 0
	s_mul_i32 s18, s4, s18
	s_add_u32 s18, s19, s18
	s_addc_u32 s19, 0, s20
	s_mul_hi_u32 s20, s18, 0x7fffffff
	s_mul_i32 s18, s18, 0x7fffffff
	s_mul_i32 s19, s19, 0x7fffffff
	v_mov_b32_e32 v16, s18
	s_add_i32 s20, s20, s19
	v_sub_co_u32_e32 v16, vcc, s5, v16
	s_cmp_lg_u64 vcc, 0
	s_subb_u32 s4, s4, s20
	v_subrev_co_u32_e32 v17, vcc, s22, v16
	s_cmp_lg_u64 vcc, 0
	s_subb_u32 s5, s4, 0
	v_subrev_co_u32_e32 v18, vcc, s22, v17
	s_cmp_lg_u64 vcc, 0
	s_subb_u32 s18, s5, 0
	v_readfirstlane_b32 s19, v17
	s_cmp_gt_u32 s19, 0x7ffffffe
	s_cselect_b32 s20, -1, 0
	s_cmp_eq_u32 s5, 0
	s_cselect_b32 s20, s20, -1
	s_cmp_lg_u32 s20, 0
	s_cselect_b32 s5, s18, s5
	v_readfirstlane_b32 s18, v18
	v_readfirstlane_b32 s20, v16
	s_cselect_b32 s18, s18, s19
	s_cmp_gt_u32 s20, 0x7ffffffe
	s_cselect_b32 s19, -1, 0
	s_cmp_eq_u32 s4, 0
	s_cselect_b32 s19, s19, -1
	v_lshrrev_b64 v[14:15], 1, v[6:7]
	s_cmp_lg_u32 s19, 0
	v_cmp_gt_u64_e32 vcc, 2, v[6:7]
	s_cselect_b32 s19, s5, s4
	s_cselect_b32 s18, s18, s20
	s_or_b64 s[16:17], vcc, s[16:17]
	v_pk_mov_b32 v[6:7], v[14:15], v[14:15] op_sel:[0,1]
	s_andn2_b64 exec, exec, s[16:17]
	s_cbranch_execz .LBB29_601
.LBB29_73:                              ; =>This Inner Loop Header: Depth=1
	v_and_b32_e32 v14, 1, v6
	v_cmp_eq_u32_e32 vcc, 1, v14
	s_and_saveexec_b64 s[20:21], vcc
	s_cbranch_execz .LBB29_72
; %bb.74:                               ;   in Loop: Header=BB29_73 Depth=1
	v_mul_lo_u32 v14, s19, v8
	v_mul_lo_u32 v15, s18, v9
	v_mad_u64_u32 v[8:9], s[4:5], s18, v8, 0
	s_add_u32 s4, 0x402, s24
	v_add3_u32 v9, v9, v15, v14
	s_addc_u32 s5, 0, 0
	v_add_co_u32_e32 v14, vcc, s4, v13
	s_cmp_lg_u64 vcc, 0
	v_readfirstlane_b32 s25, v14
	s_addc_u32 s4, s5, 1
	s_mul_hi_u32 s26, s25, 0x80000001
	s_mul_i32 s5, s4, 0x80000001
	s_sub_i32 s26, s26, s25
	s_add_i32 s26, s26, s5
	s_mul_i32 s28, s25, 0x80000001
	s_mul_hi_u32 s5, s25, s26
	s_mul_i32 s27, s25, s26
	s_mul_hi_u32 s25, s25, s28
	s_add_u32 s25, s25, s27
	s_addc_u32 s5, 0, s5
	s_mul_hi_u32 s29, s4, s28
	s_mul_i32 s28, s4, s28
	s_add_u32 s25, s25, s28
	s_mul_hi_u32 s27, s4, s26
	s_addc_u32 s5, s5, s29
	s_addc_u32 s25, s27, 0
	s_mul_i32 s26, s4, s26
	s_add_u32 s5, s5, s26
	s_addc_u32 s25, 0, s25
	v_add_co_u32_e32 v16, vcc, s5, v14
	s_cmp_lg_u64 vcc, 0
	s_addc_u32 s25, s4, s25
	v_mad_u64_u32 v[14:15], s[4:5], v8, s25, 0
	v_mul_hi_u32 v17, v8, v16
	v_add_co_u32_e32 v18, vcc, v17, v14
	v_addc_co_u32_e32 v19, vcc, 0, v15, vcc
	v_mad_u64_u32 v[16:17], s[4:5], v9, v16, 0
	v_add_co_u32_e32 v16, vcc, v18, v16
	v_mad_u64_u32 v[14:15], s[4:5], v9, s25, 0
	v_addc_co_u32_e32 v16, vcc, v19, v17, vcc
	v_addc_co_u32_e32 v15, vcc, 0, v15, vcc
	v_add_co_u32_e32 v14, vcc, v16, v14
	v_addc_co_u32_e32 v17, vcc, 0, v15, vcc
	v_mad_u64_u32 v[14:15], s[4:5], v14, s22, 0
	v_mov_b32_e32 v16, v15
	v_mad_u64_u32 v[16:17], s[4:5], v17, s22, v[16:17]
	v_sub_co_u32_e32 v8, vcc, v8, v14
	v_subb_co_u32_e32 v9, vcc, v9, v16, vcc
	v_subrev_co_u32_e32 v14, vcc, s22, v8
	v_subbrev_co_u32_e32 v15, vcc, 0, v9, vcc
	v_subrev_co_u32_e32 v16, vcc, s22, v14
	v_subbrev_co_u32_e32 v17, vcc, 0, v15, vcc
	v_cmp_lt_u32_e32 vcc, s23, v14
	v_cndmask_b32_e64 v18, 0, -1, vcc
	v_cmp_eq_u32_e32 vcc, 0, v15
	v_cndmask_b32_e32 v18, -1, v18, vcc
	v_cmp_ne_u32_e32 vcc, 0, v18
	v_cmp_lt_u32_e64 s[4:5], s23, v8
	v_cndmask_b32_e32 v15, v15, v17, vcc
	v_cndmask_b32_e64 v17, 0, -1, s[4:5]
	v_cmp_eq_u32_e64 s[4:5], 0, v9
	v_cndmask_b32_e64 v17, -1, v17, s[4:5]
	v_cmp_ne_u32_e64 s[4:5], 0, v17
	v_cndmask_b32_e32 v14, v14, v16, vcc
	v_cndmask_b32_e64 v9, v9, v15, s[4:5]
	v_cndmask_b32_e64 v8, v8, v14, s[4:5]
	s_branch .LBB29_72
.LBB29_75:
	s_or_b64 exec, exec, s[14:15]
	s_movk_i32 s4, 0x401
	s_add_u32 s4, 0x402, s4
	v_mov_b32_e32 v7, 0xfffff800
	s_addc_u32 s5, 0, 0
	v_add_co_u32_e32 v7, vcc, s4, v7
	s_cmp_lg_u64 vcc, 0
	v_readfirstlane_b32 s14, v7
	s_addc_u32 s4, s5, 1
	s_mul_hi_u32 s15, s14, 0x80000001
	s_mul_i32 s5, s4, 0x80000001
	s_sub_i32 s15, s15, s14
	s_add_i32 s15, s15, s5
	s_mul_i32 s17, s14, 0x80000001
	s_mul_hi_u32 s5, s14, s15
	s_mul_i32 s16, s14, s15
	s_mul_hi_u32 s14, s14, s17
	s_add_u32 s14, s14, s16
	s_addc_u32 s5, 0, s5
	s_mul_hi_u32 s18, s4, s17
	s_mul_i32 s17, s4, s17
	s_add_u32 s14, s14, s17
	s_mul_hi_u32 s16, s4, s15
	s_addc_u32 s5, s5, s18
	s_addc_u32 s14, s16, 0
	s_mul_i32 s15, s4, s15
	s_add_u32 s5, s5, s15
	s_addc_u32 s14, 0, s14
	v_add_co_u32_e32 v7, vcc, s5, v7
	s_cmp_lg_u64 vcc, 0
	s_addc_u32 s14, s4, s14
	v_mad_u64_u32 v[8:9], s[4:5], v10, s14, 0
	v_mul_hi_u32 v14, v10, v7
	v_add_co_u32_e32 v16, vcc, v14, v8
	v_addc_co_u32_e32 v17, vcc, 0, v9, vcc
	v_mad_u64_u32 v[14:15], s[4:5], v11, v7, 0
	v_add_co_u32_e32 v7, vcc, v16, v14
	v_mad_u64_u32 v[8:9], s[4:5], v11, s14, 0
	v_addc_co_u32_e32 v7, vcc, v17, v15, vcc
	v_addc_co_u32_e32 v9, vcc, 0, v9, vcc
	v_add_co_u32_e32 v7, vcc, v7, v8
	s_brev_b32 s14, -2
	v_addc_co_u32_e32 v15, vcc, 0, v9, vcc
	v_mad_u64_u32 v[8:9], s[4:5], v7, s14, 0
	v_mov_b32_e32 v14, v9
	v_mad_u64_u32 v[14:15], s[4:5], v15, s14, v[14:15]
	v_sub_co_u32_e32 v7, vcc, v10, v8
	v_subb_co_u32_e32 v8, vcc, v11, v14, vcc
	v_subrev_co_u32_e32 v9, vcc, 0x7fffffff, v7
	v_subbrev_co_u32_e32 v10, vcc, 0, v8, vcc
	s_mov_b32 s4, 0x7ffffffe
	v_cmp_lt_u32_e32 vcc, s4, v9
	v_cndmask_b32_e64 v11, 0, -1, vcc
	v_cmp_eq_u32_e32 vcc, 0, v10
	v_cndmask_b32_e32 v10, -1, v11, vcc
	v_add_u32_e32 v11, 0x80000001, v9
	v_cmp_ne_u32_e32 vcc, 0, v10
	v_cndmask_b32_e32 v9, v9, v11, vcc
	v_cmp_lt_u32_e32 vcc, s4, v7
	v_cndmask_b32_e64 v10, 0, -1, vcc
	v_cmp_eq_u32_e32 vcc, 0, v8
	v_cndmask_b32_e32 v8, -1, v10, vcc
	v_cmp_ne_u32_e32 vcc, 0, v8
	v_cndmask_b32_e32 v8, v7, v9, vcc
.LBB29_76:
	s_or_b64 exec, exec, s[10:11]
	s_movk_i32 s10, 0x1388
	v_mov_b32_e32 v10, 0
	s_mov_b32 s11, 0xbc8f1391
	s_mov_b32 s14, 0xbc8f
	s_brev_b32 s15, 12
	s_mov_b32 s16, 0xf800000
	v_mov_b32_e32 v7, 0x260
.LBB29_77:                              ; =>This Inner Loop Header: Depth=1
	v_mul_hi_u32 v9, v8, s11
	v_lshrrev_b32_e32 v9, 15, v9
	v_mul_u32_u24_e32 v14, 0xadc8, v9
	v_sub_u32_e32 v8, v8, v14
	v_mul_u32_u24_e32 v9, 0xd47, v9
	v_mul_lo_u32 v8, v8, s14
	v_xor_b32_e32 v14, 0x7fffffff, v9
	v_sub_u32_e32 v15, 0, v9
	v_cmp_lt_u32_e32 vcc, v8, v9
	v_cndmask_b32_e32 v9, v15, v14, vcc
	v_add_u32_e32 v8, v9, v8
	v_mul_hi_u32 v14, v8, s11
	v_lshrrev_b32_e32 v14, 15, v14
	v_mul_u32_u24_e32 v15, 0xadc8, v14
	v_add_u32_e32 v9, -1, v8
	v_sub_u32_e32 v8, v8, v15
	v_mul_u32_u24_e32 v14, 0xd47, v14
	v_mul_lo_u32 v8, v8, s14
	v_xor_b32_e32 v15, 0x7fffffff, v14
	v_sub_u32_e32 v16, 0, v14
	v_cmp_lt_u32_e32 vcc, v8, v14
	v_cndmask_b32_e32 v14, v16, v15, vcc
	v_add_u32_e32 v8, v14, v8
	v_mul_hi_u32 v15, v8, s11
	v_add_u32_e32 v14, -1, v8
	v_lshrrev_b32_e32 v15, 15, v15
	v_cvt_f32_u32_e32 v14, v14
	v_mul_u32_u24_e32 v16, 0xadc8, v15
	v_cvt_f32_u32_e32 v9, v9
	v_sub_u32_e32 v8, v8, v16
	v_mul_u32_u24_e32 v15, 0xd47, v15
	v_mul_lo_u32 v8, v8, s14
	v_xor_b32_e32 v16, 0x7fffffff, v15
	v_sub_u32_e32 v17, 0, v15
	v_cmp_lt_u32_e32 vcc, v8, v15
	v_fma_f32 v14, v14, s15, 0
	v_cndmask_b32_e32 v15, v17, v16, vcc
	v_fma_f32 v9, v9, s15, 0
	v_mul_f32_e32 v14, v14, v14
	v_add_u32_e32 v8, v15, v8
	v_fmac_f32_e32 v14, v9, v9
	v_mul_hi_u32 v15, v8, s11
	v_mul_f32_e32 v16, 0x4f800000, v14
	v_lshrrev_b32_e32 v15, 15, v15
	v_cmp_gt_f32_e32 vcc, s16, v14
	v_cndmask_b32_e32 v14, v14, v16, vcc
	v_mul_u32_u24_e32 v16, 0xadc8, v15
	v_add_u32_e32 v9, -1, v8
	v_sqrt_f32_e32 v17, v14
	v_sub_u32_e32 v8, v8, v16
	v_mul_u32_u24_e32 v15, 0xd47, v15
	v_mul_lo_u32 v8, v8, s14
	v_xor_b32_e32 v16, 0x7fffffff, v15
	v_sub_u32_e32 v18, 0, v15
	v_cmp_lt_u32_e64 s[4:5], v8, v15
	v_cndmask_b32_e64 v15, v18, v16, s[4:5]
	v_add_u32_e32 v8, v15, v8
	v_add_u32_e32 v15, -1, v17
	v_add_u32_e32 v16, 1, v17
	v_add_u32_e32 v18, -1, v8
	v_fma_f32 v19, -v15, v17, v14
	v_fma_f32 v20, -v16, v17, v14
	v_cvt_f32_u32_e32 v18, v18
	v_cmp_ge_f32_e64 s[4:5], 0, v19
	v_cvt_f32_u32_e32 v9, v9
	v_cndmask_b32_e64 v15, v17, v15, s[4:5]
	v_cmp_lt_f32_e64 s[4:5], 0, v20
	v_cndmask_b32_e64 v15, v15, v16, s[4:5]
	v_mul_f32_e32 v16, 0x37800000, v15
	v_cndmask_b32_e32 v15, v15, v16, vcc
	v_fma_f32 v16, v18, s15, 0
	v_cmp_class_f32_e32 vcc, v14, v7
	v_fma_f32 v9, v9, s15, 0
	v_cndmask_b32_e32 v14, v15, v14, vcc
	v_mul_f32_e32 v15, v16, v16
	v_add_f32_e32 v11, 1.0, v10
	v_cmp_nge_f32_e32 vcc, 1.0, v14
	v_fmac_f32_e32 v15, v9, v9
	v_cndmask_b32_e32 v10, v11, v10, vcc
	v_mul_f32_e32 v9, 0x4f800000, v15
	v_cmp_gt_f32_e32 vcc, s16, v15
	v_cndmask_b32_e32 v9, v15, v9, vcc
	v_sqrt_f32_e32 v14, v9
	s_add_i32 s10, s10, -2
	v_add_f32_e32 v11, 1.0, v10
	s_cmp_lg_u32 s10, 0
	v_add_u32_e32 v15, -1, v14
	v_add_u32_e32 v16, 1, v14
	v_fma_f32 v17, -v15, v14, v9
	v_fma_f32 v18, -v16, v14, v9
	v_cmp_ge_f32_e64 s[4:5], 0, v17
	v_cndmask_b32_e64 v14, v14, v15, s[4:5]
	v_cmp_lt_f32_e64 s[4:5], 0, v18
	v_cndmask_b32_e64 v14, v14, v16, s[4:5]
	v_mul_f32_e32 v15, 0x37800000, v14
	v_cndmask_b32_e32 v14, v14, v15, vcc
	v_cmp_class_f32_e32 vcc, v9, v7
	v_cndmask_b32_e32 v9, v14, v9, vcc
	v_cmp_nge_f32_e32 vcc, 1.0, v9
	v_cndmask_b32_e32 v10, v11, v10, vcc
	s_cbranch_scc1 .LBB29_77
; %bb.78:
	v_add_u32_e32 v6, 0x9c400, v6
	v_cmp_ne_u32_e32 vcc, 0, v6
	v_mov_b32_e32 v8, 1
	s_and_saveexec_b64 s[10:11], vcc
	s_cbranch_execz .LBB29_116
; %bb.79:
	v_mov_b32_e32 v8, 1
	v_mov_b32_e32 v7, 0
	s_mov_b64 s[16:17], 0xbc8f
	s_mov_b64 s[14:15], 0
	v_mov_b32_e32 v9, 0
	s_brev_b32 s21, -2
	s_mov_b32 s22, 0x7ffffffe
	v_mov_b32_e32 v11, 0xfffff800
	s_movk_i32 s23, 0x401
	s_branch .LBB29_81
.LBB29_80:                              ;   in Loop: Header=BB29_81 Depth=1
	s_or_b64 exec, exec, s[18:19]
	s_mul_i32 s4, s16, s17
	s_mul_hi_u32 s5, s16, s16
	s_add_i32 s5, s5, s4
	s_add_i32 s4, s5, s4
	s_mul_i32 s5, s16, s16
	s_add_u32 s16, 0x402, s23
	s_addc_u32 s17, 0, 0
	v_add_co_u32_e32 v16, vcc, s16, v11
	s_cmp_lg_u64 vcc, 0
	v_readfirstlane_b32 s18, v16
	s_addc_u32 s16, s17, 1
	s_mul_hi_u32 s19, s18, 0x80000001
	s_mul_i32 s17, s16, 0x80000001
	s_sub_i32 s19, s19, s18
	s_add_i32 s19, s19, s17
	s_mul_i32 s25, s18, 0x80000001
	s_mul_hi_u32 s17, s18, s19
	s_mul_i32 s24, s18, s19
	s_mul_hi_u32 s18, s18, s25
	s_add_u32 s18, s18, s24
	s_addc_u32 s17, 0, s17
	s_mul_hi_u32 s26, s16, s25
	s_mul_i32 s25, s16, s25
	s_add_u32 s18, s18, s25
	s_mul_hi_u32 s24, s16, s19
	s_addc_u32 s17, s17, s26
	s_addc_u32 s18, s24, 0
	s_mul_i32 s19, s16, s19
	s_add_u32 s17, s17, s19
	s_addc_u32 s18, 0, s18
	v_add_co_u32_e32 v16, vcc, s17, v16
	s_cmp_lg_u64 vcc, 0
	s_addc_u32 s16, s16, s18
	v_readfirstlane_b32 s19, v16
	s_mul_i32 s18, s5, s16
	s_mul_hi_u32 s24, s5, s19
	s_mul_hi_u32 s17, s5, s16
	s_add_u32 s18, s24, s18
	s_addc_u32 s17, 0, s17
	s_mul_hi_u32 s25, s4, s19
	s_mul_i32 s19, s4, s19
	s_add_u32 s18, s18, s19
	s_mul_hi_u32 s24, s4, s16
	s_addc_u32 s17, s17, s25
	s_addc_u32 s18, s24, 0
	s_mul_i32 s16, s4, s16
	s_add_u32 s16, s17, s16
	s_addc_u32 s17, 0, s18
	s_mul_hi_u32 s18, s16, 0x7fffffff
	s_mul_i32 s16, s16, 0x7fffffff
	s_mul_i32 s17, s17, 0x7fffffff
	v_mov_b32_e32 v16, s16
	s_add_i32 s18, s18, s17
	v_sub_co_u32_e32 v16, vcc, s5, v16
	s_cmp_lg_u64 vcc, 0
	s_subb_u32 s4, s4, s18
	v_subrev_co_u32_e32 v17, vcc, s21, v16
	s_cmp_lg_u64 vcc, 0
	s_subb_u32 s5, s4, 0
	v_subrev_co_u32_e32 v18, vcc, s21, v17
	s_cmp_lg_u64 vcc, 0
	s_subb_u32 s16, s5, 0
	v_readfirstlane_b32 s17, v17
	s_cmp_gt_u32 s17, 0x7ffffffe
	s_cselect_b32 s18, -1, 0
	s_cmp_eq_u32 s5, 0
	s_cselect_b32 s18, s18, -1
	s_cmp_lg_u32 s18, 0
	s_cselect_b32 s5, s16, s5
	v_readfirstlane_b32 s16, v18
	v_readfirstlane_b32 s18, v16
	s_cselect_b32 s16, s16, s17
	s_cmp_gt_u32 s18, 0x7ffffffe
	s_cselect_b32 s17, -1, 0
	s_cmp_eq_u32 s4, 0
	s_cselect_b32 s17, s17, -1
	v_lshrrev_b64 v[14:15], 1, v[6:7]
	s_cmp_lg_u32 s17, 0
	v_cmp_gt_u64_e32 vcc, 2, v[6:7]
	s_cselect_b32 s17, s5, s4
	s_cselect_b32 s16, s16, s18
	s_or_b64 s[14:15], vcc, s[14:15]
	v_pk_mov_b32 v[6:7], v[14:15], v[14:15] op_sel:[0,1]
	s_andn2_b64 exec, exec, s[14:15]
	s_cbranch_execz .LBB29_115
.LBB29_81:                              ; =>This Inner Loop Header: Depth=1
	v_and_b32_e32 v14, 1, v6
	v_cmp_eq_u32_e32 vcc, 1, v14
	s_and_saveexec_b64 s[18:19], vcc
	s_cbranch_execz .LBB29_80
; %bb.82:                               ;   in Loop: Header=BB29_81 Depth=1
	v_mul_lo_u32 v14, s17, v8
	v_mul_lo_u32 v15, s16, v9
	v_mad_u64_u32 v[8:9], s[4:5], s16, v8, 0
	s_add_u32 s4, 0x402, s23
	v_add3_u32 v9, v9, v15, v14
	s_addc_u32 s5, 0, 0
	v_add_co_u32_e32 v14, vcc, s4, v11
	s_cmp_lg_u64 vcc, 0
	v_readfirstlane_b32 s24, v14
	s_addc_u32 s4, s5, 1
	s_mul_hi_u32 s25, s24, 0x80000001
	s_mul_i32 s5, s4, 0x80000001
	s_sub_i32 s25, s25, s24
	s_add_i32 s25, s25, s5
	s_mul_i32 s27, s24, 0x80000001
	s_mul_hi_u32 s5, s24, s25
	s_mul_i32 s26, s24, s25
	s_mul_hi_u32 s24, s24, s27
	s_add_u32 s24, s24, s26
	s_addc_u32 s5, 0, s5
	s_mul_hi_u32 s28, s4, s27
	s_mul_i32 s27, s4, s27
	s_add_u32 s24, s24, s27
	s_mul_hi_u32 s26, s4, s25
	s_addc_u32 s5, s5, s28
	s_addc_u32 s24, s26, 0
	s_mul_i32 s25, s4, s25
	s_add_u32 s5, s5, s25
	s_addc_u32 s24, 0, s24
	v_add_co_u32_e32 v16, vcc, s5, v14
	s_cmp_lg_u64 vcc, 0
	s_addc_u32 s24, s4, s24
	v_mad_u64_u32 v[14:15], s[4:5], v8, s24, 0
	v_mul_hi_u32 v17, v8, v16
	v_add_co_u32_e32 v18, vcc, v17, v14
	v_addc_co_u32_e32 v19, vcc, 0, v15, vcc
	v_mad_u64_u32 v[16:17], s[4:5], v9, v16, 0
	v_add_co_u32_e32 v16, vcc, v18, v16
	v_mad_u64_u32 v[14:15], s[4:5], v9, s24, 0
	v_addc_co_u32_e32 v16, vcc, v19, v17, vcc
	v_addc_co_u32_e32 v15, vcc, 0, v15, vcc
	v_add_co_u32_e32 v14, vcc, v16, v14
	v_addc_co_u32_e32 v17, vcc, 0, v15, vcc
	v_mad_u64_u32 v[14:15], s[4:5], v14, s21, 0
	v_mov_b32_e32 v16, v15
	v_mad_u64_u32 v[16:17], s[4:5], v17, s21, v[16:17]
	v_sub_co_u32_e32 v8, vcc, v8, v14
	v_subb_co_u32_e32 v9, vcc, v9, v16, vcc
	v_subrev_co_u32_e32 v14, vcc, s21, v8
	v_subbrev_co_u32_e32 v15, vcc, 0, v9, vcc
	v_subrev_co_u32_e32 v16, vcc, s21, v14
	v_subbrev_co_u32_e32 v17, vcc, 0, v15, vcc
	v_cmp_lt_u32_e32 vcc, s22, v14
	v_cndmask_b32_e64 v18, 0, -1, vcc
	v_cmp_eq_u32_e32 vcc, 0, v15
	v_cndmask_b32_e32 v18, -1, v18, vcc
	v_cmp_ne_u32_e32 vcc, 0, v18
	v_cmp_lt_u32_e64 s[4:5], s22, v8
	v_cndmask_b32_e32 v15, v15, v17, vcc
	v_cndmask_b32_e64 v17, 0, -1, s[4:5]
	v_cmp_eq_u32_e64 s[4:5], 0, v9
	v_cndmask_b32_e64 v17, -1, v17, s[4:5]
	v_cmp_ne_u32_e64 s[4:5], 0, v17
	v_cndmask_b32_e32 v14, v14, v16, vcc
	v_cndmask_b32_e64 v9, v9, v15, s[4:5]
	v_cndmask_b32_e64 v8, v8, v14, s[4:5]
	s_branch .LBB29_80
.LBB29_83:
	s_or_b64 exec, exec, s[10:11]
	s_movk_i32 s4, 0x401
	s_add_u32 s4, 0x402, s4
	v_mov_b32_e32 v3, 0xfffff800
	s_addc_u32 s5, 0, 0
	v_add_co_u32_e32 v3, vcc, s4, v3
	s_cmp_lg_u64 vcc, 0
	v_readfirstlane_b32 s10, v3
	s_addc_u32 s4, s5, 1
	s_mul_hi_u32 s11, s10, 0x80000001
	s_mul_i32 s5, s4, 0x80000001
	s_sub_i32 s11, s11, s10
	s_add_i32 s11, s11, s5
	s_mul_i32 s17, s10, 0x80000001
	s_mul_hi_u32 s5, s10, s11
	s_mul_i32 s16, s10, s11
	s_mul_hi_u32 s10, s10, s17
	s_add_u32 s10, s10, s16
	s_addc_u32 s5, 0, s5
	s_mul_hi_u32 s18, s4, s17
	s_mul_i32 s17, s4, s17
	s_add_u32 s10, s10, s17
	s_mul_hi_u32 s16, s4, s11
	s_addc_u32 s5, s5, s18
	s_addc_u32 s10, s16, 0
	s_mul_i32 s11, s4, s11
	s_add_u32 s5, s5, s11
	s_addc_u32 s10, 0, s10
	v_add_co_u32_e32 v3, vcc, s5, v3
	s_cmp_lg_u64 vcc, 0
	s_addc_u32 s10, s4, s10
	v_mad_u64_u32 v[4:5], s[4:5], v10, s10, 0
	v_mul_hi_u32 v12, v10, v3
	v_add_co_u32_e32 v16, vcc, v12, v4
	v_addc_co_u32_e32 v17, vcc, 0, v5, vcc
	v_mad_u64_u32 v[12:13], s[4:5], v11, v3, 0
	v_add_co_u32_e32 v3, vcc, v16, v12
	v_mad_u64_u32 v[4:5], s[4:5], v11, s10, 0
	v_addc_co_u32_e32 v3, vcc, v17, v13, vcc
	v_addc_co_u32_e32 v5, vcc, 0, v5, vcc
	v_add_co_u32_e32 v3, vcc, v3, v4
	s_brev_b32 s10, -2
	v_addc_co_u32_e32 v13, vcc, 0, v5, vcc
	v_mad_u64_u32 v[4:5], s[4:5], v3, s10, 0
	v_mov_b32_e32 v12, v5
	v_mad_u64_u32 v[12:13], s[4:5], v13, s10, v[12:13]
	v_sub_co_u32_e32 v3, vcc, v10, v4
	v_subb_co_u32_e32 v4, vcc, v11, v12, vcc
	v_subrev_co_u32_e32 v5, vcc, 0x7fffffff, v3
	v_subbrev_co_u32_e32 v10, vcc, 0, v4, vcc
	s_mov_b32 s4, 0x7ffffffe
	v_cmp_lt_u32_e32 vcc, s4, v5
	v_cndmask_b32_e64 v11, 0, -1, vcc
	v_cmp_eq_u32_e32 vcc, 0, v10
	v_cndmask_b32_e32 v10, -1, v11, vcc
	v_add_u32_e32 v11, 0x80000001, v5
	v_cmp_ne_u32_e32 vcc, 0, v10
	v_cndmask_b32_e32 v5, v5, v11, vcc
	v_cmp_lt_u32_e32 vcc, s4, v3
	v_cndmask_b32_e64 v10, 0, -1, vcc
	v_cmp_eq_u32_e32 vcc, 0, v4
	v_cndmask_b32_e32 v4, -1, v10, vcc
	v_cmp_ne_u32_e32 vcc, 0, v4
	v_cndmask_b32_e32 v4, v3, v5, vcc
.LBB29_84:
	s_or_b64 exec, exec, s[8:9]
	s_movk_i32 s8, 0x1388
	v_mov_b32_e32 v12, 0
	s_mov_b32 s9, 0xbc8f1391
	s_mov_b32 s10, 0xbc8f
	s_brev_b32 s11, 12
	s_mov_b32 s16, 0xf800000
	v_mov_b32_e32 v3, 0x260
.LBB29_85:                              ; =>This Inner Loop Header: Depth=1
	v_mul_hi_u32 v5, v4, s9
	v_lshrrev_b32_e32 v5, 15, v5
	v_mul_u32_u24_e32 v11, 0xadc8, v5
	v_sub_u32_e32 v4, v4, v11
	v_mul_u32_u24_e32 v5, 0xd47, v5
	v_mul_lo_u32 v4, v4, s10
	v_xor_b32_e32 v11, 0x7fffffff, v5
	v_sub_u32_e32 v13, 0, v5
	v_cmp_lt_u32_e32 vcc, v4, v5
	v_cndmask_b32_e32 v5, v13, v11, vcc
	v_add_u32_e32 v4, v5, v4
	v_mul_hi_u32 v11, v4, s9
	v_lshrrev_b32_e32 v11, 15, v11
	v_mul_u32_u24_e32 v13, 0xadc8, v11
	v_add_u32_e32 v5, -1, v4
	v_sub_u32_e32 v4, v4, v13
	v_mul_u32_u24_e32 v11, 0xd47, v11
	v_mul_lo_u32 v4, v4, s10
	v_xor_b32_e32 v13, 0x7fffffff, v11
	v_sub_u32_e32 v16, 0, v11
	v_cmp_lt_u32_e32 vcc, v4, v11
	v_cndmask_b32_e32 v11, v16, v13, vcc
	v_add_u32_e32 v4, v11, v4
	v_mul_hi_u32 v13, v4, s9
	v_add_u32_e32 v11, -1, v4
	v_lshrrev_b32_e32 v13, 15, v13
	v_cvt_f32_u32_e32 v11, v11
	v_mul_u32_u24_e32 v16, 0xadc8, v13
	v_cvt_f32_u32_e32 v5, v5
	v_sub_u32_e32 v4, v4, v16
	v_mul_u32_u24_e32 v13, 0xd47, v13
	v_mul_lo_u32 v4, v4, s10
	v_xor_b32_e32 v16, 0x7fffffff, v13
	v_sub_u32_e32 v17, 0, v13
	v_cmp_lt_u32_e32 vcc, v4, v13
	v_fma_f32 v11, v11, s11, 0
	v_cndmask_b32_e32 v13, v17, v16, vcc
	v_fma_f32 v5, v5, s11, 0
	v_mul_f32_e32 v11, v11, v11
	v_add_u32_e32 v4, v13, v4
	v_fmac_f32_e32 v11, v5, v5
	v_mul_hi_u32 v13, v4, s9
	v_mul_f32_e32 v16, 0x4f800000, v11
	v_lshrrev_b32_e32 v13, 15, v13
	v_cmp_gt_f32_e32 vcc, s16, v11
	v_cndmask_b32_e32 v11, v11, v16, vcc
	v_mul_u32_u24_e32 v16, 0xadc8, v13
	v_add_u32_e32 v5, -1, v4
	v_sqrt_f32_e32 v17, v11
	v_sub_u32_e32 v4, v4, v16
	v_mul_u32_u24_e32 v13, 0xd47, v13
	v_mul_lo_u32 v4, v4, s10
	v_xor_b32_e32 v16, 0x7fffffff, v13
	v_sub_u32_e32 v18, 0, v13
	v_cmp_lt_u32_e64 s[4:5], v4, v13
	v_cndmask_b32_e64 v13, v18, v16, s[4:5]
	v_add_u32_e32 v4, v13, v4
	v_add_u32_e32 v13, -1, v17
	v_add_u32_e32 v16, 1, v17
	v_add_u32_e32 v18, -1, v4
	v_fma_f32 v19, -v13, v17, v11
	v_fma_f32 v20, -v16, v17, v11
	v_cvt_f32_u32_e32 v18, v18
	v_cmp_ge_f32_e64 s[4:5], 0, v19
	v_cvt_f32_u32_e32 v5, v5
	v_cndmask_b32_e64 v13, v17, v13, s[4:5]
	v_cmp_lt_f32_e64 s[4:5], 0, v20
	v_cndmask_b32_e64 v13, v13, v16, s[4:5]
	v_mul_f32_e32 v16, 0x37800000, v13
	v_cndmask_b32_e32 v13, v13, v16, vcc
	v_fma_f32 v16, v18, s11, 0
	v_cmp_class_f32_e32 vcc, v11, v3
	v_fma_f32 v5, v5, s11, 0
	v_cndmask_b32_e32 v11, v13, v11, vcc
	v_mul_f32_e32 v13, v16, v16
	v_add_f32_e32 v10, 1.0, v12
	v_cmp_nge_f32_e32 vcc, 1.0, v11
	v_fmac_f32_e32 v13, v5, v5
	v_cndmask_b32_e32 v10, v10, v12, vcc
	v_mul_f32_e32 v5, 0x4f800000, v13
	v_cmp_gt_f32_e32 vcc, s16, v13
	v_cndmask_b32_e32 v5, v13, v5, vcc
	v_sqrt_f32_e32 v12, v5
	s_add_i32 s8, s8, -2
	v_add_f32_e32 v11, 1.0, v10
	s_cmp_lg_u32 s8, 0
	v_add_u32_e32 v13, -1, v12
	v_add_u32_e32 v16, 1, v12
	v_fma_f32 v17, -v13, v12, v5
	v_fma_f32 v18, -v16, v12, v5
	v_cmp_ge_f32_e64 s[4:5], 0, v17
	v_cndmask_b32_e64 v12, v12, v13, s[4:5]
	v_cmp_lt_f32_e64 s[4:5], 0, v18
	v_cndmask_b32_e64 v12, v12, v16, s[4:5]
	v_mul_f32_e32 v13, 0x37800000, v12
	v_cndmask_b32_e32 v12, v12, v13, vcc
	v_cmp_class_f32_e32 vcc, v5, v3
	v_cndmask_b32_e32 v5, v12, v5, vcc
	v_cmp_nge_f32_e32 vcc, 1.0, v5
	v_cndmask_b32_e32 v12, v11, v10, vcc
	s_cbranch_scc1 .LBB29_85
; %bb.86:
	v_add_u32_e32 v4, 0x9c400, v2
	v_cmp_ne_u32_e32 vcc, 0, v4
	v_mov_b32_e32 v5, 1
	s_and_saveexec_b64 s[8:9], vcc
	s_cbranch_execz .LBB29_130
; %bb.87:
	v_mov_b32_e32 v10, 1
	v_mov_b32_e32 v5, 0
	s_mov_b64 s[16:17], 0xbc8f
	s_mov_b64 s[10:11], 0
	v_mov_b32_e32 v11, 0
	s_brev_b32 s21, -2
	s_mov_b32 s22, 0x7ffffffe
	v_mov_b32_e32 v3, 0xfffff800
	s_movk_i32 s23, 0x401
	s_branch .LBB29_89
.LBB29_88:                              ;   in Loop: Header=BB29_89 Depth=1
	s_or_b64 exec, exec, s[18:19]
	s_mul_i32 s4, s16, s17
	s_mul_hi_u32 s5, s16, s16
	s_add_i32 s5, s5, s4
	s_add_i32 s4, s5, s4
	s_mul_i32 s5, s16, s16
	s_add_u32 s16, 0x402, s23
	s_addc_u32 s17, 0, 0
	v_add_co_u32_e32 v13, vcc, s16, v3
	s_cmp_lg_u64 vcc, 0
	v_readfirstlane_b32 s18, v13
	s_addc_u32 s16, s17, 1
	s_mul_hi_u32 s19, s18, 0x80000001
	s_mul_i32 s17, s16, 0x80000001
	s_sub_i32 s19, s19, s18
	s_add_i32 s19, s19, s17
	s_mul_i32 s25, s18, 0x80000001
	s_mul_hi_u32 s17, s18, s19
	s_mul_i32 s24, s18, s19
	s_mul_hi_u32 s18, s18, s25
	s_add_u32 s18, s18, s24
	s_addc_u32 s17, 0, s17
	s_mul_hi_u32 s26, s16, s25
	s_mul_i32 s25, s16, s25
	s_add_u32 s18, s18, s25
	s_mul_hi_u32 s24, s16, s19
	s_addc_u32 s17, s17, s26
	s_addc_u32 s18, s24, 0
	s_mul_i32 s19, s16, s19
	s_add_u32 s17, s17, s19
	s_addc_u32 s18, 0, s18
	v_add_co_u32_e32 v13, vcc, s17, v13
	s_cmp_lg_u64 vcc, 0
	s_addc_u32 s16, s16, s18
	v_readfirstlane_b32 s19, v13
	s_mul_i32 s18, s5, s16
	s_mul_hi_u32 s24, s5, s19
	s_mul_hi_u32 s17, s5, s16
	s_add_u32 s18, s24, s18
	s_addc_u32 s17, 0, s17
	s_mul_hi_u32 s25, s4, s19
	s_mul_i32 s19, s4, s19
	s_add_u32 s18, s18, s19
	s_mul_hi_u32 s24, s4, s16
	s_addc_u32 s17, s17, s25
	s_addc_u32 s18, s24, 0
	s_mul_i32 s16, s4, s16
	s_add_u32 s16, s17, s16
	s_addc_u32 s17, 0, s18
	s_mul_hi_u32 s18, s16, 0x7fffffff
	s_mul_i32 s16, s16, 0x7fffffff
	s_mul_i32 s17, s17, 0x7fffffff
	v_mov_b32_e32 v13, s16
	s_add_i32 s18, s18, s17
	v_sub_co_u32_e32 v13, vcc, s5, v13
	s_cmp_lg_u64 vcc, 0
	s_subb_u32 s4, s4, s18
	v_subrev_co_u32_e32 v18, vcc, s21, v13
	s_cmp_lg_u64 vcc, 0
	s_subb_u32 s5, s4, 0
	v_subrev_co_u32_e32 v19, vcc, s21, v18
	s_cmp_lg_u64 vcc, 0
	s_subb_u32 s16, s5, 0
	v_readfirstlane_b32 s17, v18
	s_cmp_gt_u32 s17, 0x7ffffffe
	s_cselect_b32 s18, -1, 0
	s_cmp_eq_u32 s5, 0
	s_cselect_b32 s18, s18, -1
	s_cmp_lg_u32 s18, 0
	s_cselect_b32 s5, s16, s5
	v_readfirstlane_b32 s16, v19
	v_readfirstlane_b32 s18, v13
	s_cselect_b32 s16, s16, s17
	s_cmp_gt_u32 s18, 0x7ffffffe
	s_cselect_b32 s17, -1, 0
	s_cmp_eq_u32 s4, 0
	s_cselect_b32 s17, s17, -1
	v_lshrrev_b64 v[16:17], 1, v[4:5]
	s_cmp_lg_u32 s17, 0
	v_cmp_gt_u64_e32 vcc, 2, v[4:5]
	s_cselect_b32 s17, s5, s4
	s_cselect_b32 s16, s16, s18
	s_or_b64 s[10:11], vcc, s[10:11]
	v_pk_mov_b32 v[4:5], v[16:17], v[16:17] op_sel:[0,1]
	s_andn2_b64 exec, exec, s[10:11]
	s_cbranch_execz .LBB29_129
.LBB29_89:                              ; =>This Inner Loop Header: Depth=1
	v_and_b32_e32 v13, 1, v4
	v_cmp_eq_u32_e32 vcc, 1, v13
	s_and_saveexec_b64 s[18:19], vcc
	s_cbranch_execz .LBB29_88
; %bb.90:                               ;   in Loop: Header=BB29_89 Depth=1
	v_mul_lo_u32 v13, s17, v10
	v_mul_lo_u32 v16, s16, v11
	v_mad_u64_u32 v[10:11], s[4:5], s16, v10, 0
	s_add_u32 s4, 0x402, s23
	v_add3_u32 v11, v11, v16, v13
	s_addc_u32 s5, 0, 0
	v_add_co_u32_e32 v13, vcc, s4, v3
	s_cmp_lg_u64 vcc, 0
	v_readfirstlane_b32 s24, v13
	s_addc_u32 s4, s5, 1
	s_mul_hi_u32 s25, s24, 0x80000001
	s_mul_i32 s5, s4, 0x80000001
	s_sub_i32 s25, s25, s24
	s_add_i32 s25, s25, s5
	s_mul_i32 s27, s24, 0x80000001
	s_mul_hi_u32 s5, s24, s25
	s_mul_i32 s26, s24, s25
	s_mul_hi_u32 s24, s24, s27
	s_add_u32 s24, s24, s26
	s_addc_u32 s5, 0, s5
	s_mul_hi_u32 s28, s4, s27
	s_mul_i32 s27, s4, s27
	s_add_u32 s24, s24, s27
	s_mul_hi_u32 s26, s4, s25
	s_addc_u32 s5, s5, s28
	s_addc_u32 s24, s26, 0
	s_mul_i32 s25, s4, s25
	s_add_u32 s5, s5, s25
	s_addc_u32 s24, 0, s24
	v_add_co_u32_e32 v13, vcc, s5, v13
	s_cmp_lg_u64 vcc, 0
	s_addc_u32 s24, s4, s24
	v_mad_u64_u32 v[16:17], s[4:5], v10, s24, 0
	v_mul_hi_u32 v18, v10, v13
	v_add_co_u32_e32 v20, vcc, v18, v16
	v_addc_co_u32_e32 v21, vcc, 0, v17, vcc
	v_mad_u64_u32 v[18:19], s[4:5], v11, v13, 0
	v_add_co_u32_e32 v13, vcc, v20, v18
	v_mad_u64_u32 v[16:17], s[4:5], v11, s24, 0
	v_addc_co_u32_e32 v13, vcc, v21, v19, vcc
	v_addc_co_u32_e32 v17, vcc, 0, v17, vcc
	v_add_co_u32_e32 v13, vcc, v13, v16
	v_addc_co_u32_e32 v19, vcc, 0, v17, vcc
	v_mad_u64_u32 v[16:17], s[4:5], v13, s21, 0
	v_mov_b32_e32 v18, v17
	v_mad_u64_u32 v[18:19], s[4:5], v19, s21, v[18:19]
	v_sub_co_u32_e32 v10, vcc, v10, v16
	v_subb_co_u32_e32 v11, vcc, v11, v18, vcc
	v_subrev_co_u32_e32 v13, vcc, s21, v10
	v_subbrev_co_u32_e32 v16, vcc, 0, v11, vcc
	v_subrev_co_u32_e32 v17, vcc, s21, v13
	v_subbrev_co_u32_e32 v18, vcc, 0, v16, vcc
	v_cmp_lt_u32_e32 vcc, s22, v13
	v_cndmask_b32_e64 v19, 0, -1, vcc
	v_cmp_eq_u32_e32 vcc, 0, v16
	v_cndmask_b32_e32 v19, -1, v19, vcc
	v_cmp_ne_u32_e32 vcc, 0, v19
	v_cmp_lt_u32_e64 s[4:5], s22, v10
	v_cndmask_b32_e32 v16, v16, v18, vcc
	v_cndmask_b32_e64 v18, 0, -1, s[4:5]
	v_cmp_eq_u32_e64 s[4:5], 0, v11
	v_cndmask_b32_e64 v18, -1, v18, s[4:5]
	v_cmp_ne_u32_e64 s[4:5], 0, v18
	v_cndmask_b32_e32 v13, v13, v17, vcc
	v_cndmask_b32_e64 v11, v11, v16, s[4:5]
	v_cndmask_b32_e64 v10, v10, v13, s[4:5]
	s_branch .LBB29_88
.LBB29_91:
	s_or_b64 exec, exec, s[10:11]
	s_movk_i32 s4, 0x401
	s_add_u32 s4, 0x402, s4
	v_mov_b32_e32 v3, 0xfffff800
	s_addc_u32 s5, 0, 0
	v_add_co_u32_e32 v3, vcc, s4, v3
	s_cmp_lg_u64 vcc, 0
	v_readfirstlane_b32 s10, v3
	s_addc_u32 s4, s5, 1
	s_mul_hi_u32 s11, s10, 0x80000001
	s_mul_i32 s5, s4, 0x80000001
	s_sub_i32 s11, s11, s10
	s_add_i32 s11, s11, s5
	s_mul_i32 s15, s10, 0x80000001
	s_mul_hi_u32 s5, s10, s11
	s_mul_i32 s14, s10, s11
	s_mul_hi_u32 s10, s10, s15
	s_add_u32 s10, s10, s14
	s_addc_u32 s5, 0, s5
	s_mul_hi_u32 s16, s4, s15
	s_mul_i32 s15, s4, s15
	s_add_u32 s10, s10, s15
	s_mul_hi_u32 s14, s4, s11
	s_addc_u32 s5, s5, s16
	s_addc_u32 s10, s14, 0
	s_mul_i32 s11, s4, s11
	s_add_u32 s5, s5, s11
	s_addc_u32 s10, 0, s10
	v_add_co_u32_e32 v3, vcc, s5, v3
	s_cmp_lg_u64 vcc, 0
	s_addc_u32 s10, s4, s10
	v_mad_u64_u32 v[4:5], s[4:5], v6, s10, 0
	v_mul_hi_u32 v8, v6, v3
	v_add_co_u32_e32 v14, vcc, v8, v4
	v_addc_co_u32_e32 v15, vcc, 0, v5, vcc
	v_mad_u64_u32 v[8:9], s[4:5], v7, v3, 0
	v_add_co_u32_e32 v3, vcc, v14, v8
	v_mad_u64_u32 v[4:5], s[4:5], v7, s10, 0
	v_addc_co_u32_e32 v3, vcc, v15, v9, vcc
	v_addc_co_u32_e32 v5, vcc, 0, v5, vcc
	v_add_co_u32_e32 v3, vcc, v3, v4
	s_brev_b32 s10, -2
	v_addc_co_u32_e32 v9, vcc, 0, v5, vcc
	v_mad_u64_u32 v[4:5], s[4:5], v3, s10, 0
	v_mov_b32_e32 v8, v5
	v_mad_u64_u32 v[8:9], s[4:5], v9, s10, v[8:9]
	v_sub_co_u32_e32 v3, vcc, v6, v4
	v_subb_co_u32_e32 v4, vcc, v7, v8, vcc
	v_subrev_co_u32_e32 v5, vcc, 0x7fffffff, v3
	v_subbrev_co_u32_e32 v6, vcc, 0, v4, vcc
	s_mov_b32 s4, 0x7ffffffe
	v_cmp_lt_u32_e32 vcc, s4, v5
	v_cndmask_b32_e64 v7, 0, -1, vcc
	v_cmp_eq_u32_e32 vcc, 0, v6
	v_cndmask_b32_e32 v6, -1, v7, vcc
	v_add_u32_e32 v7, 0x80000001, v5
	v_cmp_ne_u32_e32 vcc, 0, v6
	v_cndmask_b32_e32 v5, v5, v7, vcc
	v_cmp_lt_u32_e32 vcc, s4, v3
	v_cndmask_b32_e64 v6, 0, -1, vcc
	v_cmp_eq_u32_e32 vcc, 0, v4
	v_cndmask_b32_e32 v4, -1, v6, vcc
	v_cmp_ne_u32_e32 vcc, 0, v4
	v_cndmask_b32_e32 v4, v3, v5, vcc
.LBB29_92:
	s_or_b64 exec, exec, s[8:9]
	s_movk_i32 s8, 0x1388
	v_mov_b32_e32 v8, 0
	s_mov_b32 s9, 0xbc8f1391
	s_mov_b32 s10, 0xbc8f
	s_brev_b32 s11, 12
	s_mov_b32 s14, 0xf800000
	v_mov_b32_e32 v3, 0x260
.LBB29_93:                              ; =>This Inner Loop Header: Depth=1
	v_mul_hi_u32 v5, v4, s9
	v_lshrrev_b32_e32 v5, 15, v5
	v_mul_u32_u24_e32 v7, 0xadc8, v5
	v_sub_u32_e32 v4, v4, v7
	v_mul_u32_u24_e32 v5, 0xd47, v5
	v_mul_lo_u32 v4, v4, s10
	v_xor_b32_e32 v7, 0x7fffffff, v5
	v_sub_u32_e32 v9, 0, v5
	v_cmp_lt_u32_e32 vcc, v4, v5
	v_cndmask_b32_e32 v5, v9, v7, vcc
	v_add_u32_e32 v4, v5, v4
	v_mul_hi_u32 v7, v4, s9
	v_lshrrev_b32_e32 v7, 15, v7
	v_mul_u32_u24_e32 v9, 0xadc8, v7
	v_add_u32_e32 v5, -1, v4
	v_sub_u32_e32 v4, v4, v9
	v_mul_u32_u24_e32 v7, 0xd47, v7
	v_mul_lo_u32 v4, v4, s10
	v_xor_b32_e32 v9, 0x7fffffff, v7
	v_sub_u32_e32 v14, 0, v7
	v_cmp_lt_u32_e32 vcc, v4, v7
	v_cndmask_b32_e32 v7, v14, v9, vcc
	v_add_u32_e32 v4, v7, v4
	v_mul_hi_u32 v9, v4, s9
	v_add_u32_e32 v7, -1, v4
	v_lshrrev_b32_e32 v9, 15, v9
	v_cvt_f32_u32_e32 v7, v7
	v_mul_u32_u24_e32 v14, 0xadc8, v9
	v_cvt_f32_u32_e32 v5, v5
	v_sub_u32_e32 v4, v4, v14
	v_mul_u32_u24_e32 v9, 0xd47, v9
	v_mul_lo_u32 v4, v4, s10
	v_xor_b32_e32 v14, 0x7fffffff, v9
	v_sub_u32_e32 v15, 0, v9
	v_cmp_lt_u32_e32 vcc, v4, v9
	v_fma_f32 v7, v7, s11, 0
	v_cndmask_b32_e32 v9, v15, v14, vcc
	v_fma_f32 v5, v5, s11, 0
	v_mul_f32_e32 v7, v7, v7
	v_add_u32_e32 v4, v9, v4
	v_fmac_f32_e32 v7, v5, v5
	v_mul_hi_u32 v9, v4, s9
	v_mul_f32_e32 v14, 0x4f800000, v7
	v_lshrrev_b32_e32 v9, 15, v9
	v_cmp_gt_f32_e32 vcc, s14, v7
	v_cndmask_b32_e32 v7, v7, v14, vcc
	v_mul_u32_u24_e32 v14, 0xadc8, v9
	v_add_u32_e32 v5, -1, v4
	v_sqrt_f32_e32 v15, v7
	v_sub_u32_e32 v4, v4, v14
	v_mul_u32_u24_e32 v9, 0xd47, v9
	v_mul_lo_u32 v4, v4, s10
	v_xor_b32_e32 v14, 0x7fffffff, v9
	v_sub_u32_e32 v16, 0, v9
	v_cmp_lt_u32_e64 s[4:5], v4, v9
	v_cndmask_b32_e64 v9, v16, v14, s[4:5]
	v_add_u32_e32 v4, v9, v4
	v_add_u32_e32 v9, -1, v15
	v_add_u32_e32 v14, 1, v15
	v_add_u32_e32 v16, -1, v4
	v_fma_f32 v17, -v9, v15, v7
	v_fma_f32 v20, -v14, v15, v7
	v_cvt_f32_u32_e32 v16, v16
	v_cmp_ge_f32_e64 s[4:5], 0, v17
	v_cvt_f32_u32_e32 v5, v5
	v_cndmask_b32_e64 v9, v15, v9, s[4:5]
	v_cmp_lt_f32_e64 s[4:5], 0, v20
	v_cndmask_b32_e64 v9, v9, v14, s[4:5]
	v_mul_f32_e32 v14, 0x37800000, v9
	v_cndmask_b32_e32 v9, v9, v14, vcc
	v_fma_f32 v14, v16, s11, 0
	v_cmp_class_f32_e32 vcc, v7, v3
	v_fma_f32 v5, v5, s11, 0
	v_cndmask_b32_e32 v7, v9, v7, vcc
	v_mul_f32_e32 v9, v14, v14
	v_add_f32_e32 v6, 1.0, v8
	v_cmp_nge_f32_e32 vcc, 1.0, v7
	v_fmac_f32_e32 v9, v5, v5
	v_cndmask_b32_e32 v6, v6, v8, vcc
	v_mul_f32_e32 v5, 0x4f800000, v9
	v_cmp_gt_f32_e32 vcc, s14, v9
	v_cndmask_b32_e32 v5, v9, v5, vcc
	v_sqrt_f32_e32 v8, v5
	s_add_i32 s8, s8, -2
	v_add_f32_e32 v7, 1.0, v6
	s_cmp_lg_u32 s8, 0
	v_add_u32_e32 v9, -1, v8
	v_add_u32_e32 v14, 1, v8
	v_fma_f32 v15, -v9, v8, v5
	v_fma_f32 v16, -v14, v8, v5
	v_cmp_ge_f32_e64 s[4:5], 0, v15
	v_cndmask_b32_e64 v8, v8, v9, s[4:5]
	v_cmp_lt_f32_e64 s[4:5], 0, v16
	v_cndmask_b32_e64 v8, v8, v14, s[4:5]
	v_mul_f32_e32 v9, 0x37800000, v8
	v_cndmask_b32_e32 v8, v8, v9, vcc
	v_cmp_class_f32_e32 vcc, v5, v3
	v_cndmask_b32_e32 v5, v8, v5, vcc
	v_cmp_nge_f32_e32 vcc, 1.0, v5
	v_cndmask_b32_e32 v8, v7, v6, vcc
	s_cbranch_scc1 .LBB29_93
; %bb.94:
	v_add_u32_e32 v4, 0x9c400, v2
	v_cmp_ne_u32_e32 vcc, 0, v4
	v_mov_b32_e32 v5, 1
	s_and_saveexec_b64 s[8:9], vcc
	s_cbranch_execz .LBB29_138
; %bb.95:
	v_mov_b32_e32 v6, 1
	v_mov_b32_e32 v5, 0
	s_mov_b64 s[14:15], 0xbc8f
	s_mov_b64 s[10:11], 0
	v_mov_b32_e32 v7, 0
	s_brev_b32 s19, -2
	s_mov_b32 s20, 0x7ffffffe
	v_mov_b32_e32 v3, 0xfffff800
	s_movk_i32 s21, 0x401
	s_branch .LBB29_97
.LBB29_96:                              ;   in Loop: Header=BB29_97 Depth=1
	s_or_b64 exec, exec, s[16:17]
	s_mul_i32 s4, s14, s15
	s_mul_hi_u32 s5, s14, s14
	s_add_i32 s5, s5, s4
	s_add_i32 s4, s5, s4
	s_mul_i32 s5, s14, s14
	s_add_u32 s14, 0x402, s21
	s_addc_u32 s15, 0, 0
	v_add_co_u32_e32 v9, vcc, s14, v3
	s_cmp_lg_u64 vcc, 0
	v_readfirstlane_b32 s16, v9
	s_addc_u32 s14, s15, 1
	s_mul_hi_u32 s17, s16, 0x80000001
	s_mul_i32 s15, s14, 0x80000001
	s_sub_i32 s17, s17, s16
	s_add_i32 s17, s17, s15
	s_mul_i32 s25, s16, 0x80000001
	s_mul_hi_u32 s15, s16, s17
	s_mul_i32 s24, s16, s17
	s_mul_hi_u32 s16, s16, s25
	s_add_u32 s16, s16, s24
	s_addc_u32 s15, 0, s15
	s_mul_hi_u32 s26, s14, s25
	s_mul_i32 s25, s14, s25
	s_add_u32 s16, s16, s25
	s_mul_hi_u32 s24, s14, s17
	s_addc_u32 s15, s15, s26
	s_addc_u32 s16, s24, 0
	s_mul_i32 s17, s14, s17
	s_add_u32 s15, s15, s17
	s_addc_u32 s16, 0, s16
	v_add_co_u32_e32 v9, vcc, s15, v9
	s_cmp_lg_u64 vcc, 0
	s_addc_u32 s14, s14, s16
	v_readfirstlane_b32 s17, v9
	s_mul_i32 s16, s5, s14
	s_mul_hi_u32 s24, s5, s17
	s_mul_hi_u32 s15, s5, s14
	s_add_u32 s16, s24, s16
	s_addc_u32 s15, 0, s15
	s_mul_hi_u32 s25, s4, s17
	s_mul_i32 s17, s4, s17
	s_add_u32 s16, s16, s17
	s_mul_hi_u32 s24, s4, s14
	s_addc_u32 s15, s15, s25
	s_addc_u32 s16, s24, 0
	s_mul_i32 s14, s4, s14
	s_add_u32 s14, s15, s14
	s_addc_u32 s15, 0, s16
	s_mul_hi_u32 s16, s14, 0x7fffffff
	s_mul_i32 s14, s14, 0x7fffffff
	s_mul_i32 s15, s15, 0x7fffffff
	v_mov_b32_e32 v9, s14
	s_add_i32 s16, s16, s15
	v_sub_co_u32_e32 v9, vcc, s5, v9
	s_cmp_lg_u64 vcc, 0
	s_subb_u32 s4, s4, s16
	v_subrev_co_u32_e32 v16, vcc, s19, v9
	s_cmp_lg_u64 vcc, 0
	s_subb_u32 s5, s4, 0
	v_subrev_co_u32_e32 v17, vcc, s19, v16
	s_cmp_lg_u64 vcc, 0
	s_subb_u32 s14, s5, 0
	v_readfirstlane_b32 s15, v16
	s_cmp_gt_u32 s15, 0x7ffffffe
	s_cselect_b32 s16, -1, 0
	s_cmp_eq_u32 s5, 0
	s_cselect_b32 s16, s16, -1
	s_cmp_lg_u32 s16, 0
	s_cselect_b32 s5, s14, s5
	v_readfirstlane_b32 s14, v17
	v_readfirstlane_b32 s16, v9
	s_cselect_b32 s14, s14, s15
	s_cmp_gt_u32 s16, 0x7ffffffe
	s_cselect_b32 s15, -1, 0
	s_cmp_eq_u32 s4, 0
	s_cselect_b32 s15, s15, -1
	v_lshrrev_b64 v[14:15], 1, v[4:5]
	s_cmp_lg_u32 s15, 0
	v_cmp_gt_u64_e32 vcc, 2, v[4:5]
	s_cselect_b32 s15, s5, s4
	s_cselect_b32 s14, s14, s16
	s_or_b64 s[10:11], vcc, s[10:11]
	v_pk_mov_b32 v[4:5], v[14:15], v[14:15] op_sel:[0,1]
	s_andn2_b64 exec, exec, s[10:11]
	s_cbranch_execz .LBB29_137
.LBB29_97:                              ; =>This Inner Loop Header: Depth=1
	v_and_b32_e32 v9, 1, v4
	v_cmp_eq_u32_e32 vcc, 1, v9
	s_and_saveexec_b64 s[16:17], vcc
	s_cbranch_execz .LBB29_96
; %bb.98:                               ;   in Loop: Header=BB29_97 Depth=1
	v_mul_lo_u32 v9, s15, v6
	v_mul_lo_u32 v14, s14, v7
	v_mad_u64_u32 v[6:7], s[4:5], s14, v6, 0
	s_add_u32 s4, 0x402, s21
	v_add3_u32 v7, v7, v14, v9
	s_addc_u32 s5, 0, 0
	v_add_co_u32_e32 v9, vcc, s4, v3
	s_cmp_lg_u64 vcc, 0
	v_readfirstlane_b32 s24, v9
	s_addc_u32 s4, s5, 1
	s_mul_hi_u32 s25, s24, 0x80000001
	s_mul_i32 s5, s4, 0x80000001
	s_sub_i32 s25, s25, s24
	s_add_i32 s25, s25, s5
	s_mul_i32 s27, s24, 0x80000001
	s_mul_hi_u32 s5, s24, s25
	s_mul_i32 s26, s24, s25
	s_mul_hi_u32 s24, s24, s27
	s_add_u32 s24, s24, s26
	s_addc_u32 s5, 0, s5
	s_mul_hi_u32 s28, s4, s27
	s_mul_i32 s27, s4, s27
	s_add_u32 s24, s24, s27
	s_mul_hi_u32 s26, s4, s25
	s_addc_u32 s5, s5, s28
	s_addc_u32 s24, s26, 0
	s_mul_i32 s25, s4, s25
	s_add_u32 s5, s5, s25
	s_addc_u32 s24, 0, s24
	v_add_co_u32_e32 v9, vcc, s5, v9
	s_cmp_lg_u64 vcc, 0
	s_addc_u32 s24, s4, s24
	v_mad_u64_u32 v[14:15], s[4:5], v6, s24, 0
	v_mul_hi_u32 v16, v6, v9
	v_add_co_u32_e32 v20, vcc, v16, v14
	v_addc_co_u32_e32 v21, vcc, 0, v15, vcc
	v_mad_u64_u32 v[16:17], s[4:5], v7, v9, 0
	v_add_co_u32_e32 v9, vcc, v20, v16
	v_mad_u64_u32 v[14:15], s[4:5], v7, s24, 0
	v_addc_co_u32_e32 v9, vcc, v21, v17, vcc
	v_addc_co_u32_e32 v15, vcc, 0, v15, vcc
	v_add_co_u32_e32 v9, vcc, v9, v14
	v_addc_co_u32_e32 v17, vcc, 0, v15, vcc
	v_mad_u64_u32 v[14:15], s[4:5], v9, s19, 0
	v_mov_b32_e32 v16, v15
	v_mad_u64_u32 v[16:17], s[4:5], v17, s19, v[16:17]
	v_sub_co_u32_e32 v6, vcc, v6, v14
	v_subb_co_u32_e32 v7, vcc, v7, v16, vcc
	v_subrev_co_u32_e32 v9, vcc, s19, v6
	v_subbrev_co_u32_e32 v14, vcc, 0, v7, vcc
	v_subrev_co_u32_e32 v15, vcc, s19, v9
	v_subbrev_co_u32_e32 v16, vcc, 0, v14, vcc
	v_cmp_lt_u32_e32 vcc, s20, v9
	v_cndmask_b32_e64 v17, 0, -1, vcc
	v_cmp_eq_u32_e32 vcc, 0, v14
	v_cndmask_b32_e32 v17, -1, v17, vcc
	v_cmp_ne_u32_e32 vcc, 0, v17
	v_cmp_lt_u32_e64 s[4:5], s20, v6
	v_cndmask_b32_e32 v14, v14, v16, vcc
	v_cndmask_b32_e64 v16, 0, -1, s[4:5]
	v_cmp_eq_u32_e64 s[4:5], 0, v7
	v_cndmask_b32_e64 v16, -1, v16, s[4:5]
	v_cmp_ne_u32_e64 s[4:5], 0, v16
	v_cndmask_b32_e32 v9, v9, v15, vcc
	v_cndmask_b32_e64 v7, v7, v14, s[4:5]
	v_cndmask_b32_e64 v6, v6, v9, s[4:5]
	s_branch .LBB29_96
.LBB29_99:
	s_or_b64 exec, exec, s[10:11]
	s_movk_i32 s4, 0x401
	s_add_u32 s4, 0x402, s4
	v_mov_b32_e32 v3, 0xfffff800
	s_addc_u32 s5, 0, 0
	v_add_co_u32_e32 v3, vcc, s4, v3
	s_cmp_lg_u64 vcc, 0
	v_readfirstlane_b32 s10, v3
	s_addc_u32 s4, s5, 1
	s_mul_hi_u32 s11, s10, 0x80000001
	s_mul_i32 s5, s4, 0x80000001
	s_sub_i32 s11, s11, s10
	s_add_i32 s11, s11, s5
	s_mul_i32 s15, s10, 0x80000001
	s_mul_hi_u32 s5, s10, s11
	s_mul_i32 s14, s10, s11
	s_mul_hi_u32 s10, s10, s15
	s_add_u32 s10, s10, s14
	s_addc_u32 s5, 0, s5
	s_mul_hi_u32 s16, s4, s15
	s_mul_i32 s15, s4, s15
	s_add_u32 s10, s10, s15
	s_mul_hi_u32 s14, s4, s11
	s_addc_u32 s5, s5, s16
	s_addc_u32 s10, s14, 0
	s_mul_i32 s11, s4, s11
	s_add_u32 s5, s5, s11
	s_addc_u32 s10, 0, s10
	v_add_co_u32_e32 v3, vcc, s5, v3
	s_cmp_lg_u64 vcc, 0
	s_addc_u32 s10, s4, s10
	v_mad_u64_u32 v[4:5], s[4:5], v6, s10, 0
	v_mul_hi_u32 v8, v6, v3
	v_add_co_u32_e32 v10, vcc, v8, v4
	v_addc_co_u32_e32 v11, vcc, 0, v5, vcc
	v_mad_u64_u32 v[8:9], s[4:5], v7, v3, 0
	v_add_co_u32_e32 v3, vcc, v10, v8
	v_mad_u64_u32 v[4:5], s[4:5], v7, s10, 0
	v_addc_co_u32_e32 v3, vcc, v11, v9, vcc
	v_addc_co_u32_e32 v5, vcc, 0, v5, vcc
	v_add_co_u32_e32 v3, vcc, v3, v4
	s_brev_b32 s10, -2
	v_addc_co_u32_e32 v9, vcc, 0, v5, vcc
	v_mad_u64_u32 v[4:5], s[4:5], v3, s10, 0
	v_mov_b32_e32 v8, v5
	v_mad_u64_u32 v[8:9], s[4:5], v9, s10, v[8:9]
	v_sub_co_u32_e32 v3, vcc, v6, v4
	v_subb_co_u32_e32 v4, vcc, v7, v8, vcc
	v_subrev_co_u32_e32 v5, vcc, 0x7fffffff, v3
	v_subbrev_co_u32_e32 v6, vcc, 0, v4, vcc
	s_mov_b32 s4, 0x7ffffffe
	v_cmp_lt_u32_e32 vcc, s4, v5
	v_cndmask_b32_e64 v7, 0, -1, vcc
	v_cmp_eq_u32_e32 vcc, 0, v6
	v_cndmask_b32_e32 v6, -1, v7, vcc
	v_add_u32_e32 v7, 0x80000001, v5
	v_cmp_ne_u32_e32 vcc, 0, v6
	v_cndmask_b32_e32 v5, v5, v7, vcc
	v_cmp_lt_u32_e32 vcc, s4, v3
	v_cndmask_b32_e64 v6, 0, -1, vcc
	v_cmp_eq_u32_e32 vcc, 0, v4
	v_cndmask_b32_e32 v4, -1, v6, vcc
	v_cmp_ne_u32_e32 vcc, 0, v4
	v_cndmask_b32_e32 v4, v3, v5, vcc
.LBB29_100:
	s_or_b64 exec, exec, s[8:9]
	s_movk_i32 s8, 0x1388
	v_mov_b32_e32 v8, 0
	s_mov_b32 s9, 0xbc8f1391
	s_mov_b32 s10, 0xbc8f
	s_brev_b32 s11, 12
	s_mov_b32 s14, 0xf800000
	v_mov_b32_e32 v3, 0x260
.LBB29_101:                             ; =>This Inner Loop Header: Depth=1
	v_mul_hi_u32 v5, v4, s9
	v_lshrrev_b32_e32 v5, 15, v5
	v_mul_u32_u24_e32 v7, 0xadc8, v5
	v_sub_u32_e32 v4, v4, v7
	v_mul_u32_u24_e32 v5, 0xd47, v5
	v_mul_lo_u32 v4, v4, s10
	v_xor_b32_e32 v7, 0x7fffffff, v5
	v_sub_u32_e32 v9, 0, v5
	v_cmp_lt_u32_e32 vcc, v4, v5
	v_cndmask_b32_e32 v5, v9, v7, vcc
	v_add_u32_e32 v4, v5, v4
	v_mul_hi_u32 v7, v4, s9
	v_lshrrev_b32_e32 v7, 15, v7
	v_mul_u32_u24_e32 v9, 0xadc8, v7
	v_add_u32_e32 v5, -1, v4
	v_sub_u32_e32 v4, v4, v9
	v_mul_u32_u24_e32 v7, 0xd47, v7
	v_mul_lo_u32 v4, v4, s10
	v_xor_b32_e32 v9, 0x7fffffff, v7
	v_sub_u32_e32 v10, 0, v7
	v_cmp_lt_u32_e32 vcc, v4, v7
	v_cndmask_b32_e32 v7, v10, v9, vcc
	v_add_u32_e32 v4, v7, v4
	v_mul_hi_u32 v9, v4, s9
	v_add_u32_e32 v7, -1, v4
	v_lshrrev_b32_e32 v9, 15, v9
	v_cvt_f32_u32_e32 v7, v7
	v_mul_u32_u24_e32 v10, 0xadc8, v9
	v_cvt_f32_u32_e32 v5, v5
	v_sub_u32_e32 v4, v4, v10
	v_mul_u32_u24_e32 v9, 0xd47, v9
	v_mul_lo_u32 v4, v4, s10
	v_xor_b32_e32 v10, 0x7fffffff, v9
	v_sub_u32_e32 v11, 0, v9
	v_cmp_lt_u32_e32 vcc, v4, v9
	v_fma_f32 v7, v7, s11, 0
	v_cndmask_b32_e32 v9, v11, v10, vcc
	v_fma_f32 v5, v5, s11, 0
	v_mul_f32_e32 v7, v7, v7
	v_add_u32_e32 v4, v9, v4
	v_fmac_f32_e32 v7, v5, v5
	v_mul_hi_u32 v9, v4, s9
	v_mul_f32_e32 v10, 0x4f800000, v7
	v_lshrrev_b32_e32 v9, 15, v9
	v_cmp_gt_f32_e32 vcc, s14, v7
	v_cndmask_b32_e32 v7, v7, v10, vcc
	v_mul_u32_u24_e32 v10, 0xadc8, v9
	v_add_u32_e32 v5, -1, v4
	v_sqrt_f32_e32 v11, v7
	v_sub_u32_e32 v4, v4, v10
	v_mul_u32_u24_e32 v9, 0xd47, v9
	v_mul_lo_u32 v4, v4, s10
	v_xor_b32_e32 v10, 0x7fffffff, v9
	v_sub_u32_e32 v12, 0, v9
	v_cmp_lt_u32_e64 s[4:5], v4, v9
	v_cndmask_b32_e64 v9, v12, v10, s[4:5]
	v_add_u32_e32 v4, v9, v4
	v_add_u32_e32 v9, -1, v11
	v_add_u32_e32 v10, 1, v11
	v_add_u32_e32 v12, -1, v4
	v_fma_f32 v13, -v9, v11, v7
	v_fma_f32 v14, -v10, v11, v7
	v_cvt_f32_u32_e32 v12, v12
	v_cmp_ge_f32_e64 s[4:5], 0, v13
	v_cvt_f32_u32_e32 v5, v5
	v_cndmask_b32_e64 v9, v11, v9, s[4:5]
	v_cmp_lt_f32_e64 s[4:5], 0, v14
	v_cndmask_b32_e64 v9, v9, v10, s[4:5]
	v_mul_f32_e32 v10, 0x37800000, v9
	v_cndmask_b32_e32 v9, v9, v10, vcc
	v_fma_f32 v10, v12, s11, 0
	v_cmp_class_f32_e32 vcc, v7, v3
	v_fma_f32 v5, v5, s11, 0
	v_cndmask_b32_e32 v7, v9, v7, vcc
	v_mul_f32_e32 v9, v10, v10
	v_add_f32_e32 v6, 1.0, v8
	v_cmp_nge_f32_e32 vcc, 1.0, v7
	v_fmac_f32_e32 v9, v5, v5
	v_cndmask_b32_e32 v6, v6, v8, vcc
	v_mul_f32_e32 v5, 0x4f800000, v9
	v_cmp_gt_f32_e32 vcc, s14, v9
	v_cndmask_b32_e32 v5, v9, v5, vcc
	v_sqrt_f32_e32 v8, v5
	s_add_i32 s8, s8, -2
	v_add_f32_e32 v7, 1.0, v6
	s_cmp_lg_u32 s8, 0
	v_add_u32_e32 v9, -1, v8
	v_add_u32_e32 v10, 1, v8
	v_fma_f32 v11, -v9, v8, v5
	v_fma_f32 v12, -v10, v8, v5
	v_cmp_ge_f32_e64 s[4:5], 0, v11
	v_cndmask_b32_e64 v8, v8, v9, s[4:5]
	v_cmp_lt_f32_e64 s[4:5], 0, v12
	v_cndmask_b32_e64 v8, v8, v10, s[4:5]
	v_mul_f32_e32 v9, 0x37800000, v8
	v_cndmask_b32_e32 v8, v8, v9, vcc
	v_cmp_class_f32_e32 vcc, v5, v3
	v_cndmask_b32_e32 v5, v8, v5, vcc
	v_cmp_nge_f32_e32 vcc, 1.0, v5
	v_cndmask_b32_e32 v8, v7, v6, vcc
	s_cbranch_scc1 .LBB29_101
; %bb.102:
	v_add_u32_e32 v4, 0x9c400, v2
	v_cmp_ne_u32_e32 vcc, 0, v4
	v_mov_b32_e32 v5, 1
	s_and_saveexec_b64 s[8:9], vcc
	s_cbranch_execz .LBB29_146
; %bb.103:
	v_mov_b32_e32 v6, 1
	v_mov_b32_e32 v5, 0
	s_mov_b64 s[14:15], 0xbc8f
	s_mov_b64 s[10:11], 0
	v_mov_b32_e32 v7, 0
	s_brev_b32 s19, -2
	s_mov_b32 s20, 0x7ffffffe
	v_mov_b32_e32 v3, 0xfffff800
	s_movk_i32 s21, 0x401
	s_branch .LBB29_105
.LBB29_104:                             ;   in Loop: Header=BB29_105 Depth=1
	s_or_b64 exec, exec, s[16:17]
	s_mul_i32 s4, s14, s15
	s_mul_hi_u32 s5, s14, s14
	s_add_i32 s5, s5, s4
	s_add_i32 s4, s5, s4
	s_mul_i32 s5, s14, s14
	s_add_u32 s14, 0x402, s21
	s_addc_u32 s15, 0, 0
	v_add_co_u32_e32 v9, vcc, s14, v3
	s_cmp_lg_u64 vcc, 0
	v_readfirstlane_b32 s16, v9
	s_addc_u32 s14, s15, 1
	s_mul_hi_u32 s17, s16, 0x80000001
	s_mul_i32 s15, s14, 0x80000001
	s_sub_i32 s17, s17, s16
	s_add_i32 s17, s17, s15
	s_mul_i32 s23, s16, 0x80000001
	s_mul_hi_u32 s15, s16, s17
	s_mul_i32 s22, s16, s17
	s_mul_hi_u32 s16, s16, s23
	s_add_u32 s16, s16, s22
	s_addc_u32 s15, 0, s15
	s_mul_hi_u32 s24, s14, s23
	s_mul_i32 s23, s14, s23
	s_add_u32 s16, s16, s23
	s_mul_hi_u32 s22, s14, s17
	s_addc_u32 s15, s15, s24
	s_addc_u32 s16, s22, 0
	s_mul_i32 s17, s14, s17
	s_add_u32 s15, s15, s17
	s_addc_u32 s16, 0, s16
	v_add_co_u32_e32 v9, vcc, s15, v9
	s_cmp_lg_u64 vcc, 0
	s_addc_u32 s14, s14, s16
	v_readfirstlane_b32 s17, v9
	s_mul_i32 s16, s5, s14
	s_mul_hi_u32 s22, s5, s17
	s_mul_hi_u32 s15, s5, s14
	s_add_u32 s16, s22, s16
	s_addc_u32 s15, 0, s15
	s_mul_hi_u32 s23, s4, s17
	s_mul_i32 s17, s4, s17
	s_add_u32 s16, s16, s17
	s_mul_hi_u32 s22, s4, s14
	s_addc_u32 s15, s15, s23
	s_addc_u32 s16, s22, 0
	s_mul_i32 s14, s4, s14
	s_add_u32 s14, s15, s14
	s_addc_u32 s15, 0, s16
	s_mul_hi_u32 s16, s14, 0x7fffffff
	s_mul_i32 s14, s14, 0x7fffffff
	s_mul_i32 s15, s15, 0x7fffffff
	v_mov_b32_e32 v9, s14
	s_add_i32 s16, s16, s15
	v_sub_co_u32_e32 v9, vcc, s5, v9
	s_cmp_lg_u64 vcc, 0
	s_subb_u32 s4, s4, s16
	v_subrev_co_u32_e32 v12, vcc, s19, v9
	s_cmp_lg_u64 vcc, 0
	s_subb_u32 s5, s4, 0
	v_subrev_co_u32_e32 v13, vcc, s19, v12
	s_cmp_lg_u64 vcc, 0
	s_subb_u32 s14, s5, 0
	v_readfirstlane_b32 s15, v12
	s_cmp_gt_u32 s15, 0x7ffffffe
	s_cselect_b32 s16, -1, 0
	s_cmp_eq_u32 s5, 0
	s_cselect_b32 s16, s16, -1
	s_cmp_lg_u32 s16, 0
	s_cselect_b32 s5, s14, s5
	v_readfirstlane_b32 s14, v13
	v_readfirstlane_b32 s16, v9
	s_cselect_b32 s14, s14, s15
	s_cmp_gt_u32 s16, 0x7ffffffe
	s_cselect_b32 s15, -1, 0
	s_cmp_eq_u32 s4, 0
	s_cselect_b32 s15, s15, -1
	v_lshrrev_b64 v[10:11], 1, v[4:5]
	s_cmp_lg_u32 s15, 0
	v_cmp_gt_u64_e32 vcc, 2, v[4:5]
	s_cselect_b32 s15, s5, s4
	s_cselect_b32 s14, s14, s16
	s_or_b64 s[10:11], vcc, s[10:11]
	v_pk_mov_b32 v[4:5], v[10:11], v[10:11] op_sel:[0,1]
	s_andn2_b64 exec, exec, s[10:11]
	s_cbranch_execz .LBB29_145
.LBB29_105:                             ; =>This Inner Loop Header: Depth=1
	v_and_b32_e32 v9, 1, v4
	v_cmp_eq_u32_e32 vcc, 1, v9
	s_and_saveexec_b64 s[16:17], vcc
	s_cbranch_execz .LBB29_104
; %bb.106:                              ;   in Loop: Header=BB29_105 Depth=1
	v_mul_lo_u32 v9, s15, v6
	v_mul_lo_u32 v10, s14, v7
	v_mad_u64_u32 v[6:7], s[4:5], s14, v6, 0
	s_add_u32 s4, 0x402, s21
	v_add3_u32 v7, v7, v10, v9
	s_addc_u32 s5, 0, 0
	v_add_co_u32_e32 v9, vcc, s4, v3
	s_cmp_lg_u64 vcc, 0
	v_readfirstlane_b32 s22, v9
	s_addc_u32 s4, s5, 1
	s_mul_hi_u32 s23, s22, 0x80000001
	s_mul_i32 s5, s4, 0x80000001
	s_sub_i32 s23, s23, s22
	s_add_i32 s23, s23, s5
	s_mul_i32 s25, s22, 0x80000001
	s_mul_hi_u32 s5, s22, s23
	s_mul_i32 s24, s22, s23
	s_mul_hi_u32 s22, s22, s25
	s_add_u32 s22, s22, s24
	s_addc_u32 s5, 0, s5
	s_mul_hi_u32 s26, s4, s25
	s_mul_i32 s25, s4, s25
	s_add_u32 s22, s22, s25
	s_mul_hi_u32 s24, s4, s23
	s_addc_u32 s5, s5, s26
	s_addc_u32 s22, s24, 0
	s_mul_i32 s23, s4, s23
	s_add_u32 s5, s5, s23
	s_addc_u32 s22, 0, s22
	v_add_co_u32_e32 v9, vcc, s5, v9
	s_cmp_lg_u64 vcc, 0
	s_addc_u32 s22, s4, s22
	v_mad_u64_u32 v[10:11], s[4:5], v6, s22, 0
	v_mul_hi_u32 v12, v6, v9
	v_add_co_u32_e32 v14, vcc, v12, v10
	v_addc_co_u32_e32 v15, vcc, 0, v11, vcc
	v_mad_u64_u32 v[12:13], s[4:5], v7, v9, 0
	v_add_co_u32_e32 v9, vcc, v14, v12
	v_mad_u64_u32 v[10:11], s[4:5], v7, s22, 0
	v_addc_co_u32_e32 v9, vcc, v15, v13, vcc
	v_addc_co_u32_e32 v11, vcc, 0, v11, vcc
	v_add_co_u32_e32 v9, vcc, v9, v10
	v_addc_co_u32_e32 v13, vcc, 0, v11, vcc
	v_mad_u64_u32 v[10:11], s[4:5], v9, s19, 0
	v_mov_b32_e32 v12, v11
	v_mad_u64_u32 v[12:13], s[4:5], v13, s19, v[12:13]
	v_sub_co_u32_e32 v6, vcc, v6, v10
	v_subb_co_u32_e32 v7, vcc, v7, v12, vcc
	v_subrev_co_u32_e32 v9, vcc, s19, v6
	v_subbrev_co_u32_e32 v10, vcc, 0, v7, vcc
	v_subrev_co_u32_e32 v11, vcc, s19, v9
	v_subbrev_co_u32_e32 v12, vcc, 0, v10, vcc
	v_cmp_lt_u32_e32 vcc, s20, v9
	v_cndmask_b32_e64 v13, 0, -1, vcc
	v_cmp_eq_u32_e32 vcc, 0, v10
	v_cndmask_b32_e32 v13, -1, v13, vcc
	v_cmp_ne_u32_e32 vcc, 0, v13
	v_cmp_lt_u32_e64 s[4:5], s20, v6
	v_cndmask_b32_e32 v10, v10, v12, vcc
	v_cndmask_b32_e64 v12, 0, -1, s[4:5]
	v_cmp_eq_u32_e64 s[4:5], 0, v7
	v_cndmask_b32_e64 v12, -1, v12, s[4:5]
	v_cmp_ne_u32_e64 s[4:5], 0, v12
	v_cndmask_b32_e32 v9, v9, v11, vcc
	v_cndmask_b32_e64 v7, v7, v10, s[4:5]
	v_cndmask_b32_e64 v6, v6, v9, s[4:5]
	s_branch .LBB29_104
.LBB29_107:
	s_or_b64 exec, exec, s[10:11]
	s_movk_i32 s4, 0x401
	s_add_u32 s4, 0x402, s4
	v_mov_b32_e32 v5, 0xfffff800
	s_addc_u32 s5, 0, 0
	v_add_co_u32_e32 v5, vcc, s4, v5
	s_cmp_lg_u64 vcc, 0
	v_readfirstlane_b32 s10, v5
	s_addc_u32 s4, s5, 1
	s_mul_hi_u32 s11, s10, 0x80000001
	s_mul_i32 s5, s4, 0x80000001
	s_sub_i32 s11, s11, s10
	s_add_i32 s11, s11, s5
	s_mul_i32 s15, s10, 0x80000001
	s_mul_hi_u32 s5, s10, s11
	s_mul_i32 s14, s10, s11
	s_mul_hi_u32 s10, s10, s15
	s_add_u32 s10, s10, s14
	s_addc_u32 s5, 0, s5
	s_mul_hi_u32 s16, s4, s15
	s_mul_i32 s15, s4, s15
	s_add_u32 s10, s10, s15
	s_mul_hi_u32 s14, s4, s11
	s_addc_u32 s5, s5, s16
	s_addc_u32 s10, s14, 0
	s_mul_i32 s11, s4, s11
	s_add_u32 s5, s5, s11
	s_addc_u32 s10, 0, s10
	v_add_co_u32_e32 v5, vcc, s5, v5
	s_cmp_lg_u64 vcc, 0
	s_addc_u32 s10, s4, s10
	v_mad_u64_u32 v[6:7], s[4:5], v8, s10, 0
	v_mul_hi_u32 v12, v8, v5
	v_add_co_u32_e32 v14, vcc, v12, v6
	v_addc_co_u32_e32 v15, vcc, 0, v7, vcc
	v_mad_u64_u32 v[12:13], s[4:5], v9, v5, 0
	v_add_co_u32_e32 v5, vcc, v14, v12
	v_mad_u64_u32 v[6:7], s[4:5], v9, s10, 0
	v_addc_co_u32_e32 v5, vcc, v15, v13, vcc
	v_addc_co_u32_e32 v7, vcc, 0, v7, vcc
	v_add_co_u32_e32 v5, vcc, v5, v6
	s_brev_b32 s10, -2
	v_addc_co_u32_e32 v13, vcc, 0, v7, vcc
	v_mad_u64_u32 v[6:7], s[4:5], v5, s10, 0
	v_mov_b32_e32 v12, v7
	v_mad_u64_u32 v[12:13], s[4:5], v13, s10, v[12:13]
	v_sub_co_u32_e32 v5, vcc, v8, v6
	v_subb_co_u32_e32 v6, vcc, v9, v12, vcc
	v_subrev_co_u32_e32 v7, vcc, 0x7fffffff, v5
	v_subbrev_co_u32_e32 v8, vcc, 0, v6, vcc
	s_mov_b32 s4, 0x7ffffffe
	v_cmp_lt_u32_e32 vcc, s4, v7
	v_cndmask_b32_e64 v9, 0, -1, vcc
	v_cmp_eq_u32_e32 vcc, 0, v8
	v_cndmask_b32_e32 v8, -1, v9, vcc
	v_add_u32_e32 v9, 0x80000001, v7
	v_cmp_ne_u32_e32 vcc, 0, v8
	v_cndmask_b32_e32 v7, v7, v9, vcc
	v_cmp_lt_u32_e32 vcc, s4, v5
	v_cndmask_b32_e64 v8, 0, -1, vcc
	v_cmp_eq_u32_e32 vcc, 0, v6
	v_cndmask_b32_e32 v6, -1, v8, vcc
	v_cmp_ne_u32_e32 vcc, 0, v6
	v_cndmask_b32_e32 v6, v5, v7, vcc
.LBB29_108:
	s_or_b64 exec, exec, s[8:9]
	s_movk_i32 s8, 0x1388
	v_mov_b32_e32 v12, 0
	s_mov_b32 s9, 0xbc8f1391
	s_mov_b32 s10, 0xbc8f
	s_brev_b32 s11, 12
	s_mov_b32 s14, 0xf800000
	v_mov_b32_e32 v5, 0x260
.LBB29_109:                             ; =>This Inner Loop Header: Depth=1
	v_mul_hi_u32 v7, v6, s9
	v_lshrrev_b32_e32 v7, 15, v7
	v_mul_u32_u24_e32 v9, 0xadc8, v7
	v_sub_u32_e32 v6, v6, v9
	v_mul_u32_u24_e32 v7, 0xd47, v7
	v_mul_lo_u32 v6, v6, s10
	v_xor_b32_e32 v9, 0x7fffffff, v7
	v_sub_u32_e32 v13, 0, v7
	v_cmp_lt_u32_e32 vcc, v6, v7
	v_cndmask_b32_e32 v7, v13, v9, vcc
	v_add_u32_e32 v6, v7, v6
	v_mul_hi_u32 v9, v6, s9
	v_lshrrev_b32_e32 v9, 15, v9
	v_mul_u32_u24_e32 v13, 0xadc8, v9
	v_add_u32_e32 v7, -1, v6
	v_sub_u32_e32 v6, v6, v13
	v_mul_u32_u24_e32 v9, 0xd47, v9
	v_mul_lo_u32 v6, v6, s10
	v_xor_b32_e32 v13, 0x7fffffff, v9
	v_sub_u32_e32 v14, 0, v9
	v_cmp_lt_u32_e32 vcc, v6, v9
	v_cndmask_b32_e32 v9, v14, v13, vcc
	v_add_u32_e32 v6, v9, v6
	v_mul_hi_u32 v13, v6, s9
	v_add_u32_e32 v9, -1, v6
	v_lshrrev_b32_e32 v13, 15, v13
	v_cvt_f32_u32_e32 v9, v9
	v_mul_u32_u24_e32 v14, 0xadc8, v13
	v_cvt_f32_u32_e32 v7, v7
	v_sub_u32_e32 v6, v6, v14
	v_mul_u32_u24_e32 v13, 0xd47, v13
	v_mul_lo_u32 v6, v6, s10
	v_xor_b32_e32 v14, 0x7fffffff, v13
	v_sub_u32_e32 v15, 0, v13
	v_cmp_lt_u32_e32 vcc, v6, v13
	v_fma_f32 v9, v9, s11, 0
	v_cndmask_b32_e32 v13, v15, v14, vcc
	v_fma_f32 v7, v7, s11, 0
	v_mul_f32_e32 v9, v9, v9
	v_add_u32_e32 v6, v13, v6
	v_fmac_f32_e32 v9, v7, v7
	v_mul_hi_u32 v13, v6, s9
	v_mul_f32_e32 v14, 0x4f800000, v9
	v_lshrrev_b32_e32 v13, 15, v13
	v_cmp_gt_f32_e32 vcc, s14, v9
	v_cndmask_b32_e32 v9, v9, v14, vcc
	v_mul_u32_u24_e32 v14, 0xadc8, v13
	v_add_u32_e32 v7, -1, v6
	v_sqrt_f32_e32 v15, v9
	v_sub_u32_e32 v6, v6, v14
	v_mul_u32_u24_e32 v13, 0xd47, v13
	v_mul_lo_u32 v6, v6, s10
	v_xor_b32_e32 v14, 0x7fffffff, v13
	v_sub_u32_e32 v16, 0, v13
	v_cmp_lt_u32_e64 s[4:5], v6, v13
	v_cndmask_b32_e64 v13, v16, v14, s[4:5]
	v_add_u32_e32 v6, v13, v6
	v_add_u32_e32 v13, -1, v15
	v_add_u32_e32 v14, 1, v15
	v_add_u32_e32 v16, -1, v6
	v_fma_f32 v17, -v13, v15, v9
	v_fma_f32 v18, -v14, v15, v9
	v_cvt_f32_u32_e32 v16, v16
	v_cmp_ge_f32_e64 s[4:5], 0, v17
	v_cvt_f32_u32_e32 v7, v7
	v_cndmask_b32_e64 v13, v15, v13, s[4:5]
	v_cmp_lt_f32_e64 s[4:5], 0, v18
	v_cndmask_b32_e64 v13, v13, v14, s[4:5]
	v_mul_f32_e32 v14, 0x37800000, v13
	v_cndmask_b32_e32 v13, v13, v14, vcc
	v_fma_f32 v14, v16, s11, 0
	v_cmp_class_f32_e32 vcc, v9, v5
	v_fma_f32 v7, v7, s11, 0
	v_cndmask_b32_e32 v9, v13, v9, vcc
	v_mul_f32_e32 v13, v14, v14
	v_add_f32_e32 v8, 1.0, v12
	v_cmp_nge_f32_e32 vcc, 1.0, v9
	v_fmac_f32_e32 v13, v7, v7
	v_cndmask_b32_e32 v8, v8, v12, vcc
	v_mul_f32_e32 v7, 0x4f800000, v13
	v_cmp_gt_f32_e32 vcc, s14, v13
	v_cndmask_b32_e32 v7, v13, v7, vcc
	v_sqrt_f32_e32 v12, v7
	s_add_i32 s8, s8, -2
	v_add_f32_e32 v9, 1.0, v8
	s_cmp_lg_u32 s8, 0
	v_add_u32_e32 v13, -1, v12
	v_add_u32_e32 v14, 1, v12
	v_fma_f32 v15, -v13, v12, v7
	v_fma_f32 v16, -v14, v12, v7
	v_cmp_ge_f32_e64 s[4:5], 0, v15
	v_cndmask_b32_e64 v12, v12, v13, s[4:5]
	v_cmp_lt_f32_e64 s[4:5], 0, v16
	v_cndmask_b32_e64 v12, v12, v14, s[4:5]
	v_mul_f32_e32 v13, 0x37800000, v12
	v_cndmask_b32_e32 v12, v12, v13, vcc
	v_cmp_class_f32_e32 vcc, v7, v5
	v_cndmask_b32_e32 v7, v12, v7, vcc
	v_cmp_nge_f32_e32 vcc, 1.0, v7
	v_cndmask_b32_e32 v12, v9, v8, vcc
	s_cbranch_scc1 .LBB29_109
; %bb.110:
	v_add_u32_e32 v6, 0x9c400, v4
	v_cmp_ne_u32_e32 vcc, 0, v6
	v_mov_b32_e32 v7, 1
	s_and_saveexec_b64 s[8:9], vcc
	s_cbranch_execz .LBB29_154
; %bb.111:
	v_mov_b32_e32 v8, 1
	v_mov_b32_e32 v7, 0
	s_mov_b64 s[14:15], 0xbc8f
	s_mov_b64 s[10:11], 0
	v_mov_b32_e32 v9, 0
	s_brev_b32 s19, -2
	s_mov_b32 s20, 0x7ffffffe
	v_mov_b32_e32 v5, 0xfffff800
	s_movk_i32 s21, 0x401
	s_branch .LBB29_113
.LBB29_112:                             ;   in Loop: Header=BB29_113 Depth=1
	s_or_b64 exec, exec, s[16:17]
	s_mul_i32 s4, s14, s15
	s_mul_hi_u32 s5, s14, s14
	s_add_i32 s5, s5, s4
	s_add_i32 s4, s5, s4
	s_mul_i32 s5, s14, s14
	s_add_u32 s14, 0x402, s21
	s_addc_u32 s15, 0, 0
	v_add_co_u32_e32 v13, vcc, s14, v5
	s_cmp_lg_u64 vcc, 0
	v_readfirstlane_b32 s16, v13
	s_addc_u32 s14, s15, 1
	s_mul_hi_u32 s17, s16, 0x80000001
	s_mul_i32 s15, s14, 0x80000001
	s_sub_i32 s17, s17, s16
	s_add_i32 s17, s17, s15
	s_mul_i32 s23, s16, 0x80000001
	s_mul_hi_u32 s15, s16, s17
	s_mul_i32 s22, s16, s17
	s_mul_hi_u32 s16, s16, s23
	s_add_u32 s16, s16, s22
	s_addc_u32 s15, 0, s15
	s_mul_hi_u32 s24, s14, s23
	s_mul_i32 s23, s14, s23
	s_add_u32 s16, s16, s23
	s_mul_hi_u32 s22, s14, s17
	s_addc_u32 s15, s15, s24
	s_addc_u32 s16, s22, 0
	s_mul_i32 s17, s14, s17
	s_add_u32 s15, s15, s17
	s_addc_u32 s16, 0, s16
	v_add_co_u32_e32 v13, vcc, s15, v13
	s_cmp_lg_u64 vcc, 0
	s_addc_u32 s14, s14, s16
	v_readfirstlane_b32 s17, v13
	s_mul_i32 s16, s5, s14
	s_mul_hi_u32 s22, s5, s17
	s_mul_hi_u32 s15, s5, s14
	s_add_u32 s16, s22, s16
	s_addc_u32 s15, 0, s15
	s_mul_hi_u32 s23, s4, s17
	s_mul_i32 s17, s4, s17
	s_add_u32 s16, s16, s17
	s_mul_hi_u32 s22, s4, s14
	s_addc_u32 s15, s15, s23
	s_addc_u32 s16, s22, 0
	s_mul_i32 s14, s4, s14
	s_add_u32 s14, s15, s14
	s_addc_u32 s15, 0, s16
	s_mul_hi_u32 s16, s14, 0x7fffffff
	s_mul_i32 s14, s14, 0x7fffffff
	s_mul_i32 s15, s15, 0x7fffffff
	v_mov_b32_e32 v13, s14
	s_add_i32 s16, s16, s15
	v_sub_co_u32_e32 v13, vcc, s5, v13
	s_cmp_lg_u64 vcc, 0
	s_subb_u32 s4, s4, s16
	v_subrev_co_u32_e32 v16, vcc, s19, v13
	s_cmp_lg_u64 vcc, 0
	s_subb_u32 s5, s4, 0
	v_subrev_co_u32_e32 v17, vcc, s19, v16
	s_cmp_lg_u64 vcc, 0
	s_subb_u32 s14, s5, 0
	v_readfirstlane_b32 s15, v16
	s_cmp_gt_u32 s15, 0x7ffffffe
	s_cselect_b32 s16, -1, 0
	s_cmp_eq_u32 s5, 0
	s_cselect_b32 s16, s16, -1
	s_cmp_lg_u32 s16, 0
	s_cselect_b32 s5, s14, s5
	v_readfirstlane_b32 s14, v17
	v_readfirstlane_b32 s16, v13
	s_cselect_b32 s14, s14, s15
	s_cmp_gt_u32 s16, 0x7ffffffe
	s_cselect_b32 s15, -1, 0
	s_cmp_eq_u32 s4, 0
	s_cselect_b32 s15, s15, -1
	v_lshrrev_b64 v[14:15], 1, v[6:7]
	s_cmp_lg_u32 s15, 0
	v_cmp_gt_u64_e32 vcc, 2, v[6:7]
	s_cselect_b32 s15, s5, s4
	s_cselect_b32 s14, s14, s16
	s_or_b64 s[10:11], vcc, s[10:11]
	v_pk_mov_b32 v[6:7], v[14:15], v[14:15] op_sel:[0,1]
	s_andn2_b64 exec, exec, s[10:11]
	s_cbranch_execz .LBB29_153
.LBB29_113:                             ; =>This Inner Loop Header: Depth=1
	v_and_b32_e32 v13, 1, v6
	v_cmp_eq_u32_e32 vcc, 1, v13
	s_and_saveexec_b64 s[16:17], vcc
	s_cbranch_execz .LBB29_112
; %bb.114:                              ;   in Loop: Header=BB29_113 Depth=1
	v_mul_lo_u32 v13, s15, v8
	v_mul_lo_u32 v14, s14, v9
	v_mad_u64_u32 v[8:9], s[4:5], s14, v8, 0
	s_add_u32 s4, 0x402, s21
	v_add3_u32 v9, v9, v14, v13
	s_addc_u32 s5, 0, 0
	v_add_co_u32_e32 v13, vcc, s4, v5
	s_cmp_lg_u64 vcc, 0
	v_readfirstlane_b32 s22, v13
	s_addc_u32 s4, s5, 1
	s_mul_hi_u32 s23, s22, 0x80000001
	s_mul_i32 s5, s4, 0x80000001
	s_sub_i32 s23, s23, s22
	s_add_i32 s23, s23, s5
	s_mul_i32 s25, s22, 0x80000001
	s_mul_hi_u32 s5, s22, s23
	s_mul_i32 s24, s22, s23
	s_mul_hi_u32 s22, s22, s25
	s_add_u32 s22, s22, s24
	s_addc_u32 s5, 0, s5
	s_mul_hi_u32 s26, s4, s25
	s_mul_i32 s25, s4, s25
	s_add_u32 s22, s22, s25
	s_mul_hi_u32 s24, s4, s23
	s_addc_u32 s5, s5, s26
	s_addc_u32 s22, s24, 0
	s_mul_i32 s23, s4, s23
	s_add_u32 s5, s5, s23
	s_addc_u32 s22, 0, s22
	v_add_co_u32_e32 v13, vcc, s5, v13
	s_cmp_lg_u64 vcc, 0
	s_addc_u32 s22, s4, s22
	v_mad_u64_u32 v[14:15], s[4:5], v8, s22, 0
	v_mul_hi_u32 v16, v8, v13
	v_add_co_u32_e32 v18, vcc, v16, v14
	v_addc_co_u32_e32 v19, vcc, 0, v15, vcc
	v_mad_u64_u32 v[16:17], s[4:5], v9, v13, 0
	v_add_co_u32_e32 v13, vcc, v18, v16
	v_mad_u64_u32 v[14:15], s[4:5], v9, s22, 0
	v_addc_co_u32_e32 v13, vcc, v19, v17, vcc
	v_addc_co_u32_e32 v15, vcc, 0, v15, vcc
	v_add_co_u32_e32 v13, vcc, v13, v14
	v_addc_co_u32_e32 v17, vcc, 0, v15, vcc
	v_mad_u64_u32 v[14:15], s[4:5], v13, s19, 0
	v_mov_b32_e32 v16, v15
	v_mad_u64_u32 v[16:17], s[4:5], v17, s19, v[16:17]
	v_sub_co_u32_e32 v8, vcc, v8, v14
	v_subb_co_u32_e32 v9, vcc, v9, v16, vcc
	v_subrev_co_u32_e32 v13, vcc, s19, v8
	v_subbrev_co_u32_e32 v14, vcc, 0, v9, vcc
	v_subrev_co_u32_e32 v15, vcc, s19, v13
	v_subbrev_co_u32_e32 v16, vcc, 0, v14, vcc
	v_cmp_lt_u32_e32 vcc, s20, v13
	v_cndmask_b32_e64 v17, 0, -1, vcc
	v_cmp_eq_u32_e32 vcc, 0, v14
	v_cndmask_b32_e32 v17, -1, v17, vcc
	v_cmp_ne_u32_e32 vcc, 0, v17
	v_cmp_lt_u32_e64 s[4:5], s20, v8
	v_cndmask_b32_e32 v14, v14, v16, vcc
	v_cndmask_b32_e64 v16, 0, -1, s[4:5]
	v_cmp_eq_u32_e64 s[4:5], 0, v9
	v_cndmask_b32_e64 v16, -1, v16, s[4:5]
	v_cmp_ne_u32_e64 s[4:5], 0, v16
	v_cndmask_b32_e32 v13, v13, v15, vcc
	v_cndmask_b32_e64 v9, v9, v14, s[4:5]
	v_cndmask_b32_e64 v8, v8, v13, s[4:5]
	s_branch .LBB29_112
.LBB29_115:
	s_or_b64 exec, exec, s[14:15]
	s_movk_i32 s4, 0x401
	s_add_u32 s4, 0x402, s4
	v_mov_b32_e32 v6, 0xfffff800
	s_addc_u32 s5, 0, 0
	v_add_co_u32_e32 v6, vcc, s4, v6
	s_cmp_lg_u64 vcc, 0
	v_readfirstlane_b32 s14, v6
	s_addc_u32 s4, s5, 1
	s_mul_hi_u32 s15, s14, 0x80000001
	s_mul_i32 s5, s4, 0x80000001
	s_sub_i32 s15, s15, s14
	s_add_i32 s15, s15, s5
	s_mul_i32 s17, s14, 0x80000001
	s_mul_hi_u32 s5, s14, s15
	s_mul_i32 s16, s14, s15
	s_mul_hi_u32 s14, s14, s17
	s_add_u32 s14, s14, s16
	s_addc_u32 s5, 0, s5
	s_mul_hi_u32 s18, s4, s17
	s_mul_i32 s17, s4, s17
	s_add_u32 s14, s14, s17
	s_mul_hi_u32 s16, s4, s15
	s_addc_u32 s5, s5, s18
	s_addc_u32 s14, s16, 0
	s_mul_i32 s15, s4, s15
	s_add_u32 s5, s5, s15
	s_addc_u32 s14, 0, s14
	v_add_co_u32_e32 v11, vcc, s5, v6
	s_cmp_lg_u64 vcc, 0
	s_addc_u32 s14, s4, s14
	v_mad_u64_u32 v[6:7], s[4:5], v8, s14, 0
	v_mul_hi_u32 v14, v8, v11
	v_add_co_u32_e32 v16, vcc, v14, v6
	v_addc_co_u32_e32 v17, vcc, 0, v7, vcc
	v_mad_u64_u32 v[14:15], s[4:5], v9, v11, 0
	v_add_co_u32_e32 v11, vcc, v16, v14
	v_mad_u64_u32 v[6:7], s[4:5], v9, s14, 0
	v_addc_co_u32_e32 v11, vcc, v17, v15, vcc
	v_addc_co_u32_e32 v7, vcc, 0, v7, vcc
	v_add_co_u32_e32 v6, vcc, v11, v6
	s_brev_b32 s14, -2
	v_addc_co_u32_e32 v11, vcc, 0, v7, vcc
	v_mad_u64_u32 v[6:7], s[4:5], v6, s14, 0
	v_mov_b32_e32 v14, v7
	v_mad_u64_u32 v[14:15], s[4:5], v11, s14, v[14:15]
	v_sub_co_u32_e32 v6, vcc, v8, v6
	v_subb_co_u32_e32 v7, vcc, v9, v14, vcc
	v_subrev_co_u32_e32 v8, vcc, 0x7fffffff, v6
	v_subbrev_co_u32_e32 v9, vcc, 0, v7, vcc
	s_mov_b32 s4, 0x7ffffffe
	v_cmp_lt_u32_e32 vcc, s4, v8
	v_cndmask_b32_e64 v11, 0, -1, vcc
	v_cmp_eq_u32_e32 vcc, 0, v9
	v_cndmask_b32_e32 v9, -1, v11, vcc
	v_add_u32_e32 v11, 0x80000001, v8
	v_cmp_ne_u32_e32 vcc, 0, v9
	v_cndmask_b32_e32 v8, v8, v11, vcc
	v_cmp_lt_u32_e32 vcc, s4, v6
	v_cndmask_b32_e64 v9, 0, -1, vcc
	v_cmp_eq_u32_e32 vcc, 0, v7
	v_cndmask_b32_e32 v7, -1, v9, vcc
	v_cmp_ne_u32_e32 vcc, 0, v7
	v_cndmask_b32_e32 v8, v6, v8, vcc
.LBB29_116:
	s_or_b64 exec, exec, s[10:11]
	s_movk_i32 s10, 0x1388
	v_mov_b32_e32 v6, 0
	s_mov_b32 s11, 0xbc8f1391
	s_mov_b32 s14, 0xbc8f
	s_brev_b32 s15, 12
	s_mov_b32 s16, 0xf800000
	v_mov_b32_e32 v7, 0x260
.LBB29_117:                             ; =>This Inner Loop Header: Depth=1
	v_mul_hi_u32 v9, v8, s11
	v_lshrrev_b32_e32 v9, 15, v9
	v_mul_u32_u24_e32 v14, 0xadc8, v9
	v_sub_u32_e32 v8, v8, v14
	v_mul_u32_u24_e32 v9, 0xd47, v9
	v_mul_lo_u32 v8, v8, s14
	v_xor_b32_e32 v14, 0x7fffffff, v9
	v_sub_u32_e32 v15, 0, v9
	v_cmp_lt_u32_e32 vcc, v8, v9
	v_cndmask_b32_e32 v9, v15, v14, vcc
	v_add_u32_e32 v8, v9, v8
	v_mul_hi_u32 v14, v8, s11
	v_lshrrev_b32_e32 v14, 15, v14
	v_mul_u32_u24_e32 v15, 0xadc8, v14
	v_add_u32_e32 v9, -1, v8
	v_sub_u32_e32 v8, v8, v15
	v_mul_u32_u24_e32 v14, 0xd47, v14
	v_mul_lo_u32 v8, v8, s14
	v_xor_b32_e32 v15, 0x7fffffff, v14
	v_sub_u32_e32 v16, 0, v14
	v_cmp_lt_u32_e32 vcc, v8, v14
	v_cndmask_b32_e32 v14, v16, v15, vcc
	v_add_u32_e32 v8, v14, v8
	v_mul_hi_u32 v15, v8, s11
	v_add_u32_e32 v14, -1, v8
	v_lshrrev_b32_e32 v15, 15, v15
	v_cvt_f32_u32_e32 v14, v14
	v_mul_u32_u24_e32 v16, 0xadc8, v15
	v_cvt_f32_u32_e32 v9, v9
	v_sub_u32_e32 v8, v8, v16
	v_mul_u32_u24_e32 v15, 0xd47, v15
	v_mul_lo_u32 v8, v8, s14
	v_xor_b32_e32 v16, 0x7fffffff, v15
	v_sub_u32_e32 v17, 0, v15
	v_cmp_lt_u32_e32 vcc, v8, v15
	v_fma_f32 v14, v14, s15, 0
	v_cndmask_b32_e32 v15, v17, v16, vcc
	v_fma_f32 v9, v9, s15, 0
	v_mul_f32_e32 v14, v14, v14
	v_add_u32_e32 v8, v15, v8
	v_fmac_f32_e32 v14, v9, v9
	v_mul_hi_u32 v15, v8, s11
	v_mul_f32_e32 v16, 0x4f800000, v14
	v_lshrrev_b32_e32 v15, 15, v15
	v_cmp_gt_f32_e32 vcc, s16, v14
	v_cndmask_b32_e32 v14, v14, v16, vcc
	v_mul_u32_u24_e32 v16, 0xadc8, v15
	v_add_u32_e32 v9, -1, v8
	v_sqrt_f32_e32 v17, v14
	v_sub_u32_e32 v8, v8, v16
	v_mul_u32_u24_e32 v15, 0xd47, v15
	v_mul_lo_u32 v8, v8, s14
	v_xor_b32_e32 v16, 0x7fffffff, v15
	v_sub_u32_e32 v18, 0, v15
	v_cmp_lt_u32_e64 s[4:5], v8, v15
	v_cndmask_b32_e64 v15, v18, v16, s[4:5]
	v_add_u32_e32 v8, v15, v8
	v_add_u32_e32 v15, -1, v17
	v_add_u32_e32 v16, 1, v17
	v_add_u32_e32 v18, -1, v8
	v_fma_f32 v19, -v15, v17, v14
	v_fma_f32 v20, -v16, v17, v14
	v_cvt_f32_u32_e32 v18, v18
	v_cmp_ge_f32_e64 s[4:5], 0, v19
	v_cvt_f32_u32_e32 v9, v9
	v_cndmask_b32_e64 v15, v17, v15, s[4:5]
	v_cmp_lt_f32_e64 s[4:5], 0, v20
	v_cndmask_b32_e64 v15, v15, v16, s[4:5]
	v_mul_f32_e32 v16, 0x37800000, v15
	v_cndmask_b32_e32 v15, v15, v16, vcc
	v_fma_f32 v16, v18, s15, 0
	v_cmp_class_f32_e32 vcc, v14, v7
	v_fma_f32 v9, v9, s15, 0
	v_cndmask_b32_e32 v14, v15, v14, vcc
	v_mul_f32_e32 v15, v16, v16
	v_add_f32_e32 v11, 1.0, v6
	v_cmp_nge_f32_e32 vcc, 1.0, v14
	v_fmac_f32_e32 v15, v9, v9
	v_cndmask_b32_e32 v6, v11, v6, vcc
	v_mul_f32_e32 v9, 0x4f800000, v15
	v_cmp_gt_f32_e32 vcc, s16, v15
	v_cndmask_b32_e32 v9, v15, v9, vcc
	v_sqrt_f32_e32 v14, v9
	s_add_i32 s10, s10, -2
	v_add_f32_e32 v11, 1.0, v6
	s_cmp_lg_u32 s10, 0
	v_add_u32_e32 v15, -1, v14
	v_add_u32_e32 v16, 1, v14
	v_fma_f32 v17, -v15, v14, v9
	v_fma_f32 v18, -v16, v14, v9
	v_cmp_ge_f32_e64 s[4:5], 0, v17
	v_cndmask_b32_e64 v14, v14, v15, s[4:5]
	v_cmp_lt_f32_e64 s[4:5], 0, v18
	v_cndmask_b32_e64 v14, v14, v16, s[4:5]
	v_mul_f32_e32 v15, 0x37800000, v14
	v_cndmask_b32_e32 v14, v14, v15, vcc
	v_cmp_class_f32_e32 vcc, v9, v7
	v_cndmask_b32_e32 v9, v14, v9, vcc
	v_cmp_nge_f32_e32 vcc, 1.0, v9
	v_cndmask_b32_e32 v6, v11, v6, vcc
	s_cbranch_scc1 .LBB29_117
; %bb.118:
	v_mul_f32_e32 v7, 4.0, v10
	s_mov_b32 s10, 0x459c4000
	v_div_scale_f32 v8, s[4:5], s10, s10, v7
	v_rcp_f32_e32 v9, v8
	v_mul_f32_e32 v6, 4.0, v6
	v_fma_f32 v10, -v8, v9, 1.0
	v_fmac_f32_e32 v9, v10, v9
	v_div_scale_f32 v10, vcc, v7, s10, v7
	v_mul_f32_e32 v11, v10, v9
	v_fma_f32 v14, -v8, v11, v10
	v_fmac_f32_e32 v11, v14, v9
	v_fma_f32 v8, -v8, v11, v10
	v_div_scale_f32 v10, s[4:5], s10, s10, v6
	v_rcp_f32_e32 v14, v10
	v_div_fmas_f32 v8, v8, v9, v11
	v_div_fixup_f32 v7, v8, s10, v7
	v_fma_f32 v8, -v10, v14, 1.0
	v_fmac_f32_e32 v14, v8, v14
	v_div_scale_f32 v8, vcc, v6, s10, v6
	v_mul_f32_e32 v9, v8, v14
	v_fma_f32 v11, -v10, v9, v8
	v_fmac_f32_e32 v9, v11, v14
	v_fma_f32 v8, -v10, v9, v8
	v_div_fmas_f32 v8, v8, v14, v9
	v_div_fixup_f32 v6, v8, s10, v6
	v_add_f32_e32 v7, v7, v6
	v_mbcnt_lo_u32_b32 v6, -1, 0
	v_mbcnt_hi_u32_b32 v6, -1, v6
	v_add_f32_dpp v7, v7, v7 quad_perm:[1,0,3,2] row_mask:0xf bank_mask:0xf bound_ctrl:1
	v_cmp_eq_u32_e32 vcc, 0, v6
	s_nop 0
	v_add_f32_dpp v7, v7, v7 quad_perm:[2,3,0,1] row_mask:0xf bank_mask:0xf bound_ctrl:1
	s_nop 1
	v_add_f32_dpp v7, v7, v7 row_ror:4 row_mask:0xf bank_mask:0xf bound_ctrl:1
	s_nop 1
	v_add_f32_dpp v7, v7, v7 row_ror:8 row_mask:0xf bank_mask:0xf bound_ctrl:1
	s_nop 1
	v_add_f32_dpp v7, v7, v7 row_bcast:15 row_mask:0xf bank_mask:0xf bound_ctrl:1
	s_nop 1
	v_add_f32_dpp v8, v7, v7 row_bcast:31 row_mask:0xf bank_mask:0xf bound_ctrl:1
	v_lshlrev_b32_e32 v7, 2, v6
	v_or_b32_e32 v9, 0xfc, v7
	ds_bpermute_b32 v8, v9, v8
	s_and_saveexec_b64 s[4:5], vcc
	s_cbranch_execz .LBB29_120
; %bb.119:
	v_lshrrev_b32_e32 v9, 4, v13
	v_and_b32_e32 v9, 60, v9
	s_waitcnt lgkmcnt(0)
	ds_write_b32 v9, v8 offset:16
.LBB29_120:
	s_or_b64 exec, exec, s[4:5]
	v_cmp_gt_u32_e32 vcc, 64, v13
	s_waitcnt lgkmcnt(0)
	s_barrier
	s_and_saveexec_b64 s[4:5], vcc
	s_cbranch_execz .LBB29_122
; %bb.121:
	v_and_b32_e32 v6, 1, v6
	v_lshlrev_b32_e32 v6, 2, v6
	ds_read_b32 v6, v6 offset:16
	v_or_b32_e32 v7, 4, v7
	s_waitcnt lgkmcnt(0)
	ds_bpermute_b32 v7, v7, v6
	s_waitcnt lgkmcnt(0)
	v_add_f32_e32 v8, v6, v7
.LBB29_122:
	s_or_b64 exec, exec, s[4:5]
                                        ; implicit-def: $vgpr10
	s_andn2_saveexec_b64 s[10:11], s[6:7]
	s_cbranch_execz .LBB29_8
.LBB29_123:
	v_subrev_u32_e32 v14, s20, v2
	v_cmp_lt_u32_e32 vcc, v13, v14
                                        ; implicit-def: $vgpr6_vgpr7
	s_and_saveexec_b64 s[6:7], vcc
	s_cbranch_execz .LBB29_614
; %bb.124:
	v_add_u32_e32 v6, v10, v13
	s_movk_i32 s4, 0x1388
	v_mul_lo_u32 v6, v6, s4
	v_cmp_ne_u32_e32 vcc, 0, v6
	v_mov_b32_e32 v8, 1
	s_and_saveexec_b64 s[14:15], vcc
	s_cbranch_execz .LBB29_611
; %bb.125:
	v_mov_b32_e32 v8, 1
	v_mov_b32_e32 v7, 0
	s_mov_b64 s[18:19], 0xbc8f
	s_mov_b64 s[16:17], 0
	v_mov_b32_e32 v9, 0
	s_brev_b32 s22, -2
	s_mov_b32 s23, 0x7ffffffe
	v_mov_b32_e32 v11, 0xfffff800
	s_movk_i32 s24, 0x401
	s_branch .LBB29_127
.LBB29_126:                             ;   in Loop: Header=BB29_127 Depth=1
	s_or_b64 exec, exec, s[20:21]
	s_mul_i32 s4, s18, s19
	s_mul_hi_u32 s5, s18, s18
	s_add_i32 s5, s5, s4
	s_add_i32 s4, s5, s4
	s_mul_i32 s5, s18, s18
	s_add_u32 s18, 0x402, s24
	s_addc_u32 s19, 0, 0
	v_add_co_u32_e32 v15, vcc, s18, v11
	s_cmp_lg_u64 vcc, 0
	v_readfirstlane_b32 s20, v15
	s_addc_u32 s18, s19, 1
	s_mul_hi_u32 s21, s20, 0x80000001
	s_mul_i32 s19, s18, 0x80000001
	s_sub_i32 s21, s21, s20
	s_add_i32 s21, s21, s19
	s_mul_i32 s26, s20, 0x80000001
	s_mul_hi_u32 s19, s20, s21
	s_mul_i32 s25, s20, s21
	s_mul_hi_u32 s20, s20, s26
	s_add_u32 s20, s20, s25
	s_addc_u32 s19, 0, s19
	s_mul_hi_u32 s27, s18, s26
	s_mul_i32 s26, s18, s26
	s_add_u32 s20, s20, s26
	s_mul_hi_u32 s25, s18, s21
	s_addc_u32 s19, s19, s27
	s_addc_u32 s20, s25, 0
	s_mul_i32 s21, s18, s21
	s_add_u32 s19, s19, s21
	s_addc_u32 s20, 0, s20
	v_add_co_u32_e32 v15, vcc, s19, v15
	s_cmp_lg_u64 vcc, 0
	s_addc_u32 s18, s18, s20
	v_readfirstlane_b32 s21, v15
	s_mul_i32 s20, s5, s18
	s_mul_hi_u32 s25, s5, s21
	s_mul_hi_u32 s19, s5, s18
	s_add_u32 s20, s25, s20
	s_addc_u32 s19, 0, s19
	s_mul_hi_u32 s26, s4, s21
	s_mul_i32 s21, s4, s21
	s_add_u32 s20, s20, s21
	s_mul_hi_u32 s25, s4, s18
	s_addc_u32 s19, s19, s26
	s_addc_u32 s20, s25, 0
	s_mul_i32 s18, s4, s18
	s_add_u32 s18, s19, s18
	s_addc_u32 s19, 0, s20
	s_mul_hi_u32 s20, s18, 0x7fffffff
	s_mul_i32 s18, s18, 0x7fffffff
	s_mul_i32 s19, s19, 0x7fffffff
	v_mov_b32_e32 v15, s18
	s_add_i32 s20, s20, s19
	v_sub_co_u32_e32 v15, vcc, s5, v15
	s_cmp_lg_u64 vcc, 0
	s_subb_u32 s4, s4, s20
	v_subrev_co_u32_e32 v18, vcc, s22, v15
	s_cmp_lg_u64 vcc, 0
	s_subb_u32 s5, s4, 0
	v_subrev_co_u32_e32 v19, vcc, s22, v18
	s_cmp_lg_u64 vcc, 0
	s_subb_u32 s18, s5, 0
	v_readfirstlane_b32 s19, v18
	s_cmp_gt_u32 s19, 0x7ffffffe
	s_cselect_b32 s20, -1, 0
	s_cmp_eq_u32 s5, 0
	s_cselect_b32 s20, s20, -1
	s_cmp_lg_u32 s20, 0
	s_cselect_b32 s5, s18, s5
	v_readfirstlane_b32 s18, v19
	v_readfirstlane_b32 s20, v15
	s_cselect_b32 s18, s18, s19
	s_cmp_gt_u32 s20, 0x7ffffffe
	s_cselect_b32 s19, -1, 0
	s_cmp_eq_u32 s4, 0
	s_cselect_b32 s19, s19, -1
	v_lshrrev_b64 v[16:17], 1, v[6:7]
	s_cmp_lg_u32 s19, 0
	v_cmp_gt_u64_e32 vcc, 2, v[6:7]
	s_cselect_b32 s19, s5, s4
	s_cselect_b32 s18, s18, s20
	s_or_b64 s[16:17], vcc, s[16:17]
	v_pk_mov_b32 v[6:7], v[16:17], v[16:17] op_sel:[0,1]
	s_andn2_b64 exec, exec, s[16:17]
	s_cbranch_execz .LBB29_610
.LBB29_127:                             ; =>This Inner Loop Header: Depth=1
	v_and_b32_e32 v15, 1, v6
	v_cmp_eq_u32_e32 vcc, 1, v15
	s_and_saveexec_b64 s[20:21], vcc
	s_cbranch_execz .LBB29_126
; %bb.128:                              ;   in Loop: Header=BB29_127 Depth=1
	v_mul_lo_u32 v15, s19, v8
	v_mul_lo_u32 v16, s18, v9
	v_mad_u64_u32 v[8:9], s[4:5], s18, v8, 0
	s_add_u32 s4, 0x402, s24
	v_add3_u32 v9, v9, v16, v15
	s_addc_u32 s5, 0, 0
	v_add_co_u32_e32 v15, vcc, s4, v11
	s_cmp_lg_u64 vcc, 0
	v_readfirstlane_b32 s25, v15
	s_addc_u32 s4, s5, 1
	s_mul_hi_u32 s26, s25, 0x80000001
	s_mul_i32 s5, s4, 0x80000001
	s_sub_i32 s26, s26, s25
	s_add_i32 s26, s26, s5
	s_mul_i32 s28, s25, 0x80000001
	s_mul_hi_u32 s5, s25, s26
	s_mul_i32 s27, s25, s26
	s_mul_hi_u32 s25, s25, s28
	s_add_u32 s25, s25, s27
	s_addc_u32 s5, 0, s5
	s_mul_hi_u32 s29, s4, s28
	s_mul_i32 s28, s4, s28
	s_add_u32 s25, s25, s28
	s_mul_hi_u32 s27, s4, s26
	s_addc_u32 s5, s5, s29
	s_addc_u32 s25, s27, 0
	s_mul_i32 s26, s4, s26
	s_add_u32 s5, s5, s26
	s_addc_u32 s25, 0, s25
	v_add_co_u32_e32 v15, vcc, s5, v15
	s_cmp_lg_u64 vcc, 0
	s_addc_u32 s25, s4, s25
	v_mad_u64_u32 v[16:17], s[4:5], v8, s25, 0
	v_mul_hi_u32 v18, v8, v15
	v_add_co_u32_e32 v20, vcc, v18, v16
	v_addc_co_u32_e32 v21, vcc, 0, v17, vcc
	v_mad_u64_u32 v[18:19], s[4:5], v9, v15, 0
	v_add_co_u32_e32 v15, vcc, v20, v18
	v_mad_u64_u32 v[16:17], s[4:5], v9, s25, 0
	v_addc_co_u32_e32 v15, vcc, v21, v19, vcc
	v_addc_co_u32_e32 v17, vcc, 0, v17, vcc
	v_add_co_u32_e32 v15, vcc, v15, v16
	v_addc_co_u32_e32 v19, vcc, 0, v17, vcc
	v_mad_u64_u32 v[16:17], s[4:5], v15, s22, 0
	v_mov_b32_e32 v18, v17
	v_mad_u64_u32 v[18:19], s[4:5], v19, s22, v[18:19]
	v_sub_co_u32_e32 v8, vcc, v8, v16
	v_subb_co_u32_e32 v9, vcc, v9, v18, vcc
	v_subrev_co_u32_e32 v15, vcc, s22, v8
	v_subbrev_co_u32_e32 v16, vcc, 0, v9, vcc
	v_subrev_co_u32_e32 v17, vcc, s22, v15
	v_subbrev_co_u32_e32 v18, vcc, 0, v16, vcc
	v_cmp_lt_u32_e32 vcc, s23, v15
	v_cndmask_b32_e64 v19, 0, -1, vcc
	v_cmp_eq_u32_e32 vcc, 0, v16
	v_cndmask_b32_e32 v19, -1, v19, vcc
	v_cmp_ne_u32_e32 vcc, 0, v19
	v_cmp_lt_u32_e64 s[4:5], s23, v8
	v_cndmask_b32_e32 v16, v16, v18, vcc
	v_cndmask_b32_e64 v18, 0, -1, s[4:5]
	v_cmp_eq_u32_e64 s[4:5], 0, v9
	v_cndmask_b32_e64 v18, -1, v18, s[4:5]
	v_cmp_ne_u32_e64 s[4:5], 0, v18
	v_cndmask_b32_e32 v15, v15, v17, vcc
	v_cndmask_b32_e64 v9, v9, v16, s[4:5]
	v_cndmask_b32_e64 v8, v8, v15, s[4:5]
	s_branch .LBB29_126
.LBB29_129:
	s_or_b64 exec, exec, s[10:11]
	s_movk_i32 s4, 0x401
	s_add_u32 s4, 0x402, s4
	v_mov_b32_e32 v3, 0xfffff800
	s_addc_u32 s5, 0, 0
	v_add_co_u32_e32 v3, vcc, s4, v3
	s_cmp_lg_u64 vcc, 0
	v_readfirstlane_b32 s10, v3
	s_addc_u32 s4, s5, 1
	s_mul_hi_u32 s11, s10, 0x80000001
	s_mul_i32 s5, s4, 0x80000001
	s_sub_i32 s11, s11, s10
	s_add_i32 s11, s11, s5
	s_mul_i32 s17, s10, 0x80000001
	s_mul_hi_u32 s5, s10, s11
	s_mul_i32 s16, s10, s11
	s_mul_hi_u32 s10, s10, s17
	s_add_u32 s10, s10, s16
	s_addc_u32 s5, 0, s5
	s_mul_hi_u32 s18, s4, s17
	s_mul_i32 s17, s4, s17
	s_add_u32 s10, s10, s17
	s_mul_hi_u32 s16, s4, s11
	s_addc_u32 s5, s5, s18
	s_addc_u32 s10, s16, 0
	s_mul_i32 s11, s4, s11
	s_add_u32 s5, s5, s11
	s_addc_u32 s10, 0, s10
	v_add_co_u32_e32 v3, vcc, s5, v3
	s_cmp_lg_u64 vcc, 0
	s_addc_u32 s10, s4, s10
	v_mad_u64_u32 v[4:5], s[4:5], v10, s10, 0
	v_mul_hi_u32 v13, v10, v3
	v_add_co_u32_e32 v13, vcc, v13, v4
	v_addc_co_u32_e32 v18, vcc, 0, v5, vcc
	v_mad_u64_u32 v[16:17], s[4:5], v11, v3, 0
	v_add_co_u32_e32 v3, vcc, v13, v16
	v_mad_u64_u32 v[4:5], s[4:5], v11, s10, 0
	v_addc_co_u32_e32 v3, vcc, v18, v17, vcc
	v_addc_co_u32_e32 v5, vcc, 0, v5, vcc
	v_add_co_u32_e32 v3, vcc, v3, v4
	s_brev_b32 s10, -2
	v_addc_co_u32_e32 v13, vcc, 0, v5, vcc
	v_mad_u64_u32 v[4:5], s[4:5], v3, s10, 0
	v_mov_b32_e32 v16, v5
	v_mad_u64_u32 v[16:17], s[4:5], v13, s10, v[16:17]
	v_sub_co_u32_e32 v3, vcc, v10, v4
	v_subb_co_u32_e32 v4, vcc, v11, v16, vcc
	v_subrev_co_u32_e32 v5, vcc, 0x7fffffff, v3
	v_subbrev_co_u32_e32 v10, vcc, 0, v4, vcc
	s_mov_b32 s4, 0x7ffffffe
	v_cmp_lt_u32_e32 vcc, s4, v5
	v_cndmask_b32_e64 v11, 0, -1, vcc
	v_cmp_eq_u32_e32 vcc, 0, v10
	v_cndmask_b32_e32 v10, -1, v11, vcc
	v_add_u32_e32 v11, 0x80000001, v5
	v_cmp_ne_u32_e32 vcc, 0, v10
	v_cndmask_b32_e32 v5, v5, v11, vcc
	v_cmp_lt_u32_e32 vcc, s4, v3
	v_cndmask_b32_e64 v10, 0, -1, vcc
	v_cmp_eq_u32_e32 vcc, 0, v4
	v_cndmask_b32_e32 v4, -1, v10, vcc
	v_cmp_ne_u32_e32 vcc, 0, v4
	v_cndmask_b32_e32 v5, v3, v5, vcc
.LBB29_130:
	s_or_b64 exec, exec, s[8:9]
	s_movk_i32 s8, 0x1388
	v_mov_b32_e32 v13, 0
	s_mov_b32 s9, 0xbc8f1391
	s_mov_b32 s10, 0xbc8f
	s_brev_b32 s11, 12
	s_mov_b32 s16, 0xf800000
	v_mov_b32_e32 v3, 0x260
.LBB29_131:                             ; =>This Inner Loop Header: Depth=1
	v_mul_hi_u32 v4, v5, s9
	v_lshrrev_b32_e32 v4, 15, v4
	v_mul_u32_u24_e32 v11, 0xadc8, v4
	v_sub_u32_e32 v5, v5, v11
	v_mul_u32_u24_e32 v4, 0xd47, v4
	v_mul_lo_u32 v5, v5, s10
	v_xor_b32_e32 v11, 0x7fffffff, v4
	v_sub_u32_e32 v16, 0, v4
	v_cmp_lt_u32_e32 vcc, v5, v4
	v_cndmask_b32_e32 v4, v16, v11, vcc
	v_add_u32_e32 v4, v4, v5
	v_mul_hi_u32 v11, v4, s9
	v_lshrrev_b32_e32 v11, 15, v11
	v_mul_u32_u24_e32 v16, 0xadc8, v11
	v_add_u32_e32 v5, -1, v4
	v_sub_u32_e32 v4, v4, v16
	v_mul_u32_u24_e32 v11, 0xd47, v11
	v_mul_lo_u32 v4, v4, s10
	v_xor_b32_e32 v16, 0x7fffffff, v11
	v_sub_u32_e32 v17, 0, v11
	v_cmp_lt_u32_e32 vcc, v4, v11
	v_cndmask_b32_e32 v11, v17, v16, vcc
	v_add_u32_e32 v4, v11, v4
	v_mul_hi_u32 v16, v4, s9
	v_add_u32_e32 v11, -1, v4
	v_lshrrev_b32_e32 v16, 15, v16
	v_cvt_f32_u32_e32 v11, v11
	v_mul_u32_u24_e32 v17, 0xadc8, v16
	v_cvt_f32_u32_e32 v5, v5
	v_sub_u32_e32 v4, v4, v17
	v_mul_u32_u24_e32 v16, 0xd47, v16
	v_mul_lo_u32 v4, v4, s10
	v_xor_b32_e32 v17, 0x7fffffff, v16
	v_sub_u32_e32 v18, 0, v16
	v_cmp_lt_u32_e32 vcc, v4, v16
	v_fma_f32 v11, v11, s11, 0
	v_cndmask_b32_e32 v16, v18, v17, vcc
	v_fma_f32 v5, v5, s11, 0
	v_mul_f32_e32 v11, v11, v11
	v_add_u32_e32 v4, v16, v4
	v_fmac_f32_e32 v11, v5, v5
	v_mul_hi_u32 v16, v4, s9
	v_add_u32_e32 v5, -1, v4
	v_mul_f32_e32 v17, 0x4f800000, v11
	v_lshrrev_b32_e32 v16, 15, v16
	v_cmp_gt_f32_e32 vcc, s16, v11
	v_cvt_f32_u32_e32 v5, v5
	v_cndmask_b32_e32 v11, v11, v17, vcc
	v_mul_u32_u24_e32 v17, 0xadc8, v16
	v_sqrt_f32_e32 v18, v11
	v_sub_u32_e32 v4, v4, v17
	v_mul_u32_u24_e32 v16, 0xd47, v16
	v_mul_lo_u32 v4, v4, s10
	v_xor_b32_e32 v17, 0x7fffffff, v16
	v_sub_u32_e32 v19, 0, v16
	v_cmp_lt_u32_e64 s[4:5], v4, v16
	v_fma_f32 v20, v5, s11, 0
	v_cndmask_b32_e64 v5, v19, v17, s[4:5]
	v_add_u32_e32 v5, v5, v4
	v_add_u32_e32 v4, -1, v18
	v_add_u32_e32 v16, 1, v18
	v_add_u32_e32 v17, -1, v5
	v_fma_f32 v19, -v4, v18, v11
	v_fma_f32 v21, -v16, v18, v11
	v_cvt_f32_u32_e32 v17, v17
	v_cmp_ge_f32_e64 s[4:5], 0, v19
	v_cndmask_b32_e64 v4, v18, v4, s[4:5]
	v_cmp_lt_f32_e64 s[4:5], 0, v21
	v_cndmask_b32_e64 v4, v4, v16, s[4:5]
	v_mul_f32_e32 v16, 0x37800000, v4
	v_cndmask_b32_e32 v4, v4, v16, vcc
	v_fma_f32 v16, v17, s11, 0
	v_cmp_class_f32_e32 vcc, v11, v3
	v_cndmask_b32_e32 v4, v4, v11, vcc
	v_mul_f32_e32 v11, v16, v16
	v_add_f32_e32 v10, 1.0, v13
	v_cmp_nge_f32_e32 vcc, 1.0, v4
	v_fmac_f32_e32 v11, v20, v20
	v_cndmask_b32_e32 v4, v10, v13, vcc
	v_mul_f32_e32 v10, 0x4f800000, v11
	v_cmp_gt_f32_e32 vcc, s16, v11
	v_cndmask_b32_e32 v10, v11, v10, vcc
	v_sqrt_f32_e32 v11, v10
	s_add_i32 s8, s8, -2
	v_add_f32_e32 v13, 1.0, v4
	s_cmp_lg_u32 s8, 0
	v_add_u32_e32 v16, -1, v11
	v_add_u32_e32 v17, 1, v11
	v_fma_f32 v18, -v16, v11, v10
	v_fma_f32 v19, -v17, v11, v10
	v_cmp_ge_f32_e64 s[4:5], 0, v18
	v_cndmask_b32_e64 v11, v11, v16, s[4:5]
	v_cmp_lt_f32_e64 s[4:5], 0, v19
	v_cndmask_b32_e64 v11, v11, v17, s[4:5]
	v_mul_f32_e32 v16, 0x37800000, v11
	v_cndmask_b32_e32 v11, v11, v16, vcc
	v_cmp_class_f32_e32 vcc, v10, v3
	v_cndmask_b32_e32 v10, v11, v10, vcc
	v_cmp_nge_f32_e32 vcc, 1.0, v10
	v_cndmask_b32_e32 v13, v13, v4, vcc
	s_cbranch_scc1 .LBB29_131
; %bb.132:
	v_add_u32_e32 v4, 0x138800, v2
	v_cmp_ne_u32_e32 vcc, 0, v4
	v_mov_b32_e32 v5, 1
	s_and_saveexec_b64 s[8:9], vcc
	s_cbranch_execz .LBB29_162
; %bb.133:
	v_mov_b32_e32 v10, 1
	v_mov_b32_e32 v5, 0
	s_mov_b64 s[16:17], 0xbc8f
	s_mov_b64 s[10:11], 0
	v_mov_b32_e32 v11, 0
	s_brev_b32 s21, -2
	s_mov_b32 s22, 0x7ffffffe
	v_mov_b32_e32 v3, 0xfffff800
	s_movk_i32 s23, 0x401
	s_branch .LBB29_135
.LBB29_134:                             ;   in Loop: Header=BB29_135 Depth=1
	s_or_b64 exec, exec, s[18:19]
	s_mul_i32 s4, s16, s17
	s_mul_hi_u32 s5, s16, s16
	s_add_i32 s5, s5, s4
	s_add_i32 s4, s5, s4
	s_mul_i32 s5, s16, s16
	s_add_u32 s16, 0x402, s23
	s_addc_u32 s17, 0, 0
	v_add_co_u32_e32 v18, vcc, s16, v3
	s_cmp_lg_u64 vcc, 0
	v_readfirstlane_b32 s18, v18
	s_addc_u32 s16, s17, 1
	s_mul_hi_u32 s19, s18, 0x80000001
	s_mul_i32 s17, s16, 0x80000001
	s_sub_i32 s19, s19, s18
	s_add_i32 s19, s19, s17
	s_mul_i32 s25, s18, 0x80000001
	s_mul_hi_u32 s17, s18, s19
	s_mul_i32 s24, s18, s19
	s_mul_hi_u32 s18, s18, s25
	s_add_u32 s18, s18, s24
	s_addc_u32 s17, 0, s17
	s_mul_hi_u32 s26, s16, s25
	s_mul_i32 s25, s16, s25
	s_add_u32 s18, s18, s25
	s_mul_hi_u32 s24, s16, s19
	s_addc_u32 s17, s17, s26
	s_addc_u32 s18, s24, 0
	s_mul_i32 s19, s16, s19
	s_add_u32 s17, s17, s19
	s_addc_u32 s18, 0, s18
	v_add_co_u32_e32 v18, vcc, s17, v18
	s_cmp_lg_u64 vcc, 0
	s_addc_u32 s16, s16, s18
	v_readfirstlane_b32 s19, v18
	s_mul_i32 s18, s5, s16
	s_mul_hi_u32 s24, s5, s19
	s_mul_hi_u32 s17, s5, s16
	s_add_u32 s18, s24, s18
	s_addc_u32 s17, 0, s17
	s_mul_hi_u32 s25, s4, s19
	s_mul_i32 s19, s4, s19
	s_add_u32 s18, s18, s19
	s_mul_hi_u32 s24, s4, s16
	s_addc_u32 s17, s17, s25
	s_addc_u32 s18, s24, 0
	s_mul_i32 s16, s4, s16
	s_add_u32 s16, s17, s16
	s_addc_u32 s17, 0, s18
	s_mul_hi_u32 s18, s16, 0x7fffffff
	s_mul_i32 s16, s16, 0x7fffffff
	s_mul_i32 s17, s17, 0x7fffffff
	v_mov_b32_e32 v18, s16
	s_add_i32 s18, s18, s17
	v_sub_co_u32_e32 v18, vcc, s5, v18
	s_cmp_lg_u64 vcc, 0
	s_subb_u32 s4, s4, s18
	v_subrev_co_u32_e32 v19, vcc, s21, v18
	s_cmp_lg_u64 vcc, 0
	s_subb_u32 s5, s4, 0
	v_subrev_co_u32_e32 v20, vcc, s21, v19
	s_cmp_lg_u64 vcc, 0
	s_subb_u32 s16, s5, 0
	v_readfirstlane_b32 s17, v19
	s_cmp_gt_u32 s17, 0x7ffffffe
	s_cselect_b32 s18, -1, 0
	s_cmp_eq_u32 s5, 0
	s_cselect_b32 s18, s18, -1
	s_cmp_lg_u32 s18, 0
	s_cselect_b32 s5, s16, s5
	v_readfirstlane_b32 s16, v20
	v_readfirstlane_b32 s18, v18
	s_cselect_b32 s16, s16, s17
	s_cmp_gt_u32 s18, 0x7ffffffe
	s_cselect_b32 s17, -1, 0
	s_cmp_eq_u32 s4, 0
	s_cselect_b32 s17, s17, -1
	v_lshrrev_b64 v[16:17], 1, v[4:5]
	s_cmp_lg_u32 s17, 0
	v_cmp_gt_u64_e32 vcc, 2, v[4:5]
	s_cselect_b32 s17, s5, s4
	s_cselect_b32 s16, s16, s18
	s_or_b64 s[10:11], vcc, s[10:11]
	v_pk_mov_b32 v[4:5], v[16:17], v[16:17] op_sel:[0,1]
	s_andn2_b64 exec, exec, s[10:11]
	s_cbranch_execz .LBB29_161
.LBB29_135:                             ; =>This Inner Loop Header: Depth=1
	v_and_b32_e32 v16, 1, v4
	v_cmp_eq_u32_e32 vcc, 1, v16
	s_and_saveexec_b64 s[18:19], vcc
	s_cbranch_execz .LBB29_134
; %bb.136:                              ;   in Loop: Header=BB29_135 Depth=1
	v_mul_lo_u32 v16, s17, v10
	v_mul_lo_u32 v17, s16, v11
	v_mad_u64_u32 v[10:11], s[4:5], s16, v10, 0
	s_add_u32 s4, 0x402, s23
	v_add3_u32 v11, v11, v17, v16
	s_addc_u32 s5, 0, 0
	v_add_co_u32_e32 v16, vcc, s4, v3
	s_cmp_lg_u64 vcc, 0
	v_readfirstlane_b32 s24, v16
	s_addc_u32 s4, s5, 1
	s_mul_hi_u32 s25, s24, 0x80000001
	s_mul_i32 s5, s4, 0x80000001
	s_sub_i32 s25, s25, s24
	s_add_i32 s25, s25, s5
	s_mul_i32 s27, s24, 0x80000001
	s_mul_hi_u32 s5, s24, s25
	s_mul_i32 s26, s24, s25
	s_mul_hi_u32 s24, s24, s27
	s_add_u32 s24, s24, s26
	s_addc_u32 s5, 0, s5
	s_mul_hi_u32 s28, s4, s27
	s_mul_i32 s27, s4, s27
	s_add_u32 s24, s24, s27
	s_mul_hi_u32 s26, s4, s25
	s_addc_u32 s5, s5, s28
	s_addc_u32 s24, s26, 0
	s_mul_i32 s25, s4, s25
	s_add_u32 s5, s5, s25
	s_addc_u32 s24, 0, s24
	v_add_co_u32_e32 v18, vcc, s5, v16
	s_cmp_lg_u64 vcc, 0
	s_addc_u32 s24, s4, s24
	v_mad_u64_u32 v[16:17], s[4:5], v10, s24, 0
	v_mul_hi_u32 v19, v10, v18
	v_add_co_u32_e32 v20, vcc, v19, v16
	v_addc_co_u32_e32 v21, vcc, 0, v17, vcc
	v_mad_u64_u32 v[18:19], s[4:5], v11, v18, 0
	v_add_co_u32_e32 v18, vcc, v20, v18
	v_mad_u64_u32 v[16:17], s[4:5], v11, s24, 0
	v_addc_co_u32_e32 v18, vcc, v21, v19, vcc
	v_addc_co_u32_e32 v17, vcc, 0, v17, vcc
	v_add_co_u32_e32 v16, vcc, v18, v16
	v_addc_co_u32_e32 v19, vcc, 0, v17, vcc
	v_mad_u64_u32 v[16:17], s[4:5], v16, s21, 0
	v_mov_b32_e32 v18, v17
	v_mad_u64_u32 v[18:19], s[4:5], v19, s21, v[18:19]
	v_sub_co_u32_e32 v10, vcc, v10, v16
	v_subb_co_u32_e32 v11, vcc, v11, v18, vcc
	v_subrev_co_u32_e32 v16, vcc, s21, v10
	v_subbrev_co_u32_e32 v17, vcc, 0, v11, vcc
	v_subrev_co_u32_e32 v18, vcc, s21, v16
	v_subbrev_co_u32_e32 v19, vcc, 0, v17, vcc
	v_cmp_lt_u32_e32 vcc, s22, v16
	v_cndmask_b32_e64 v20, 0, -1, vcc
	v_cmp_eq_u32_e32 vcc, 0, v17
	v_cndmask_b32_e32 v20, -1, v20, vcc
	v_cmp_ne_u32_e32 vcc, 0, v20
	v_cmp_lt_u32_e64 s[4:5], s22, v10
	v_cndmask_b32_e32 v17, v17, v19, vcc
	v_cndmask_b32_e64 v19, 0, -1, s[4:5]
	v_cmp_eq_u32_e64 s[4:5], 0, v11
	v_cndmask_b32_e64 v19, -1, v19, s[4:5]
	v_cmp_ne_u32_e64 s[4:5], 0, v19
	v_cndmask_b32_e32 v16, v16, v18, vcc
	v_cndmask_b32_e64 v11, v11, v17, s[4:5]
	v_cndmask_b32_e64 v10, v10, v16, s[4:5]
	s_branch .LBB29_134
.LBB29_137:
	s_or_b64 exec, exec, s[10:11]
	s_movk_i32 s4, 0x401
	s_add_u32 s4, 0x402, s4
	v_mov_b32_e32 v3, 0xfffff800
	s_addc_u32 s5, 0, 0
	v_add_co_u32_e32 v3, vcc, s4, v3
	s_cmp_lg_u64 vcc, 0
	v_readfirstlane_b32 s10, v3
	s_addc_u32 s4, s5, 1
	s_mul_hi_u32 s11, s10, 0x80000001
	s_mul_i32 s5, s4, 0x80000001
	s_sub_i32 s11, s11, s10
	s_add_i32 s11, s11, s5
	s_mul_i32 s15, s10, 0x80000001
	s_mul_hi_u32 s5, s10, s11
	s_mul_i32 s14, s10, s11
	s_mul_hi_u32 s10, s10, s15
	s_add_u32 s10, s10, s14
	s_addc_u32 s5, 0, s5
	s_mul_hi_u32 s16, s4, s15
	s_mul_i32 s15, s4, s15
	s_add_u32 s10, s10, s15
	s_mul_hi_u32 s14, s4, s11
	s_addc_u32 s5, s5, s16
	s_addc_u32 s10, s14, 0
	s_mul_i32 s11, s4, s11
	s_add_u32 s5, s5, s11
	s_addc_u32 s10, 0, s10
	v_add_co_u32_e32 v3, vcc, s5, v3
	s_cmp_lg_u64 vcc, 0
	s_addc_u32 s10, s4, s10
	v_mad_u64_u32 v[4:5], s[4:5], v6, s10, 0
	v_mul_hi_u32 v9, v6, v3
	v_add_co_u32_e32 v9, vcc, v9, v4
	v_addc_co_u32_e32 v16, vcc, 0, v5, vcc
	v_mad_u64_u32 v[14:15], s[4:5], v7, v3, 0
	v_add_co_u32_e32 v3, vcc, v9, v14
	v_mad_u64_u32 v[4:5], s[4:5], v7, s10, 0
	v_addc_co_u32_e32 v3, vcc, v16, v15, vcc
	v_addc_co_u32_e32 v5, vcc, 0, v5, vcc
	v_add_co_u32_e32 v3, vcc, v3, v4
	s_brev_b32 s10, -2
	v_addc_co_u32_e32 v9, vcc, 0, v5, vcc
	v_mad_u64_u32 v[4:5], s[4:5], v3, s10, 0
	v_mov_b32_e32 v14, v5
	v_mad_u64_u32 v[14:15], s[4:5], v9, s10, v[14:15]
	v_sub_co_u32_e32 v3, vcc, v6, v4
	v_subb_co_u32_e32 v4, vcc, v7, v14, vcc
	v_subrev_co_u32_e32 v5, vcc, 0x7fffffff, v3
	v_subbrev_co_u32_e32 v6, vcc, 0, v4, vcc
	s_mov_b32 s4, 0x7ffffffe
	v_cmp_lt_u32_e32 vcc, s4, v5
	v_cndmask_b32_e64 v7, 0, -1, vcc
	v_cmp_eq_u32_e32 vcc, 0, v6
	v_cndmask_b32_e32 v6, -1, v7, vcc
	v_add_u32_e32 v7, 0x80000001, v5
	v_cmp_ne_u32_e32 vcc, 0, v6
	v_cndmask_b32_e32 v5, v5, v7, vcc
	v_cmp_lt_u32_e32 vcc, s4, v3
	v_cndmask_b32_e64 v6, 0, -1, vcc
	v_cmp_eq_u32_e32 vcc, 0, v4
	v_cndmask_b32_e32 v4, -1, v6, vcc
	v_cmp_ne_u32_e32 vcc, 0, v4
	v_cndmask_b32_e32 v5, v3, v5, vcc
.LBB29_138:
	s_or_b64 exec, exec, s[8:9]
	s_movk_i32 s8, 0x1388
	v_mov_b32_e32 v9, 0
	s_mov_b32 s9, 0xbc8f1391
	s_mov_b32 s10, 0xbc8f
	s_brev_b32 s11, 12
	s_mov_b32 s14, 0xf800000
	v_mov_b32_e32 v3, 0x260
.LBB29_139:                             ; =>This Inner Loop Header: Depth=1
	v_mul_hi_u32 v4, v5, s9
	v_lshrrev_b32_e32 v4, 15, v4
	v_mul_u32_u24_e32 v7, 0xadc8, v4
	v_sub_u32_e32 v5, v5, v7
	v_mul_u32_u24_e32 v4, 0xd47, v4
	v_mul_lo_u32 v5, v5, s10
	v_xor_b32_e32 v7, 0x7fffffff, v4
	v_sub_u32_e32 v14, 0, v4
	v_cmp_lt_u32_e32 vcc, v5, v4
	v_cndmask_b32_e32 v4, v14, v7, vcc
	v_add_u32_e32 v4, v4, v5
	v_mul_hi_u32 v7, v4, s9
	v_lshrrev_b32_e32 v7, 15, v7
	v_mul_u32_u24_e32 v14, 0xadc8, v7
	v_add_u32_e32 v5, -1, v4
	v_sub_u32_e32 v4, v4, v14
	v_mul_u32_u24_e32 v7, 0xd47, v7
	v_mul_lo_u32 v4, v4, s10
	v_xor_b32_e32 v14, 0x7fffffff, v7
	v_sub_u32_e32 v15, 0, v7
	v_cmp_lt_u32_e32 vcc, v4, v7
	v_cndmask_b32_e32 v7, v15, v14, vcc
	v_add_u32_e32 v4, v7, v4
	v_mul_hi_u32 v14, v4, s9
	v_add_u32_e32 v7, -1, v4
	v_lshrrev_b32_e32 v14, 15, v14
	v_cvt_f32_u32_e32 v7, v7
	v_mul_u32_u24_e32 v15, 0xadc8, v14
	v_cvt_f32_u32_e32 v5, v5
	v_sub_u32_e32 v4, v4, v15
	v_mul_u32_u24_e32 v14, 0xd47, v14
	v_mul_lo_u32 v4, v4, s10
	v_xor_b32_e32 v15, 0x7fffffff, v14
	v_sub_u32_e32 v16, 0, v14
	v_cmp_lt_u32_e32 vcc, v4, v14
	v_fma_f32 v7, v7, s11, 0
	v_cndmask_b32_e32 v14, v16, v15, vcc
	v_fma_f32 v5, v5, s11, 0
	v_mul_f32_e32 v7, v7, v7
	v_add_u32_e32 v4, v14, v4
	v_fmac_f32_e32 v7, v5, v5
	v_mul_hi_u32 v14, v4, s9
	v_add_u32_e32 v5, -1, v4
	v_mul_f32_e32 v15, 0x4f800000, v7
	v_lshrrev_b32_e32 v14, 15, v14
	v_cmp_gt_f32_e32 vcc, s14, v7
	v_cvt_f32_u32_e32 v5, v5
	v_cndmask_b32_e32 v7, v7, v15, vcc
	v_mul_u32_u24_e32 v15, 0xadc8, v14
	v_sqrt_f32_e32 v16, v7
	v_sub_u32_e32 v4, v4, v15
	v_mul_u32_u24_e32 v14, 0xd47, v14
	v_mul_lo_u32 v4, v4, s10
	v_xor_b32_e32 v15, 0x7fffffff, v14
	v_sub_u32_e32 v17, 0, v14
	v_cmp_lt_u32_e64 s[4:5], v4, v14
	v_fma_f32 v20, v5, s11, 0
	v_cndmask_b32_e64 v5, v17, v15, s[4:5]
	v_add_u32_e32 v5, v5, v4
	v_add_u32_e32 v4, -1, v16
	v_add_u32_e32 v14, 1, v16
	v_add_u32_e32 v15, -1, v5
	v_fma_f32 v17, -v4, v16, v7
	v_fma_f32 v21, -v14, v16, v7
	v_cvt_f32_u32_e32 v15, v15
	v_cmp_ge_f32_e64 s[4:5], 0, v17
	v_cndmask_b32_e64 v4, v16, v4, s[4:5]
	v_cmp_lt_f32_e64 s[4:5], 0, v21
	v_cndmask_b32_e64 v4, v4, v14, s[4:5]
	v_mul_f32_e32 v14, 0x37800000, v4
	v_cndmask_b32_e32 v4, v4, v14, vcc
	v_fma_f32 v14, v15, s11, 0
	v_cmp_class_f32_e32 vcc, v7, v3
	v_cndmask_b32_e32 v4, v4, v7, vcc
	v_mul_f32_e32 v7, v14, v14
	v_add_f32_e32 v6, 1.0, v9
	v_cmp_nge_f32_e32 vcc, 1.0, v4
	v_fmac_f32_e32 v7, v20, v20
	v_cndmask_b32_e32 v4, v6, v9, vcc
	v_mul_f32_e32 v6, 0x4f800000, v7
	v_cmp_gt_f32_e32 vcc, s14, v7
	v_cndmask_b32_e32 v6, v7, v6, vcc
	v_sqrt_f32_e32 v7, v6
	s_add_i32 s8, s8, -2
	v_add_f32_e32 v9, 1.0, v4
	s_cmp_lg_u32 s8, 0
	v_add_u32_e32 v14, -1, v7
	v_add_u32_e32 v15, 1, v7
	v_fma_f32 v16, -v14, v7, v6
	v_fma_f32 v17, -v15, v7, v6
	v_cmp_ge_f32_e64 s[4:5], 0, v16
	v_cndmask_b32_e64 v7, v7, v14, s[4:5]
	v_cmp_lt_f32_e64 s[4:5], 0, v17
	v_cndmask_b32_e64 v7, v7, v15, s[4:5]
	v_mul_f32_e32 v14, 0x37800000, v7
	v_cndmask_b32_e32 v7, v7, v14, vcc
	v_cmp_class_f32_e32 vcc, v6, v3
	v_cndmask_b32_e32 v6, v7, v6, vcc
	v_cmp_nge_f32_e32 vcc, 1.0, v6
	v_cndmask_b32_e32 v9, v9, v4, vcc
	s_cbranch_scc1 .LBB29_139
; %bb.140:
	v_add_u32_e32 v4, 0x138800, v2
	v_cmp_ne_u32_e32 vcc, 0, v4
	v_mov_b32_e32 v5, 1
	s_and_saveexec_b64 s[8:9], vcc
	s_cbranch_execz .LBB29_170
; %bb.141:
	v_mov_b32_e32 v6, 1
	v_mov_b32_e32 v5, 0
	s_mov_b64 s[14:15], 0xbc8f
	s_mov_b64 s[10:11], 0
	v_mov_b32_e32 v7, 0
	s_brev_b32 s19, -2
	s_mov_b32 s20, 0x7ffffffe
	v_mov_b32_e32 v3, 0xfffff800
	s_movk_i32 s21, 0x401
	s_branch .LBB29_143
.LBB29_142:                             ;   in Loop: Header=BB29_143 Depth=1
	s_or_b64 exec, exec, s[16:17]
	s_mul_i32 s4, s14, s15
	s_mul_hi_u32 s5, s14, s14
	s_add_i32 s5, s5, s4
	s_add_i32 s4, s5, s4
	s_mul_i32 s5, s14, s14
	s_add_u32 s14, 0x402, s21
	s_addc_u32 s15, 0, 0
	v_add_co_u32_e32 v16, vcc, s14, v3
	s_cmp_lg_u64 vcc, 0
	v_readfirstlane_b32 s16, v16
	s_addc_u32 s14, s15, 1
	s_mul_hi_u32 s17, s16, 0x80000001
	s_mul_i32 s15, s14, 0x80000001
	s_sub_i32 s17, s17, s16
	s_add_i32 s17, s17, s15
	s_mul_i32 s25, s16, 0x80000001
	s_mul_hi_u32 s15, s16, s17
	s_mul_i32 s24, s16, s17
	s_mul_hi_u32 s16, s16, s25
	s_add_u32 s16, s16, s24
	s_addc_u32 s15, 0, s15
	s_mul_hi_u32 s26, s14, s25
	s_mul_i32 s25, s14, s25
	s_add_u32 s16, s16, s25
	s_mul_hi_u32 s24, s14, s17
	s_addc_u32 s15, s15, s26
	s_addc_u32 s16, s24, 0
	s_mul_i32 s17, s14, s17
	s_add_u32 s15, s15, s17
	s_addc_u32 s16, 0, s16
	v_add_co_u32_e32 v16, vcc, s15, v16
	s_cmp_lg_u64 vcc, 0
	s_addc_u32 s14, s14, s16
	v_readfirstlane_b32 s17, v16
	s_mul_i32 s16, s5, s14
	s_mul_hi_u32 s24, s5, s17
	s_mul_hi_u32 s15, s5, s14
	s_add_u32 s16, s24, s16
	s_addc_u32 s15, 0, s15
	s_mul_hi_u32 s25, s4, s17
	s_mul_i32 s17, s4, s17
	s_add_u32 s16, s16, s17
	s_mul_hi_u32 s24, s4, s14
	s_addc_u32 s15, s15, s25
	s_addc_u32 s16, s24, 0
	s_mul_i32 s14, s4, s14
	s_add_u32 s14, s15, s14
	s_addc_u32 s15, 0, s16
	s_mul_hi_u32 s16, s14, 0x7fffffff
	s_mul_i32 s14, s14, 0x7fffffff
	s_mul_i32 s15, s15, 0x7fffffff
	v_mov_b32_e32 v16, s14
	s_add_i32 s16, s16, s15
	v_sub_co_u32_e32 v16, vcc, s5, v16
	s_cmp_lg_u64 vcc, 0
	s_subb_u32 s4, s4, s16
	v_subrev_co_u32_e32 v17, vcc, s19, v16
	s_cmp_lg_u64 vcc, 0
	s_subb_u32 s5, s4, 0
	v_subrev_co_u32_e32 v20, vcc, s19, v17
	s_cmp_lg_u64 vcc, 0
	s_subb_u32 s14, s5, 0
	v_readfirstlane_b32 s15, v17
	s_cmp_gt_u32 s15, 0x7ffffffe
	s_cselect_b32 s16, -1, 0
	s_cmp_eq_u32 s5, 0
	s_cselect_b32 s16, s16, -1
	s_cmp_lg_u32 s16, 0
	s_cselect_b32 s5, s14, s5
	v_readfirstlane_b32 s14, v20
	v_readfirstlane_b32 s16, v16
	s_cselect_b32 s14, s14, s15
	s_cmp_gt_u32 s16, 0x7ffffffe
	s_cselect_b32 s15, -1, 0
	s_cmp_eq_u32 s4, 0
	s_cselect_b32 s15, s15, -1
	v_lshrrev_b64 v[14:15], 1, v[4:5]
	s_cmp_lg_u32 s15, 0
	v_cmp_gt_u64_e32 vcc, 2, v[4:5]
	s_cselect_b32 s15, s5, s4
	s_cselect_b32 s14, s14, s16
	s_or_b64 s[10:11], vcc, s[10:11]
	v_pk_mov_b32 v[4:5], v[14:15], v[14:15] op_sel:[0,1]
	s_andn2_b64 exec, exec, s[10:11]
	s_cbranch_execz .LBB29_169
.LBB29_143:                             ; =>This Inner Loop Header: Depth=1
	v_and_b32_e32 v14, 1, v4
	v_cmp_eq_u32_e32 vcc, 1, v14
	s_and_saveexec_b64 s[16:17], vcc
	s_cbranch_execz .LBB29_142
; %bb.144:                              ;   in Loop: Header=BB29_143 Depth=1
	v_mul_lo_u32 v14, s15, v6
	v_mul_lo_u32 v15, s14, v7
	v_mad_u64_u32 v[6:7], s[4:5], s14, v6, 0
	s_add_u32 s4, 0x402, s21
	v_add3_u32 v7, v7, v15, v14
	s_addc_u32 s5, 0, 0
	v_add_co_u32_e32 v14, vcc, s4, v3
	s_cmp_lg_u64 vcc, 0
	v_readfirstlane_b32 s24, v14
	s_addc_u32 s4, s5, 1
	s_mul_hi_u32 s25, s24, 0x80000001
	s_mul_i32 s5, s4, 0x80000001
	s_sub_i32 s25, s25, s24
	s_add_i32 s25, s25, s5
	s_mul_i32 s27, s24, 0x80000001
	s_mul_hi_u32 s5, s24, s25
	s_mul_i32 s26, s24, s25
	s_mul_hi_u32 s24, s24, s27
	s_add_u32 s24, s24, s26
	s_addc_u32 s5, 0, s5
	s_mul_hi_u32 s28, s4, s27
	s_mul_i32 s27, s4, s27
	s_add_u32 s24, s24, s27
	s_mul_hi_u32 s26, s4, s25
	s_addc_u32 s5, s5, s28
	s_addc_u32 s24, s26, 0
	s_mul_i32 s25, s4, s25
	s_add_u32 s5, s5, s25
	s_addc_u32 s24, 0, s24
	v_add_co_u32_e32 v16, vcc, s5, v14
	s_cmp_lg_u64 vcc, 0
	s_addc_u32 s24, s4, s24
	v_mad_u64_u32 v[14:15], s[4:5], v6, s24, 0
	v_mul_hi_u32 v17, v6, v16
	v_add_co_u32_e32 v20, vcc, v17, v14
	v_addc_co_u32_e32 v21, vcc, 0, v15, vcc
	v_mad_u64_u32 v[16:17], s[4:5], v7, v16, 0
	v_add_co_u32_e32 v16, vcc, v20, v16
	v_mad_u64_u32 v[14:15], s[4:5], v7, s24, 0
	v_addc_co_u32_e32 v16, vcc, v21, v17, vcc
	v_addc_co_u32_e32 v15, vcc, 0, v15, vcc
	v_add_co_u32_e32 v14, vcc, v16, v14
	v_addc_co_u32_e32 v17, vcc, 0, v15, vcc
	v_mad_u64_u32 v[14:15], s[4:5], v14, s19, 0
	v_mov_b32_e32 v16, v15
	v_mad_u64_u32 v[16:17], s[4:5], v17, s19, v[16:17]
	v_sub_co_u32_e32 v6, vcc, v6, v14
	v_subb_co_u32_e32 v7, vcc, v7, v16, vcc
	v_subrev_co_u32_e32 v14, vcc, s19, v6
	v_subbrev_co_u32_e32 v15, vcc, 0, v7, vcc
	v_subrev_co_u32_e32 v16, vcc, s19, v14
	v_subbrev_co_u32_e32 v17, vcc, 0, v15, vcc
	v_cmp_lt_u32_e32 vcc, s20, v14
	v_cndmask_b32_e64 v20, 0, -1, vcc
	v_cmp_eq_u32_e32 vcc, 0, v15
	v_cndmask_b32_e32 v20, -1, v20, vcc
	v_cmp_ne_u32_e32 vcc, 0, v20
	v_cmp_lt_u32_e64 s[4:5], s20, v6
	v_cndmask_b32_e32 v15, v15, v17, vcc
	v_cndmask_b32_e64 v17, 0, -1, s[4:5]
	v_cmp_eq_u32_e64 s[4:5], 0, v7
	v_cndmask_b32_e64 v17, -1, v17, s[4:5]
	v_cmp_ne_u32_e64 s[4:5], 0, v17
	v_cndmask_b32_e32 v14, v14, v16, vcc
	v_cndmask_b32_e64 v7, v7, v15, s[4:5]
	v_cndmask_b32_e64 v6, v6, v14, s[4:5]
	s_branch .LBB29_142
.LBB29_145:
	s_or_b64 exec, exec, s[10:11]
	s_movk_i32 s4, 0x401
	s_add_u32 s4, 0x402, s4
	v_mov_b32_e32 v3, 0xfffff800
	s_addc_u32 s5, 0, 0
	v_add_co_u32_e32 v3, vcc, s4, v3
	s_cmp_lg_u64 vcc, 0
	v_readfirstlane_b32 s10, v3
	s_addc_u32 s4, s5, 1
	s_mul_hi_u32 s11, s10, 0x80000001
	s_mul_i32 s5, s4, 0x80000001
	s_sub_i32 s11, s11, s10
	s_add_i32 s11, s11, s5
	s_mul_i32 s15, s10, 0x80000001
	s_mul_hi_u32 s5, s10, s11
	s_mul_i32 s14, s10, s11
	s_mul_hi_u32 s10, s10, s15
	s_add_u32 s10, s10, s14
	s_addc_u32 s5, 0, s5
	s_mul_hi_u32 s16, s4, s15
	s_mul_i32 s15, s4, s15
	s_add_u32 s10, s10, s15
	s_mul_hi_u32 s14, s4, s11
	s_addc_u32 s5, s5, s16
	s_addc_u32 s10, s14, 0
	s_mul_i32 s11, s4, s11
	s_add_u32 s5, s5, s11
	s_addc_u32 s10, 0, s10
	v_add_co_u32_e32 v3, vcc, s5, v3
	s_cmp_lg_u64 vcc, 0
	s_addc_u32 s10, s4, s10
	v_mad_u64_u32 v[4:5], s[4:5], v6, s10, 0
	v_mul_hi_u32 v9, v6, v3
	v_add_co_u32_e32 v9, vcc, v9, v4
	v_addc_co_u32_e32 v12, vcc, 0, v5, vcc
	v_mad_u64_u32 v[10:11], s[4:5], v7, v3, 0
	v_add_co_u32_e32 v3, vcc, v9, v10
	v_mad_u64_u32 v[4:5], s[4:5], v7, s10, 0
	v_addc_co_u32_e32 v3, vcc, v12, v11, vcc
	v_addc_co_u32_e32 v5, vcc, 0, v5, vcc
	v_add_co_u32_e32 v3, vcc, v3, v4
	s_brev_b32 s10, -2
	v_addc_co_u32_e32 v9, vcc, 0, v5, vcc
	v_mad_u64_u32 v[4:5], s[4:5], v3, s10, 0
	v_mov_b32_e32 v10, v5
	v_mad_u64_u32 v[10:11], s[4:5], v9, s10, v[10:11]
	v_sub_co_u32_e32 v3, vcc, v6, v4
	v_subb_co_u32_e32 v4, vcc, v7, v10, vcc
	v_subrev_co_u32_e32 v5, vcc, 0x7fffffff, v3
	v_subbrev_co_u32_e32 v6, vcc, 0, v4, vcc
	s_mov_b32 s4, 0x7ffffffe
	v_cmp_lt_u32_e32 vcc, s4, v5
	v_cndmask_b32_e64 v7, 0, -1, vcc
	v_cmp_eq_u32_e32 vcc, 0, v6
	v_cndmask_b32_e32 v6, -1, v7, vcc
	v_add_u32_e32 v7, 0x80000001, v5
	v_cmp_ne_u32_e32 vcc, 0, v6
	v_cndmask_b32_e32 v5, v5, v7, vcc
	v_cmp_lt_u32_e32 vcc, s4, v3
	v_cndmask_b32_e64 v6, 0, -1, vcc
	v_cmp_eq_u32_e32 vcc, 0, v4
	v_cndmask_b32_e32 v4, -1, v6, vcc
	v_cmp_ne_u32_e32 vcc, 0, v4
	v_cndmask_b32_e32 v5, v3, v5, vcc
.LBB29_146:
	s_or_b64 exec, exec, s[8:9]
	s_movk_i32 s8, 0x1388
	v_mov_b32_e32 v9, 0
	s_mov_b32 s9, 0xbc8f1391
	s_mov_b32 s10, 0xbc8f
	s_brev_b32 s11, 12
	s_mov_b32 s14, 0xf800000
	v_mov_b32_e32 v3, 0x260
.LBB29_147:                             ; =>This Inner Loop Header: Depth=1
	v_mul_hi_u32 v4, v5, s9
	v_lshrrev_b32_e32 v4, 15, v4
	v_mul_u32_u24_e32 v7, 0xadc8, v4
	v_sub_u32_e32 v5, v5, v7
	v_mul_u32_u24_e32 v4, 0xd47, v4
	v_mul_lo_u32 v5, v5, s10
	v_xor_b32_e32 v7, 0x7fffffff, v4
	v_sub_u32_e32 v10, 0, v4
	v_cmp_lt_u32_e32 vcc, v5, v4
	v_cndmask_b32_e32 v4, v10, v7, vcc
	v_add_u32_e32 v4, v4, v5
	v_mul_hi_u32 v7, v4, s9
	v_lshrrev_b32_e32 v7, 15, v7
	v_mul_u32_u24_e32 v10, 0xadc8, v7
	v_add_u32_e32 v5, -1, v4
	v_sub_u32_e32 v4, v4, v10
	v_mul_u32_u24_e32 v7, 0xd47, v7
	v_mul_lo_u32 v4, v4, s10
	v_xor_b32_e32 v10, 0x7fffffff, v7
	v_sub_u32_e32 v11, 0, v7
	v_cmp_lt_u32_e32 vcc, v4, v7
	v_cndmask_b32_e32 v7, v11, v10, vcc
	v_add_u32_e32 v4, v7, v4
	v_mul_hi_u32 v10, v4, s9
	v_add_u32_e32 v7, -1, v4
	v_lshrrev_b32_e32 v10, 15, v10
	v_cvt_f32_u32_e32 v7, v7
	v_mul_u32_u24_e32 v11, 0xadc8, v10
	v_cvt_f32_u32_e32 v5, v5
	v_sub_u32_e32 v4, v4, v11
	v_mul_u32_u24_e32 v10, 0xd47, v10
	v_mul_lo_u32 v4, v4, s10
	v_xor_b32_e32 v11, 0x7fffffff, v10
	v_sub_u32_e32 v12, 0, v10
	v_cmp_lt_u32_e32 vcc, v4, v10
	v_fma_f32 v7, v7, s11, 0
	v_cndmask_b32_e32 v10, v12, v11, vcc
	v_fma_f32 v5, v5, s11, 0
	v_mul_f32_e32 v7, v7, v7
	v_add_u32_e32 v4, v10, v4
	v_fmac_f32_e32 v7, v5, v5
	v_mul_hi_u32 v10, v4, s9
	v_add_u32_e32 v5, -1, v4
	v_mul_f32_e32 v11, 0x4f800000, v7
	v_lshrrev_b32_e32 v10, 15, v10
	v_cmp_gt_f32_e32 vcc, s14, v7
	v_cvt_f32_u32_e32 v5, v5
	v_cndmask_b32_e32 v7, v7, v11, vcc
	v_mul_u32_u24_e32 v11, 0xadc8, v10
	v_sqrt_f32_e32 v12, v7
	v_sub_u32_e32 v4, v4, v11
	v_mul_u32_u24_e32 v10, 0xd47, v10
	v_mul_lo_u32 v4, v4, s10
	v_xor_b32_e32 v11, 0x7fffffff, v10
	v_sub_u32_e32 v13, 0, v10
	v_cmp_lt_u32_e64 s[4:5], v4, v10
	v_fma_f32 v14, v5, s11, 0
	v_cndmask_b32_e64 v5, v13, v11, s[4:5]
	v_add_u32_e32 v5, v5, v4
	v_add_u32_e32 v4, -1, v12
	v_add_u32_e32 v10, 1, v12
	v_add_u32_e32 v11, -1, v5
	v_fma_f32 v13, -v4, v12, v7
	v_fma_f32 v15, -v10, v12, v7
	v_cvt_f32_u32_e32 v11, v11
	v_cmp_ge_f32_e64 s[4:5], 0, v13
	v_cndmask_b32_e64 v4, v12, v4, s[4:5]
	v_cmp_lt_f32_e64 s[4:5], 0, v15
	v_cndmask_b32_e64 v4, v4, v10, s[4:5]
	v_mul_f32_e32 v10, 0x37800000, v4
	v_cndmask_b32_e32 v4, v4, v10, vcc
	v_fma_f32 v10, v11, s11, 0
	v_cmp_class_f32_e32 vcc, v7, v3
	v_cndmask_b32_e32 v4, v4, v7, vcc
	v_mul_f32_e32 v7, v10, v10
	v_add_f32_e32 v6, 1.0, v9
	v_cmp_nge_f32_e32 vcc, 1.0, v4
	v_fmac_f32_e32 v7, v14, v14
	v_cndmask_b32_e32 v4, v6, v9, vcc
	v_mul_f32_e32 v6, 0x4f800000, v7
	v_cmp_gt_f32_e32 vcc, s14, v7
	v_cndmask_b32_e32 v6, v7, v6, vcc
	v_sqrt_f32_e32 v7, v6
	s_add_i32 s8, s8, -2
	v_add_f32_e32 v9, 1.0, v4
	s_cmp_lg_u32 s8, 0
	v_add_u32_e32 v10, -1, v7
	v_add_u32_e32 v11, 1, v7
	v_fma_f32 v12, -v10, v7, v6
	v_fma_f32 v13, -v11, v7, v6
	v_cmp_ge_f32_e64 s[4:5], 0, v12
	v_cndmask_b32_e64 v7, v7, v10, s[4:5]
	v_cmp_lt_f32_e64 s[4:5], 0, v13
	v_cndmask_b32_e64 v7, v7, v11, s[4:5]
	v_mul_f32_e32 v10, 0x37800000, v7
	v_cndmask_b32_e32 v7, v7, v10, vcc
	v_cmp_class_f32_e32 vcc, v6, v3
	v_cndmask_b32_e32 v6, v7, v6, vcc
	v_cmp_nge_f32_e32 vcc, 1.0, v6
	v_cndmask_b32_e32 v9, v9, v4, vcc
	s_cbranch_scc1 .LBB29_147
; %bb.148:
	v_add_u32_e32 v4, 0x138800, v2
	v_cmp_ne_u32_e32 vcc, 0, v4
	v_mov_b32_e32 v5, 1
	s_and_saveexec_b64 s[8:9], vcc
	s_cbranch_execz .LBB29_178
; %bb.149:
	v_mov_b32_e32 v6, 1
	v_mov_b32_e32 v5, 0
	s_mov_b64 s[14:15], 0xbc8f
	s_mov_b64 s[10:11], 0
	v_mov_b32_e32 v7, 0
	s_brev_b32 s19, -2
	s_mov_b32 s20, 0x7ffffffe
	v_mov_b32_e32 v3, 0xfffff800
	s_movk_i32 s21, 0x401
	s_branch .LBB29_151
.LBB29_150:                             ;   in Loop: Header=BB29_151 Depth=1
	s_or_b64 exec, exec, s[16:17]
	s_mul_i32 s4, s14, s15
	s_mul_hi_u32 s5, s14, s14
	s_add_i32 s5, s5, s4
	s_add_i32 s4, s5, s4
	s_mul_i32 s5, s14, s14
	s_add_u32 s14, 0x402, s21
	s_addc_u32 s15, 0, 0
	v_add_co_u32_e32 v12, vcc, s14, v3
	s_cmp_lg_u64 vcc, 0
	v_readfirstlane_b32 s16, v12
	s_addc_u32 s14, s15, 1
	s_mul_hi_u32 s17, s16, 0x80000001
	s_mul_i32 s15, s14, 0x80000001
	s_sub_i32 s17, s17, s16
	s_add_i32 s17, s17, s15
	s_mul_i32 s23, s16, 0x80000001
	s_mul_hi_u32 s15, s16, s17
	s_mul_i32 s22, s16, s17
	s_mul_hi_u32 s16, s16, s23
	s_add_u32 s16, s16, s22
	s_addc_u32 s15, 0, s15
	s_mul_hi_u32 s24, s14, s23
	s_mul_i32 s23, s14, s23
	s_add_u32 s16, s16, s23
	s_mul_hi_u32 s22, s14, s17
	s_addc_u32 s15, s15, s24
	s_addc_u32 s16, s22, 0
	s_mul_i32 s17, s14, s17
	s_add_u32 s15, s15, s17
	s_addc_u32 s16, 0, s16
	v_add_co_u32_e32 v12, vcc, s15, v12
	s_cmp_lg_u64 vcc, 0
	s_addc_u32 s14, s14, s16
	v_readfirstlane_b32 s17, v12
	s_mul_i32 s16, s5, s14
	s_mul_hi_u32 s22, s5, s17
	s_mul_hi_u32 s15, s5, s14
	s_add_u32 s16, s22, s16
	s_addc_u32 s15, 0, s15
	s_mul_hi_u32 s23, s4, s17
	s_mul_i32 s17, s4, s17
	s_add_u32 s16, s16, s17
	s_mul_hi_u32 s22, s4, s14
	s_addc_u32 s15, s15, s23
	s_addc_u32 s16, s22, 0
	s_mul_i32 s14, s4, s14
	s_add_u32 s14, s15, s14
	s_addc_u32 s15, 0, s16
	s_mul_hi_u32 s16, s14, 0x7fffffff
	s_mul_i32 s14, s14, 0x7fffffff
	s_mul_i32 s15, s15, 0x7fffffff
	v_mov_b32_e32 v12, s14
	s_add_i32 s16, s16, s15
	v_sub_co_u32_e32 v12, vcc, s5, v12
	s_cmp_lg_u64 vcc, 0
	s_subb_u32 s4, s4, s16
	v_subrev_co_u32_e32 v13, vcc, s19, v12
	s_cmp_lg_u64 vcc, 0
	s_subb_u32 s5, s4, 0
	v_subrev_co_u32_e32 v14, vcc, s19, v13
	s_cmp_lg_u64 vcc, 0
	s_subb_u32 s14, s5, 0
	v_readfirstlane_b32 s15, v13
	s_cmp_gt_u32 s15, 0x7ffffffe
	s_cselect_b32 s16, -1, 0
	s_cmp_eq_u32 s5, 0
	s_cselect_b32 s16, s16, -1
	s_cmp_lg_u32 s16, 0
	s_cselect_b32 s5, s14, s5
	v_readfirstlane_b32 s14, v14
	v_readfirstlane_b32 s16, v12
	s_cselect_b32 s14, s14, s15
	s_cmp_gt_u32 s16, 0x7ffffffe
	s_cselect_b32 s15, -1, 0
	s_cmp_eq_u32 s4, 0
	s_cselect_b32 s15, s15, -1
	v_lshrrev_b64 v[10:11], 1, v[4:5]
	s_cmp_lg_u32 s15, 0
	v_cmp_gt_u64_e32 vcc, 2, v[4:5]
	s_cselect_b32 s15, s5, s4
	s_cselect_b32 s14, s14, s16
	s_or_b64 s[10:11], vcc, s[10:11]
	v_pk_mov_b32 v[4:5], v[10:11], v[10:11] op_sel:[0,1]
	s_andn2_b64 exec, exec, s[10:11]
	s_cbranch_execz .LBB29_177
.LBB29_151:                             ; =>This Inner Loop Header: Depth=1
	v_and_b32_e32 v10, 1, v4
	v_cmp_eq_u32_e32 vcc, 1, v10
	s_and_saveexec_b64 s[16:17], vcc
	s_cbranch_execz .LBB29_150
; %bb.152:                              ;   in Loop: Header=BB29_151 Depth=1
	v_mul_lo_u32 v10, s15, v6
	v_mul_lo_u32 v11, s14, v7
	v_mad_u64_u32 v[6:7], s[4:5], s14, v6, 0
	s_add_u32 s4, 0x402, s21
	v_add3_u32 v7, v7, v11, v10
	s_addc_u32 s5, 0, 0
	v_add_co_u32_e32 v10, vcc, s4, v3
	s_cmp_lg_u64 vcc, 0
	v_readfirstlane_b32 s22, v10
	s_addc_u32 s4, s5, 1
	s_mul_hi_u32 s23, s22, 0x80000001
	s_mul_i32 s5, s4, 0x80000001
	s_sub_i32 s23, s23, s22
	s_add_i32 s23, s23, s5
	s_mul_i32 s25, s22, 0x80000001
	s_mul_hi_u32 s5, s22, s23
	s_mul_i32 s24, s22, s23
	s_mul_hi_u32 s22, s22, s25
	s_add_u32 s22, s22, s24
	s_addc_u32 s5, 0, s5
	s_mul_hi_u32 s26, s4, s25
	s_mul_i32 s25, s4, s25
	s_add_u32 s22, s22, s25
	s_mul_hi_u32 s24, s4, s23
	s_addc_u32 s5, s5, s26
	s_addc_u32 s22, s24, 0
	s_mul_i32 s23, s4, s23
	s_add_u32 s5, s5, s23
	s_addc_u32 s22, 0, s22
	v_add_co_u32_e32 v12, vcc, s5, v10
	s_cmp_lg_u64 vcc, 0
	s_addc_u32 s22, s4, s22
	v_mad_u64_u32 v[10:11], s[4:5], v6, s22, 0
	v_mul_hi_u32 v13, v6, v12
	v_add_co_u32_e32 v14, vcc, v13, v10
	v_addc_co_u32_e32 v15, vcc, 0, v11, vcc
	v_mad_u64_u32 v[12:13], s[4:5], v7, v12, 0
	v_add_co_u32_e32 v12, vcc, v14, v12
	v_mad_u64_u32 v[10:11], s[4:5], v7, s22, 0
	v_addc_co_u32_e32 v12, vcc, v15, v13, vcc
	v_addc_co_u32_e32 v11, vcc, 0, v11, vcc
	v_add_co_u32_e32 v10, vcc, v12, v10
	v_addc_co_u32_e32 v13, vcc, 0, v11, vcc
	v_mad_u64_u32 v[10:11], s[4:5], v10, s19, 0
	v_mov_b32_e32 v12, v11
	v_mad_u64_u32 v[12:13], s[4:5], v13, s19, v[12:13]
	v_sub_co_u32_e32 v6, vcc, v6, v10
	v_subb_co_u32_e32 v7, vcc, v7, v12, vcc
	v_subrev_co_u32_e32 v10, vcc, s19, v6
	v_subbrev_co_u32_e32 v11, vcc, 0, v7, vcc
	v_subrev_co_u32_e32 v12, vcc, s19, v10
	v_subbrev_co_u32_e32 v13, vcc, 0, v11, vcc
	v_cmp_lt_u32_e32 vcc, s20, v10
	v_cndmask_b32_e64 v14, 0, -1, vcc
	v_cmp_eq_u32_e32 vcc, 0, v11
	v_cndmask_b32_e32 v14, -1, v14, vcc
	v_cmp_ne_u32_e32 vcc, 0, v14
	v_cmp_lt_u32_e64 s[4:5], s20, v6
	v_cndmask_b32_e32 v11, v11, v13, vcc
	v_cndmask_b32_e64 v13, 0, -1, s[4:5]
	v_cmp_eq_u32_e64 s[4:5], 0, v7
	v_cndmask_b32_e64 v13, -1, v13, s[4:5]
	v_cmp_ne_u32_e64 s[4:5], 0, v13
	v_cndmask_b32_e32 v10, v10, v12, vcc
	v_cndmask_b32_e64 v7, v7, v11, s[4:5]
	v_cndmask_b32_e64 v6, v6, v10, s[4:5]
	s_branch .LBB29_150
.LBB29_153:
	s_or_b64 exec, exec, s[10:11]
	s_movk_i32 s4, 0x401
	s_add_u32 s4, 0x402, s4
	v_mov_b32_e32 v5, 0xfffff800
	s_addc_u32 s5, 0, 0
	v_add_co_u32_e32 v5, vcc, s4, v5
	s_cmp_lg_u64 vcc, 0
	v_readfirstlane_b32 s10, v5
	s_addc_u32 s4, s5, 1
	s_mul_hi_u32 s11, s10, 0x80000001
	s_mul_i32 s5, s4, 0x80000001
	s_sub_i32 s11, s11, s10
	s_add_i32 s11, s11, s5
	s_mul_i32 s15, s10, 0x80000001
	s_mul_hi_u32 s5, s10, s11
	s_mul_i32 s14, s10, s11
	s_mul_hi_u32 s10, s10, s15
	s_add_u32 s10, s10, s14
	s_addc_u32 s5, 0, s5
	s_mul_hi_u32 s16, s4, s15
	s_mul_i32 s15, s4, s15
	s_add_u32 s10, s10, s15
	s_mul_hi_u32 s14, s4, s11
	s_addc_u32 s5, s5, s16
	s_addc_u32 s10, s14, 0
	s_mul_i32 s11, s4, s11
	s_add_u32 s5, s5, s11
	s_addc_u32 s10, 0, s10
	v_add_co_u32_e32 v5, vcc, s5, v5
	s_cmp_lg_u64 vcc, 0
	s_addc_u32 s10, s4, s10
	v_mad_u64_u32 v[6:7], s[4:5], v8, s10, 0
	v_mul_hi_u32 v13, v8, v5
	v_add_co_u32_e32 v13, vcc, v13, v6
	v_addc_co_u32_e32 v16, vcc, 0, v7, vcc
	v_mad_u64_u32 v[14:15], s[4:5], v9, v5, 0
	v_add_co_u32_e32 v5, vcc, v13, v14
	v_mad_u64_u32 v[6:7], s[4:5], v9, s10, 0
	v_addc_co_u32_e32 v5, vcc, v16, v15, vcc
	v_addc_co_u32_e32 v7, vcc, 0, v7, vcc
	v_add_co_u32_e32 v5, vcc, v5, v6
	s_brev_b32 s10, -2
	v_addc_co_u32_e32 v13, vcc, 0, v7, vcc
	v_mad_u64_u32 v[6:7], s[4:5], v5, s10, 0
	v_mov_b32_e32 v14, v7
	v_mad_u64_u32 v[14:15], s[4:5], v13, s10, v[14:15]
	v_sub_co_u32_e32 v5, vcc, v8, v6
	v_subb_co_u32_e32 v6, vcc, v9, v14, vcc
	v_subrev_co_u32_e32 v7, vcc, 0x7fffffff, v5
	v_subbrev_co_u32_e32 v8, vcc, 0, v6, vcc
	s_mov_b32 s4, 0x7ffffffe
	v_cmp_lt_u32_e32 vcc, s4, v7
	v_cndmask_b32_e64 v9, 0, -1, vcc
	v_cmp_eq_u32_e32 vcc, 0, v8
	v_cndmask_b32_e32 v8, -1, v9, vcc
	v_add_u32_e32 v9, 0x80000001, v7
	v_cmp_ne_u32_e32 vcc, 0, v8
	v_cndmask_b32_e32 v7, v7, v9, vcc
	v_cmp_lt_u32_e32 vcc, s4, v5
	v_cndmask_b32_e64 v8, 0, -1, vcc
	v_cmp_eq_u32_e32 vcc, 0, v6
	v_cndmask_b32_e32 v6, -1, v8, vcc
	v_cmp_ne_u32_e32 vcc, 0, v6
	v_cndmask_b32_e32 v7, v5, v7, vcc
.LBB29_154:
	s_or_b64 exec, exec, s[8:9]
	s_movk_i32 s8, 0x1388
	v_mov_b32_e32 v13, 0
	s_mov_b32 s9, 0xbc8f1391
	s_mov_b32 s10, 0xbc8f
	s_brev_b32 s11, 12
	s_mov_b32 s14, 0xf800000
	v_mov_b32_e32 v5, 0x260
.LBB29_155:                             ; =>This Inner Loop Header: Depth=1
	v_mul_hi_u32 v6, v7, s9
	v_lshrrev_b32_e32 v6, 15, v6
	v_mul_u32_u24_e32 v9, 0xadc8, v6
	v_sub_u32_e32 v7, v7, v9
	v_mul_u32_u24_e32 v6, 0xd47, v6
	v_mul_lo_u32 v7, v7, s10
	v_xor_b32_e32 v9, 0x7fffffff, v6
	v_sub_u32_e32 v14, 0, v6
	v_cmp_lt_u32_e32 vcc, v7, v6
	v_cndmask_b32_e32 v6, v14, v9, vcc
	v_add_u32_e32 v6, v6, v7
	v_mul_hi_u32 v9, v6, s9
	v_lshrrev_b32_e32 v9, 15, v9
	v_mul_u32_u24_e32 v14, 0xadc8, v9
	v_add_u32_e32 v7, -1, v6
	v_sub_u32_e32 v6, v6, v14
	v_mul_u32_u24_e32 v9, 0xd47, v9
	v_mul_lo_u32 v6, v6, s10
	v_xor_b32_e32 v14, 0x7fffffff, v9
	v_sub_u32_e32 v15, 0, v9
	v_cmp_lt_u32_e32 vcc, v6, v9
	v_cndmask_b32_e32 v9, v15, v14, vcc
	v_add_u32_e32 v6, v9, v6
	v_mul_hi_u32 v14, v6, s9
	v_add_u32_e32 v9, -1, v6
	v_lshrrev_b32_e32 v14, 15, v14
	v_cvt_f32_u32_e32 v9, v9
	v_mul_u32_u24_e32 v15, 0xadc8, v14
	v_cvt_f32_u32_e32 v7, v7
	v_sub_u32_e32 v6, v6, v15
	v_mul_u32_u24_e32 v14, 0xd47, v14
	v_mul_lo_u32 v6, v6, s10
	v_xor_b32_e32 v15, 0x7fffffff, v14
	v_sub_u32_e32 v16, 0, v14
	v_cmp_lt_u32_e32 vcc, v6, v14
	v_fma_f32 v9, v9, s11, 0
	v_cndmask_b32_e32 v14, v16, v15, vcc
	v_fma_f32 v7, v7, s11, 0
	v_mul_f32_e32 v9, v9, v9
	v_add_u32_e32 v6, v14, v6
	v_fmac_f32_e32 v9, v7, v7
	v_mul_hi_u32 v14, v6, s9
	v_add_u32_e32 v7, -1, v6
	v_mul_f32_e32 v15, 0x4f800000, v9
	v_lshrrev_b32_e32 v14, 15, v14
	v_cmp_gt_f32_e32 vcc, s14, v9
	v_cvt_f32_u32_e32 v7, v7
	v_cndmask_b32_e32 v9, v9, v15, vcc
	v_mul_u32_u24_e32 v15, 0xadc8, v14
	v_sqrt_f32_e32 v16, v9
	v_sub_u32_e32 v6, v6, v15
	v_mul_u32_u24_e32 v14, 0xd47, v14
	v_mul_lo_u32 v6, v6, s10
	v_xor_b32_e32 v15, 0x7fffffff, v14
	v_sub_u32_e32 v17, 0, v14
	v_cmp_lt_u32_e64 s[4:5], v6, v14
	v_fma_f32 v18, v7, s11, 0
	v_cndmask_b32_e64 v7, v17, v15, s[4:5]
	v_add_u32_e32 v7, v7, v6
	v_add_u32_e32 v6, -1, v16
	v_add_u32_e32 v14, 1, v16
	v_add_u32_e32 v15, -1, v7
	v_fma_f32 v17, -v6, v16, v9
	v_fma_f32 v19, -v14, v16, v9
	v_cvt_f32_u32_e32 v15, v15
	v_cmp_ge_f32_e64 s[4:5], 0, v17
	v_cndmask_b32_e64 v6, v16, v6, s[4:5]
	v_cmp_lt_f32_e64 s[4:5], 0, v19
	v_cndmask_b32_e64 v6, v6, v14, s[4:5]
	v_mul_f32_e32 v14, 0x37800000, v6
	v_cndmask_b32_e32 v6, v6, v14, vcc
	v_fma_f32 v14, v15, s11, 0
	v_cmp_class_f32_e32 vcc, v9, v5
	v_cndmask_b32_e32 v6, v6, v9, vcc
	v_mul_f32_e32 v9, v14, v14
	v_add_f32_e32 v8, 1.0, v13
	v_cmp_nge_f32_e32 vcc, 1.0, v6
	v_fmac_f32_e32 v9, v18, v18
	v_cndmask_b32_e32 v6, v8, v13, vcc
	v_mul_f32_e32 v8, 0x4f800000, v9
	v_cmp_gt_f32_e32 vcc, s14, v9
	v_cndmask_b32_e32 v8, v9, v8, vcc
	v_sqrt_f32_e32 v9, v8
	s_add_i32 s8, s8, -2
	v_add_f32_e32 v13, 1.0, v6
	s_cmp_lg_u32 s8, 0
	v_add_u32_e32 v14, -1, v9
	v_add_u32_e32 v15, 1, v9
	v_fma_f32 v16, -v14, v9, v8
	v_fma_f32 v17, -v15, v9, v8
	v_cmp_ge_f32_e64 s[4:5], 0, v16
	v_cndmask_b32_e64 v9, v9, v14, s[4:5]
	v_cmp_lt_f32_e64 s[4:5], 0, v17
	v_cndmask_b32_e64 v9, v9, v15, s[4:5]
	v_mul_f32_e32 v14, 0x37800000, v9
	v_cndmask_b32_e32 v9, v9, v14, vcc
	v_cmp_class_f32_e32 vcc, v8, v5
	v_cndmask_b32_e32 v8, v9, v8, vcc
	v_cmp_nge_f32_e32 vcc, 1.0, v8
	v_cndmask_b32_e32 v13, v13, v6, vcc
	s_cbranch_scc1 .LBB29_155
; %bb.156:
	v_add_u32_e32 v6, 0x138800, v4
	v_cmp_ne_u32_e32 vcc, 0, v6
	v_mov_b32_e32 v7, 1
	s_and_saveexec_b64 s[8:9], vcc
	s_cbranch_execz .LBB29_186
; %bb.157:
	v_mov_b32_e32 v8, 1
	v_mov_b32_e32 v7, 0
	s_mov_b64 s[14:15], 0xbc8f
	s_mov_b64 s[10:11], 0
	v_mov_b32_e32 v9, 0
	s_brev_b32 s19, -2
	s_mov_b32 s20, 0x7ffffffe
	v_mov_b32_e32 v5, 0xfffff800
	s_movk_i32 s21, 0x401
	s_branch .LBB29_159
.LBB29_158:                             ;   in Loop: Header=BB29_159 Depth=1
	s_or_b64 exec, exec, s[16:17]
	s_mul_i32 s4, s14, s15
	s_mul_hi_u32 s5, s14, s14
	s_add_i32 s5, s5, s4
	s_add_i32 s4, s5, s4
	s_mul_i32 s5, s14, s14
	s_add_u32 s14, 0x402, s21
	s_addc_u32 s15, 0, 0
	v_add_co_u32_e32 v16, vcc, s14, v5
	s_cmp_lg_u64 vcc, 0
	v_readfirstlane_b32 s16, v16
	s_addc_u32 s14, s15, 1
	s_mul_hi_u32 s17, s16, 0x80000001
	s_mul_i32 s15, s14, 0x80000001
	s_sub_i32 s17, s17, s16
	s_add_i32 s17, s17, s15
	s_mul_i32 s23, s16, 0x80000001
	s_mul_hi_u32 s15, s16, s17
	s_mul_i32 s22, s16, s17
	s_mul_hi_u32 s16, s16, s23
	s_add_u32 s16, s16, s22
	s_addc_u32 s15, 0, s15
	s_mul_hi_u32 s24, s14, s23
	s_mul_i32 s23, s14, s23
	s_add_u32 s16, s16, s23
	s_mul_hi_u32 s22, s14, s17
	s_addc_u32 s15, s15, s24
	s_addc_u32 s16, s22, 0
	s_mul_i32 s17, s14, s17
	s_add_u32 s15, s15, s17
	s_addc_u32 s16, 0, s16
	v_add_co_u32_e32 v16, vcc, s15, v16
	s_cmp_lg_u64 vcc, 0
	s_addc_u32 s14, s14, s16
	v_readfirstlane_b32 s17, v16
	s_mul_i32 s16, s5, s14
	s_mul_hi_u32 s22, s5, s17
	s_mul_hi_u32 s15, s5, s14
	s_add_u32 s16, s22, s16
	s_addc_u32 s15, 0, s15
	s_mul_hi_u32 s23, s4, s17
	s_mul_i32 s17, s4, s17
	s_add_u32 s16, s16, s17
	s_mul_hi_u32 s22, s4, s14
	s_addc_u32 s15, s15, s23
	s_addc_u32 s16, s22, 0
	s_mul_i32 s14, s4, s14
	s_add_u32 s14, s15, s14
	s_addc_u32 s15, 0, s16
	s_mul_hi_u32 s16, s14, 0x7fffffff
	s_mul_i32 s14, s14, 0x7fffffff
	s_mul_i32 s15, s15, 0x7fffffff
	v_mov_b32_e32 v16, s14
	s_add_i32 s16, s16, s15
	v_sub_co_u32_e32 v16, vcc, s5, v16
	s_cmp_lg_u64 vcc, 0
	s_subb_u32 s4, s4, s16
	v_subrev_co_u32_e32 v17, vcc, s19, v16
	s_cmp_lg_u64 vcc, 0
	s_subb_u32 s5, s4, 0
	v_subrev_co_u32_e32 v18, vcc, s19, v17
	s_cmp_lg_u64 vcc, 0
	s_subb_u32 s14, s5, 0
	v_readfirstlane_b32 s15, v17
	s_cmp_gt_u32 s15, 0x7ffffffe
	s_cselect_b32 s16, -1, 0
	s_cmp_eq_u32 s5, 0
	s_cselect_b32 s16, s16, -1
	s_cmp_lg_u32 s16, 0
	s_cselect_b32 s5, s14, s5
	v_readfirstlane_b32 s14, v18
	v_readfirstlane_b32 s16, v16
	s_cselect_b32 s14, s14, s15
	s_cmp_gt_u32 s16, 0x7ffffffe
	s_cselect_b32 s15, -1, 0
	s_cmp_eq_u32 s4, 0
	s_cselect_b32 s15, s15, -1
	v_lshrrev_b64 v[14:15], 1, v[6:7]
	s_cmp_lg_u32 s15, 0
	v_cmp_gt_u64_e32 vcc, 2, v[6:7]
	s_cselect_b32 s15, s5, s4
	s_cselect_b32 s14, s14, s16
	s_or_b64 s[10:11], vcc, s[10:11]
	v_pk_mov_b32 v[6:7], v[14:15], v[14:15] op_sel:[0,1]
	s_andn2_b64 exec, exec, s[10:11]
	s_cbranch_execz .LBB29_185
.LBB29_159:                             ; =>This Inner Loop Header: Depth=1
	v_and_b32_e32 v14, 1, v6
	v_cmp_eq_u32_e32 vcc, 1, v14
	s_and_saveexec_b64 s[16:17], vcc
	s_cbranch_execz .LBB29_158
; %bb.160:                              ;   in Loop: Header=BB29_159 Depth=1
	v_mul_lo_u32 v14, s15, v8
	v_mul_lo_u32 v15, s14, v9
	v_mad_u64_u32 v[8:9], s[4:5], s14, v8, 0
	s_add_u32 s4, 0x402, s21
	v_add3_u32 v9, v9, v15, v14
	s_addc_u32 s5, 0, 0
	v_add_co_u32_e32 v14, vcc, s4, v5
	s_cmp_lg_u64 vcc, 0
	v_readfirstlane_b32 s22, v14
	s_addc_u32 s4, s5, 1
	s_mul_hi_u32 s23, s22, 0x80000001
	s_mul_i32 s5, s4, 0x80000001
	s_sub_i32 s23, s23, s22
	s_add_i32 s23, s23, s5
	s_mul_i32 s25, s22, 0x80000001
	s_mul_hi_u32 s5, s22, s23
	s_mul_i32 s24, s22, s23
	s_mul_hi_u32 s22, s22, s25
	s_add_u32 s22, s22, s24
	s_addc_u32 s5, 0, s5
	s_mul_hi_u32 s26, s4, s25
	s_mul_i32 s25, s4, s25
	s_add_u32 s22, s22, s25
	s_mul_hi_u32 s24, s4, s23
	s_addc_u32 s5, s5, s26
	s_addc_u32 s22, s24, 0
	s_mul_i32 s23, s4, s23
	s_add_u32 s5, s5, s23
	s_addc_u32 s22, 0, s22
	v_add_co_u32_e32 v16, vcc, s5, v14
	s_cmp_lg_u64 vcc, 0
	s_addc_u32 s22, s4, s22
	v_mad_u64_u32 v[14:15], s[4:5], v8, s22, 0
	v_mul_hi_u32 v17, v8, v16
	v_add_co_u32_e32 v18, vcc, v17, v14
	v_addc_co_u32_e32 v19, vcc, 0, v15, vcc
	v_mad_u64_u32 v[16:17], s[4:5], v9, v16, 0
	v_add_co_u32_e32 v16, vcc, v18, v16
	v_mad_u64_u32 v[14:15], s[4:5], v9, s22, 0
	v_addc_co_u32_e32 v16, vcc, v19, v17, vcc
	v_addc_co_u32_e32 v15, vcc, 0, v15, vcc
	v_add_co_u32_e32 v14, vcc, v16, v14
	v_addc_co_u32_e32 v17, vcc, 0, v15, vcc
	v_mad_u64_u32 v[14:15], s[4:5], v14, s19, 0
	v_mov_b32_e32 v16, v15
	v_mad_u64_u32 v[16:17], s[4:5], v17, s19, v[16:17]
	v_sub_co_u32_e32 v8, vcc, v8, v14
	v_subb_co_u32_e32 v9, vcc, v9, v16, vcc
	v_subrev_co_u32_e32 v14, vcc, s19, v8
	v_subbrev_co_u32_e32 v15, vcc, 0, v9, vcc
	v_subrev_co_u32_e32 v16, vcc, s19, v14
	v_subbrev_co_u32_e32 v17, vcc, 0, v15, vcc
	v_cmp_lt_u32_e32 vcc, s20, v14
	v_cndmask_b32_e64 v18, 0, -1, vcc
	v_cmp_eq_u32_e32 vcc, 0, v15
	v_cndmask_b32_e32 v18, -1, v18, vcc
	v_cmp_ne_u32_e32 vcc, 0, v18
	v_cmp_lt_u32_e64 s[4:5], s20, v8
	v_cndmask_b32_e32 v15, v15, v17, vcc
	v_cndmask_b32_e64 v17, 0, -1, s[4:5]
	v_cmp_eq_u32_e64 s[4:5], 0, v9
	v_cndmask_b32_e64 v17, -1, v17, s[4:5]
	v_cmp_ne_u32_e64 s[4:5], 0, v17
	v_cndmask_b32_e32 v14, v14, v16, vcc
	v_cndmask_b32_e64 v9, v9, v15, s[4:5]
	v_cndmask_b32_e64 v8, v8, v14, s[4:5]
	s_branch .LBB29_158
.LBB29_161:
	s_or_b64 exec, exec, s[10:11]
	s_movk_i32 s4, 0x401
	s_add_u32 s4, 0x402, s4
	v_mov_b32_e32 v3, 0xfffff800
	s_addc_u32 s5, 0, 0
	v_add_co_u32_e32 v3, vcc, s4, v3
	s_cmp_lg_u64 vcc, 0
	v_readfirstlane_b32 s10, v3
	s_addc_u32 s4, s5, 1
	s_mul_hi_u32 s11, s10, 0x80000001
	s_mul_i32 s5, s4, 0x80000001
	s_sub_i32 s11, s11, s10
	s_add_i32 s11, s11, s5
	s_mul_i32 s17, s10, 0x80000001
	s_mul_hi_u32 s5, s10, s11
	s_mul_i32 s16, s10, s11
	s_mul_hi_u32 s10, s10, s17
	s_add_u32 s10, s10, s16
	s_addc_u32 s5, 0, s5
	s_mul_hi_u32 s18, s4, s17
	s_mul_i32 s17, s4, s17
	s_add_u32 s10, s10, s17
	s_mul_hi_u32 s16, s4, s11
	s_addc_u32 s5, s5, s18
	s_addc_u32 s10, s16, 0
	s_mul_i32 s11, s4, s11
	s_add_u32 s5, s5, s11
	s_addc_u32 s10, 0, s10
	v_add_co_u32_e32 v3, vcc, s5, v3
	s_cmp_lg_u64 vcc, 0
	s_addc_u32 s10, s4, s10
	v_mad_u64_u32 v[4:5], s[4:5], v10, s10, 0
	v_mul_hi_u32 v16, v10, v3
	v_add_co_u32_e32 v18, vcc, v16, v4
	v_addc_co_u32_e32 v19, vcc, 0, v5, vcc
	v_mad_u64_u32 v[16:17], s[4:5], v11, v3, 0
	v_add_co_u32_e32 v3, vcc, v18, v16
	v_mad_u64_u32 v[4:5], s[4:5], v11, s10, 0
	v_addc_co_u32_e32 v3, vcc, v19, v17, vcc
	v_addc_co_u32_e32 v5, vcc, 0, v5, vcc
	v_add_co_u32_e32 v3, vcc, v3, v4
	s_brev_b32 s10, -2
	v_addc_co_u32_e32 v17, vcc, 0, v5, vcc
	v_mad_u64_u32 v[4:5], s[4:5], v3, s10, 0
	v_mov_b32_e32 v16, v5
	v_mad_u64_u32 v[16:17], s[4:5], v17, s10, v[16:17]
	v_sub_co_u32_e32 v3, vcc, v10, v4
	v_subb_co_u32_e32 v4, vcc, v11, v16, vcc
	v_subrev_co_u32_e32 v5, vcc, 0x7fffffff, v3
	v_subbrev_co_u32_e32 v10, vcc, 0, v4, vcc
	s_mov_b32 s4, 0x7ffffffe
	v_cmp_lt_u32_e32 vcc, s4, v5
	v_cndmask_b32_e64 v11, 0, -1, vcc
	v_cmp_eq_u32_e32 vcc, 0, v10
	v_cndmask_b32_e32 v10, -1, v11, vcc
	v_add_u32_e32 v11, 0x80000001, v5
	v_cmp_ne_u32_e32 vcc, 0, v10
	v_cndmask_b32_e32 v5, v5, v11, vcc
	v_cmp_lt_u32_e32 vcc, s4, v3
	v_cndmask_b32_e64 v10, 0, -1, vcc
	v_cmp_eq_u32_e32 vcc, 0, v4
	v_cndmask_b32_e32 v4, -1, v10, vcc
	v_cmp_ne_u32_e32 vcc, 0, v4
	v_cndmask_b32_e32 v5, v3, v5, vcc
.LBB29_162:
	s_or_b64 exec, exec, s[8:9]
	s_movk_i32 s8, 0x1388
	v_mov_b32_e32 v10, 0
	s_mov_b32 s9, 0xbc8f1391
	s_mov_b32 s10, 0xbc8f
	s_brev_b32 s11, 12
	s_mov_b32 s16, 0xf800000
	v_mov_b32_e32 v3, 0x260
.LBB29_163:                             ; =>This Inner Loop Header: Depth=1
	v_mul_hi_u32 v4, v5, s9
	v_lshrrev_b32_e32 v4, 15, v4
	v_mul_u32_u24_e32 v16, 0xadc8, v4
	v_sub_u32_e32 v5, v5, v16
	v_mul_u32_u24_e32 v4, 0xd47, v4
	v_mul_lo_u32 v5, v5, s10
	v_xor_b32_e32 v16, 0x7fffffff, v4
	v_sub_u32_e32 v17, 0, v4
	v_cmp_lt_u32_e32 vcc, v5, v4
	v_cndmask_b32_e32 v4, v17, v16, vcc
	v_add_u32_e32 v4, v4, v5
	v_mul_hi_u32 v16, v4, s9
	v_lshrrev_b32_e32 v16, 15, v16
	v_mul_u32_u24_e32 v17, 0xadc8, v16
	v_add_u32_e32 v5, -1, v4
	v_sub_u32_e32 v4, v4, v17
	v_mul_u32_u24_e32 v16, 0xd47, v16
	v_mul_lo_u32 v4, v4, s10
	v_xor_b32_e32 v17, 0x7fffffff, v16
	v_sub_u32_e32 v18, 0, v16
	v_cmp_lt_u32_e32 vcc, v4, v16
	v_cndmask_b32_e32 v16, v18, v17, vcc
	v_add_u32_e32 v4, v16, v4
	v_mul_hi_u32 v17, v4, s9
	v_add_u32_e32 v16, -1, v4
	v_lshrrev_b32_e32 v17, 15, v17
	v_cvt_f32_u32_e32 v16, v16
	v_mul_u32_u24_e32 v18, 0xadc8, v17
	v_cvt_f32_u32_e32 v5, v5
	v_sub_u32_e32 v4, v4, v18
	v_mul_u32_u24_e32 v17, 0xd47, v17
	v_mul_lo_u32 v4, v4, s10
	v_xor_b32_e32 v18, 0x7fffffff, v17
	v_sub_u32_e32 v19, 0, v17
	v_cmp_lt_u32_e32 vcc, v4, v17
	v_fma_f32 v16, v16, s11, 0
	v_cndmask_b32_e32 v17, v19, v18, vcc
	v_fma_f32 v5, v5, s11, 0
	v_mul_f32_e32 v16, v16, v16
	v_add_u32_e32 v4, v17, v4
	v_fmac_f32_e32 v16, v5, v5
	v_mul_hi_u32 v17, v4, s9
	v_add_u32_e32 v5, -1, v4
	v_mul_f32_e32 v18, 0x4f800000, v16
	v_lshrrev_b32_e32 v17, 15, v17
	v_cmp_gt_f32_e32 vcc, s16, v16
	v_cvt_f32_u32_e32 v5, v5
	v_cndmask_b32_e32 v16, v16, v18, vcc
	v_mul_u32_u24_e32 v18, 0xadc8, v17
	v_sqrt_f32_e32 v19, v16
	v_sub_u32_e32 v4, v4, v18
	v_mul_u32_u24_e32 v17, 0xd47, v17
	v_mul_lo_u32 v4, v4, s10
	v_xor_b32_e32 v18, 0x7fffffff, v17
	v_sub_u32_e32 v20, 0, v17
	v_cmp_lt_u32_e64 s[4:5], v4, v17
	v_fma_f32 v21, v5, s11, 0
	v_cndmask_b32_e64 v5, v20, v18, s[4:5]
	v_add_u32_e32 v5, v5, v4
	v_add_u32_e32 v4, -1, v19
	v_add_u32_e32 v17, 1, v19
	v_add_u32_e32 v18, -1, v5
	v_fma_f32 v20, -v4, v19, v16
	v_fma_f32 v22, -v17, v19, v16
	v_cvt_f32_u32_e32 v18, v18
	v_cmp_ge_f32_e64 s[4:5], 0, v20
	v_cndmask_b32_e64 v4, v19, v4, s[4:5]
	v_cmp_lt_f32_e64 s[4:5], 0, v22
	v_cndmask_b32_e64 v4, v4, v17, s[4:5]
	v_mul_f32_e32 v17, 0x37800000, v4
	v_cndmask_b32_e32 v4, v4, v17, vcc
	v_fma_f32 v17, v18, s11, 0
	v_cmp_class_f32_e32 vcc, v16, v3
	v_cndmask_b32_e32 v4, v4, v16, vcc
	v_mul_f32_e32 v16, v17, v17
	v_add_f32_e32 v11, 1.0, v10
	v_cmp_nge_f32_e32 vcc, 1.0, v4
	v_fmac_f32_e32 v16, v21, v21
	v_cndmask_b32_e32 v4, v11, v10, vcc
	v_mul_f32_e32 v10, 0x4f800000, v16
	v_cmp_gt_f32_e32 vcc, s16, v16
	v_cndmask_b32_e32 v10, v16, v10, vcc
	v_sqrt_f32_e32 v16, v10
	s_add_i32 s8, s8, -2
	v_add_f32_e32 v11, 1.0, v4
	s_cmp_lg_u32 s8, 0
	v_add_u32_e32 v17, -1, v16
	v_add_u32_e32 v18, 1, v16
	v_fma_f32 v19, -v17, v16, v10
	v_fma_f32 v20, -v18, v16, v10
	v_cmp_ge_f32_e64 s[4:5], 0, v19
	v_cndmask_b32_e64 v16, v16, v17, s[4:5]
	v_cmp_lt_f32_e64 s[4:5], 0, v20
	v_cndmask_b32_e64 v16, v16, v18, s[4:5]
	v_mul_f32_e32 v17, 0x37800000, v16
	v_cndmask_b32_e32 v16, v16, v17, vcc
	v_cmp_class_f32_e32 vcc, v10, v3
	v_cndmask_b32_e32 v10, v16, v10, vcc
	v_cmp_nge_f32_e32 vcc, 1.0, v10
	v_cndmask_b32_e32 v10, v11, v4, vcc
	s_cbranch_scc1 .LBB29_163
; %bb.164:
	v_add_u32_e32 v2, 0x1d4c00, v2
	v_cmp_ne_u32_e32 vcc, 0, v2
	v_mov_b32_e32 v4, 1
	s_and_saveexec_b64 s[8:9], vcc
	s_cbranch_execz .LBB29_194
; %bb.165:
	v_mov_b32_e32 v4, 1
	v_mov_b32_e32 v3, 0
	s_mov_b64 s[16:17], 0xbc8f
	s_mov_b64 s[10:11], 0
	v_mov_b32_e32 v5, 0
	s_brev_b32 s21, -2
	s_mov_b32 s22, 0x7ffffffe
	v_mov_b32_e32 v11, 0xfffff800
	s_movk_i32 s23, 0x401
	s_branch .LBB29_167
.LBB29_166:                             ;   in Loop: Header=BB29_167 Depth=1
	s_or_b64 exec, exec, s[18:19]
	s_mul_i32 s4, s16, s17
	s_mul_hi_u32 s5, s16, s16
	s_add_i32 s5, s5, s4
	s_add_i32 s4, s5, s4
	s_mul_i32 s5, s16, s16
	s_add_u32 s16, 0x402, s23
	s_addc_u32 s17, 0, 0
	v_add_co_u32_e32 v18, vcc, s16, v11
	s_cmp_lg_u64 vcc, 0
	v_readfirstlane_b32 s18, v18
	s_addc_u32 s16, s17, 1
	s_mul_hi_u32 s19, s18, 0x80000001
	s_mul_i32 s17, s16, 0x80000001
	s_sub_i32 s19, s19, s18
	s_add_i32 s19, s19, s17
	s_mul_i32 s25, s18, 0x80000001
	s_mul_hi_u32 s17, s18, s19
	s_mul_i32 s24, s18, s19
	s_mul_hi_u32 s18, s18, s25
	s_add_u32 s18, s18, s24
	s_addc_u32 s17, 0, s17
	s_mul_hi_u32 s26, s16, s25
	s_mul_i32 s25, s16, s25
	s_add_u32 s18, s18, s25
	s_mul_hi_u32 s24, s16, s19
	s_addc_u32 s17, s17, s26
	s_addc_u32 s18, s24, 0
	s_mul_i32 s19, s16, s19
	s_add_u32 s17, s17, s19
	s_addc_u32 s18, 0, s18
	v_add_co_u32_e32 v18, vcc, s17, v18
	s_cmp_lg_u64 vcc, 0
	s_addc_u32 s16, s16, s18
	v_readfirstlane_b32 s19, v18
	s_mul_i32 s18, s5, s16
	s_mul_hi_u32 s24, s5, s19
	s_mul_hi_u32 s17, s5, s16
	s_add_u32 s18, s24, s18
	s_addc_u32 s17, 0, s17
	s_mul_hi_u32 s25, s4, s19
	s_mul_i32 s19, s4, s19
	s_add_u32 s18, s18, s19
	s_mul_hi_u32 s24, s4, s16
	s_addc_u32 s17, s17, s25
	s_addc_u32 s18, s24, 0
	s_mul_i32 s16, s4, s16
	s_add_u32 s16, s17, s16
	s_addc_u32 s17, 0, s18
	s_mul_hi_u32 s18, s16, 0x7fffffff
	s_mul_i32 s16, s16, 0x7fffffff
	s_mul_i32 s17, s17, 0x7fffffff
	v_mov_b32_e32 v18, s16
	s_add_i32 s18, s18, s17
	v_sub_co_u32_e32 v18, vcc, s5, v18
	s_cmp_lg_u64 vcc, 0
	s_subb_u32 s4, s4, s18
	v_subrev_co_u32_e32 v19, vcc, s21, v18
	s_cmp_lg_u64 vcc, 0
	s_subb_u32 s5, s4, 0
	v_subrev_co_u32_e32 v20, vcc, s21, v19
	s_cmp_lg_u64 vcc, 0
	s_subb_u32 s16, s5, 0
	v_readfirstlane_b32 s17, v19
	s_cmp_gt_u32 s17, 0x7ffffffe
	s_cselect_b32 s18, -1, 0
	s_cmp_eq_u32 s5, 0
	s_cselect_b32 s18, s18, -1
	s_cmp_lg_u32 s18, 0
	s_cselect_b32 s5, s16, s5
	v_readfirstlane_b32 s16, v20
	v_readfirstlane_b32 s18, v18
	s_cselect_b32 s16, s16, s17
	s_cmp_gt_u32 s18, 0x7ffffffe
	s_cselect_b32 s17, -1, 0
	s_cmp_eq_u32 s4, 0
	s_cselect_b32 s17, s17, -1
	v_lshrrev_b64 v[16:17], 1, v[2:3]
	s_cmp_lg_u32 s17, 0
	v_cmp_gt_u64_e32 vcc, 2, v[2:3]
	s_cselect_b32 s17, s5, s4
	s_cselect_b32 s16, s16, s18
	s_or_b64 s[10:11], vcc, s[10:11]
	v_pk_mov_b32 v[2:3], v[16:17], v[16:17] op_sel:[0,1]
	s_andn2_b64 exec, exec, s[10:11]
	s_cbranch_execz .LBB29_193
.LBB29_167:                             ; =>This Inner Loop Header: Depth=1
	v_and_b32_e32 v16, 1, v2
	v_cmp_eq_u32_e32 vcc, 1, v16
	s_and_saveexec_b64 s[18:19], vcc
	s_cbranch_execz .LBB29_166
; %bb.168:                              ;   in Loop: Header=BB29_167 Depth=1
	v_mul_lo_u32 v16, s17, v4
	v_mul_lo_u32 v17, s16, v5
	v_mad_u64_u32 v[4:5], s[4:5], s16, v4, 0
	s_add_u32 s4, 0x402, s23
	v_add3_u32 v5, v5, v17, v16
	s_addc_u32 s5, 0, 0
	v_add_co_u32_e32 v16, vcc, s4, v11
	s_cmp_lg_u64 vcc, 0
	v_readfirstlane_b32 s24, v16
	s_addc_u32 s4, s5, 1
	s_mul_hi_u32 s25, s24, 0x80000001
	s_mul_i32 s5, s4, 0x80000001
	s_sub_i32 s25, s25, s24
	s_add_i32 s25, s25, s5
	s_mul_i32 s27, s24, 0x80000001
	s_mul_hi_u32 s5, s24, s25
	s_mul_i32 s26, s24, s25
	s_mul_hi_u32 s24, s24, s27
	s_add_u32 s24, s24, s26
	s_addc_u32 s5, 0, s5
	s_mul_hi_u32 s28, s4, s27
	s_mul_i32 s27, s4, s27
	s_add_u32 s24, s24, s27
	s_mul_hi_u32 s26, s4, s25
	s_addc_u32 s5, s5, s28
	s_addc_u32 s24, s26, 0
	s_mul_i32 s25, s4, s25
	s_add_u32 s5, s5, s25
	s_addc_u32 s24, 0, s24
	v_add_co_u32_e32 v18, vcc, s5, v16
	s_cmp_lg_u64 vcc, 0
	s_addc_u32 s24, s4, s24
	v_mad_u64_u32 v[16:17], s[4:5], v4, s24, 0
	v_mul_hi_u32 v19, v4, v18
	v_add_co_u32_e32 v20, vcc, v19, v16
	v_addc_co_u32_e32 v21, vcc, 0, v17, vcc
	v_mad_u64_u32 v[18:19], s[4:5], v5, v18, 0
	v_add_co_u32_e32 v18, vcc, v20, v18
	v_mad_u64_u32 v[16:17], s[4:5], v5, s24, 0
	v_addc_co_u32_e32 v18, vcc, v21, v19, vcc
	v_addc_co_u32_e32 v17, vcc, 0, v17, vcc
	v_add_co_u32_e32 v16, vcc, v18, v16
	v_addc_co_u32_e32 v19, vcc, 0, v17, vcc
	v_mad_u64_u32 v[16:17], s[4:5], v16, s21, 0
	v_mov_b32_e32 v18, v17
	v_mad_u64_u32 v[18:19], s[4:5], v19, s21, v[18:19]
	v_sub_co_u32_e32 v4, vcc, v4, v16
	v_subb_co_u32_e32 v5, vcc, v5, v18, vcc
	v_subrev_co_u32_e32 v16, vcc, s21, v4
	v_subbrev_co_u32_e32 v17, vcc, 0, v5, vcc
	v_subrev_co_u32_e32 v18, vcc, s21, v16
	v_subbrev_co_u32_e32 v19, vcc, 0, v17, vcc
	v_cmp_lt_u32_e32 vcc, s22, v16
	v_cndmask_b32_e64 v20, 0, -1, vcc
	v_cmp_eq_u32_e32 vcc, 0, v17
	v_cndmask_b32_e32 v20, -1, v20, vcc
	v_cmp_ne_u32_e32 vcc, 0, v20
	v_cmp_lt_u32_e64 s[4:5], s22, v4
	v_cndmask_b32_e32 v17, v17, v19, vcc
	v_cndmask_b32_e64 v19, 0, -1, s[4:5]
	v_cmp_eq_u32_e64 s[4:5], 0, v5
	v_cndmask_b32_e64 v19, -1, v19, s[4:5]
	v_cmp_ne_u32_e64 s[4:5], 0, v19
	v_cndmask_b32_e32 v16, v16, v18, vcc
	v_cndmask_b32_e64 v5, v5, v17, s[4:5]
	v_cndmask_b32_e64 v4, v4, v16, s[4:5]
	s_branch .LBB29_166
.LBB29_169:
	s_or_b64 exec, exec, s[10:11]
	s_movk_i32 s4, 0x401
	s_add_u32 s4, 0x402, s4
	v_mov_b32_e32 v3, 0xfffff800
	s_addc_u32 s5, 0, 0
	v_add_co_u32_e32 v3, vcc, s4, v3
	s_cmp_lg_u64 vcc, 0
	v_readfirstlane_b32 s10, v3
	s_addc_u32 s4, s5, 1
	s_mul_hi_u32 s11, s10, 0x80000001
	s_mul_i32 s5, s4, 0x80000001
	s_sub_i32 s11, s11, s10
	s_add_i32 s11, s11, s5
	s_mul_i32 s15, s10, 0x80000001
	s_mul_hi_u32 s5, s10, s11
	s_mul_i32 s14, s10, s11
	s_mul_hi_u32 s10, s10, s15
	s_add_u32 s10, s10, s14
	s_addc_u32 s5, 0, s5
	s_mul_hi_u32 s16, s4, s15
	s_mul_i32 s15, s4, s15
	s_add_u32 s10, s10, s15
	s_mul_hi_u32 s14, s4, s11
	s_addc_u32 s5, s5, s16
	s_addc_u32 s10, s14, 0
	s_mul_i32 s11, s4, s11
	s_add_u32 s5, s5, s11
	s_addc_u32 s10, 0, s10
	v_add_co_u32_e32 v3, vcc, s5, v3
	s_cmp_lg_u64 vcc, 0
	s_addc_u32 s10, s4, s10
	v_mad_u64_u32 v[4:5], s[4:5], v6, s10, 0
	v_mul_hi_u32 v14, v6, v3
	v_add_co_u32_e32 v16, vcc, v14, v4
	v_addc_co_u32_e32 v17, vcc, 0, v5, vcc
	v_mad_u64_u32 v[14:15], s[4:5], v7, v3, 0
	v_add_co_u32_e32 v3, vcc, v16, v14
	v_mad_u64_u32 v[4:5], s[4:5], v7, s10, 0
	v_addc_co_u32_e32 v3, vcc, v17, v15, vcc
	v_addc_co_u32_e32 v5, vcc, 0, v5, vcc
	v_add_co_u32_e32 v3, vcc, v3, v4
	s_brev_b32 s10, -2
	v_addc_co_u32_e32 v15, vcc, 0, v5, vcc
	v_mad_u64_u32 v[4:5], s[4:5], v3, s10, 0
	v_mov_b32_e32 v14, v5
	v_mad_u64_u32 v[14:15], s[4:5], v15, s10, v[14:15]
	v_sub_co_u32_e32 v3, vcc, v6, v4
	v_subb_co_u32_e32 v4, vcc, v7, v14, vcc
	v_subrev_co_u32_e32 v5, vcc, 0x7fffffff, v3
	v_subbrev_co_u32_e32 v6, vcc, 0, v4, vcc
	s_mov_b32 s4, 0x7ffffffe
	v_cmp_lt_u32_e32 vcc, s4, v5
	v_cndmask_b32_e64 v7, 0, -1, vcc
	v_cmp_eq_u32_e32 vcc, 0, v6
	v_cndmask_b32_e32 v6, -1, v7, vcc
	v_add_u32_e32 v7, 0x80000001, v5
	v_cmp_ne_u32_e32 vcc, 0, v6
	v_cndmask_b32_e32 v5, v5, v7, vcc
	v_cmp_lt_u32_e32 vcc, s4, v3
	v_cndmask_b32_e64 v6, 0, -1, vcc
	v_cmp_eq_u32_e32 vcc, 0, v4
	v_cndmask_b32_e32 v4, -1, v6, vcc
	v_cmp_ne_u32_e32 vcc, 0, v4
	v_cndmask_b32_e32 v5, v3, v5, vcc
.LBB29_170:
	s_or_b64 exec, exec, s[8:9]
	s_movk_i32 s8, 0x1388
	v_mov_b32_e32 v14, 0
	s_mov_b32 s9, 0xbc8f1391
	s_mov_b32 s10, 0xbc8f
	s_brev_b32 s11, 12
	s_mov_b32 s14, 0xf800000
	v_mov_b32_e32 v3, 0x260
.LBB29_171:                             ; =>This Inner Loop Header: Depth=1
	v_mul_hi_u32 v4, v5, s9
	v_lshrrev_b32_e32 v4, 15, v4
	v_mul_u32_u24_e32 v7, 0xadc8, v4
	v_sub_u32_e32 v5, v5, v7
	v_mul_u32_u24_e32 v4, 0xd47, v4
	v_mul_lo_u32 v5, v5, s10
	v_xor_b32_e32 v7, 0x7fffffff, v4
	v_sub_u32_e32 v15, 0, v4
	v_cmp_lt_u32_e32 vcc, v5, v4
	v_cndmask_b32_e32 v4, v15, v7, vcc
	v_add_u32_e32 v4, v4, v5
	v_mul_hi_u32 v7, v4, s9
	v_lshrrev_b32_e32 v7, 15, v7
	v_mul_u32_u24_e32 v15, 0xadc8, v7
	v_add_u32_e32 v5, -1, v4
	v_sub_u32_e32 v4, v4, v15
	v_mul_u32_u24_e32 v7, 0xd47, v7
	v_mul_lo_u32 v4, v4, s10
	v_xor_b32_e32 v15, 0x7fffffff, v7
	v_sub_u32_e32 v16, 0, v7
	v_cmp_lt_u32_e32 vcc, v4, v7
	v_cndmask_b32_e32 v7, v16, v15, vcc
	v_add_u32_e32 v4, v7, v4
	v_mul_hi_u32 v15, v4, s9
	v_add_u32_e32 v7, -1, v4
	v_lshrrev_b32_e32 v15, 15, v15
	v_cvt_f32_u32_e32 v7, v7
	v_mul_u32_u24_e32 v16, 0xadc8, v15
	v_cvt_f32_u32_e32 v5, v5
	v_sub_u32_e32 v4, v4, v16
	v_mul_u32_u24_e32 v15, 0xd47, v15
	v_mul_lo_u32 v4, v4, s10
	v_xor_b32_e32 v16, 0x7fffffff, v15
	v_sub_u32_e32 v17, 0, v15
	v_cmp_lt_u32_e32 vcc, v4, v15
	v_fma_f32 v7, v7, s11, 0
	v_cndmask_b32_e32 v15, v17, v16, vcc
	v_fma_f32 v5, v5, s11, 0
	v_mul_f32_e32 v7, v7, v7
	v_add_u32_e32 v4, v15, v4
	v_fmac_f32_e32 v7, v5, v5
	v_mul_hi_u32 v15, v4, s9
	v_add_u32_e32 v5, -1, v4
	v_mul_f32_e32 v16, 0x4f800000, v7
	v_lshrrev_b32_e32 v15, 15, v15
	v_cmp_gt_f32_e32 vcc, s14, v7
	v_cvt_f32_u32_e32 v5, v5
	v_cndmask_b32_e32 v7, v7, v16, vcc
	v_mul_u32_u24_e32 v16, 0xadc8, v15
	v_sqrt_f32_e32 v17, v7
	v_sub_u32_e32 v4, v4, v16
	v_mul_u32_u24_e32 v15, 0xd47, v15
	v_mul_lo_u32 v4, v4, s10
	v_xor_b32_e32 v16, 0x7fffffff, v15
	v_sub_u32_e32 v20, 0, v15
	v_cmp_lt_u32_e64 s[4:5], v4, v15
	v_fma_f32 v21, v5, s11, 0
	v_cndmask_b32_e64 v5, v20, v16, s[4:5]
	v_add_u32_e32 v5, v5, v4
	v_add_u32_e32 v4, -1, v17
	v_add_u32_e32 v15, 1, v17
	v_add_u32_e32 v16, -1, v5
	v_fma_f32 v20, -v4, v17, v7
	v_fma_f32 v22, -v15, v17, v7
	v_cvt_f32_u32_e32 v16, v16
	v_cmp_ge_f32_e64 s[4:5], 0, v20
	v_cndmask_b32_e64 v4, v17, v4, s[4:5]
	v_cmp_lt_f32_e64 s[4:5], 0, v22
	v_cndmask_b32_e64 v4, v4, v15, s[4:5]
	v_mul_f32_e32 v15, 0x37800000, v4
	v_cndmask_b32_e32 v4, v4, v15, vcc
	v_fma_f32 v15, v16, s11, 0
	v_cmp_class_f32_e32 vcc, v7, v3
	v_cndmask_b32_e32 v4, v4, v7, vcc
	v_mul_f32_e32 v7, v15, v15
	v_add_f32_e32 v6, 1.0, v14
	v_cmp_nge_f32_e32 vcc, 1.0, v4
	v_fmac_f32_e32 v7, v21, v21
	v_cndmask_b32_e32 v4, v6, v14, vcc
	v_mul_f32_e32 v6, 0x4f800000, v7
	v_cmp_gt_f32_e32 vcc, s14, v7
	v_cndmask_b32_e32 v6, v7, v6, vcc
	v_sqrt_f32_e32 v7, v6
	s_add_i32 s8, s8, -2
	v_add_f32_e32 v14, 1.0, v4
	s_cmp_lg_u32 s8, 0
	v_add_u32_e32 v15, -1, v7
	v_add_u32_e32 v16, 1, v7
	v_fma_f32 v17, -v15, v7, v6
	v_fma_f32 v20, -v16, v7, v6
	v_cmp_ge_f32_e64 s[4:5], 0, v17
	v_cndmask_b32_e64 v7, v7, v15, s[4:5]
	v_cmp_lt_f32_e64 s[4:5], 0, v20
	v_cndmask_b32_e64 v7, v7, v16, s[4:5]
	v_mul_f32_e32 v15, 0x37800000, v7
	v_cndmask_b32_e32 v7, v7, v15, vcc
	v_cmp_class_f32_e32 vcc, v6, v3
	v_cndmask_b32_e32 v6, v7, v6, vcc
	v_cmp_nge_f32_e32 vcc, 1.0, v6
	v_cndmask_b32_e32 v14, v14, v4, vcc
	s_cbranch_scc1 .LBB29_171
; %bb.172:
	v_add_u32_e32 v4, 0x1d4c00, v2
	v_cmp_ne_u32_e32 vcc, 0, v4
	v_mov_b32_e32 v5, 1
	s_and_saveexec_b64 s[8:9], vcc
	s_cbranch_execz .LBB29_208
; %bb.173:
	v_mov_b32_e32 v6, 1
	v_mov_b32_e32 v5, 0
	s_mov_b64 s[14:15], 0xbc8f
	s_mov_b64 s[10:11], 0
	v_mov_b32_e32 v7, 0
	s_brev_b32 s19, -2
	s_mov_b32 s20, 0x7ffffffe
	v_mov_b32_e32 v3, 0xfffff800
	s_movk_i32 s21, 0x401
	s_branch .LBB29_175
.LBB29_174:                             ;   in Loop: Header=BB29_175 Depth=1
	s_or_b64 exec, exec, s[16:17]
	s_mul_i32 s4, s14, s15
	s_mul_hi_u32 s5, s14, s14
	s_add_i32 s5, s5, s4
	s_add_i32 s4, s5, s4
	s_mul_i32 s5, s14, s14
	s_add_u32 s14, 0x402, s21
	s_addc_u32 s15, 0, 0
	v_add_co_u32_e32 v15, vcc, s14, v3
	s_cmp_lg_u64 vcc, 0
	v_readfirstlane_b32 s16, v15
	s_addc_u32 s14, s15, 1
	s_mul_hi_u32 s17, s16, 0x80000001
	s_mul_i32 s15, s14, 0x80000001
	s_sub_i32 s17, s17, s16
	s_add_i32 s17, s17, s15
	s_mul_i32 s25, s16, 0x80000001
	s_mul_hi_u32 s15, s16, s17
	s_mul_i32 s24, s16, s17
	s_mul_hi_u32 s16, s16, s25
	s_add_u32 s16, s16, s24
	s_addc_u32 s15, 0, s15
	s_mul_hi_u32 s26, s14, s25
	s_mul_i32 s25, s14, s25
	s_add_u32 s16, s16, s25
	s_mul_hi_u32 s24, s14, s17
	s_addc_u32 s15, s15, s26
	s_addc_u32 s16, s24, 0
	s_mul_i32 s17, s14, s17
	s_add_u32 s15, s15, s17
	s_addc_u32 s16, 0, s16
	v_add_co_u32_e32 v15, vcc, s15, v15
	s_cmp_lg_u64 vcc, 0
	s_addc_u32 s14, s14, s16
	v_readfirstlane_b32 s17, v15
	s_mul_i32 s16, s5, s14
	s_mul_hi_u32 s24, s5, s17
	s_mul_hi_u32 s15, s5, s14
	s_add_u32 s16, s24, s16
	s_addc_u32 s15, 0, s15
	s_mul_hi_u32 s25, s4, s17
	s_mul_i32 s17, s4, s17
	s_add_u32 s16, s16, s17
	s_mul_hi_u32 s24, s4, s14
	s_addc_u32 s15, s15, s25
	s_addc_u32 s16, s24, 0
	s_mul_i32 s14, s4, s14
	s_add_u32 s14, s15, s14
	s_addc_u32 s15, 0, s16
	s_mul_hi_u32 s16, s14, 0x7fffffff
	s_mul_i32 s14, s14, 0x7fffffff
	s_mul_i32 s15, s15, 0x7fffffff
	v_mov_b32_e32 v15, s14
	s_add_i32 s16, s16, s15
	v_sub_co_u32_e32 v15, vcc, s5, v15
	s_cmp_lg_u64 vcc, 0
	s_subb_u32 s4, s4, s16
	v_subrev_co_u32_e32 v20, vcc, s19, v15
	s_cmp_lg_u64 vcc, 0
	s_subb_u32 s5, s4, 0
	v_subrev_co_u32_e32 v21, vcc, s19, v20
	s_cmp_lg_u64 vcc, 0
	s_subb_u32 s14, s5, 0
	v_readfirstlane_b32 s15, v20
	s_cmp_gt_u32 s15, 0x7ffffffe
	s_cselect_b32 s16, -1, 0
	s_cmp_eq_u32 s5, 0
	s_cselect_b32 s16, s16, -1
	s_cmp_lg_u32 s16, 0
	s_cselect_b32 s5, s14, s5
	v_readfirstlane_b32 s14, v21
	v_readfirstlane_b32 s16, v15
	s_cselect_b32 s14, s14, s15
	s_cmp_gt_u32 s16, 0x7ffffffe
	s_cselect_b32 s15, -1, 0
	s_cmp_eq_u32 s4, 0
	s_cselect_b32 s15, s15, -1
	v_lshrrev_b64 v[16:17], 1, v[4:5]
	s_cmp_lg_u32 s15, 0
	v_cmp_gt_u64_e32 vcc, 2, v[4:5]
	s_cselect_b32 s15, s5, s4
	s_cselect_b32 s14, s14, s16
	s_or_b64 s[10:11], vcc, s[10:11]
	v_pk_mov_b32 v[4:5], v[16:17], v[16:17] op_sel:[0,1]
	s_andn2_b64 exec, exec, s[10:11]
	s_cbranch_execz .LBB29_207
.LBB29_175:                             ; =>This Inner Loop Header: Depth=1
	v_and_b32_e32 v15, 1, v4
	v_cmp_eq_u32_e32 vcc, 1, v15
	s_and_saveexec_b64 s[16:17], vcc
	s_cbranch_execz .LBB29_174
; %bb.176:                              ;   in Loop: Header=BB29_175 Depth=1
	v_mul_lo_u32 v15, s15, v6
	v_mul_lo_u32 v16, s14, v7
	v_mad_u64_u32 v[6:7], s[4:5], s14, v6, 0
	s_add_u32 s4, 0x402, s21
	v_add3_u32 v7, v7, v16, v15
	s_addc_u32 s5, 0, 0
	v_add_co_u32_e32 v15, vcc, s4, v3
	s_cmp_lg_u64 vcc, 0
	v_readfirstlane_b32 s24, v15
	s_addc_u32 s4, s5, 1
	s_mul_hi_u32 s25, s24, 0x80000001
	s_mul_i32 s5, s4, 0x80000001
	s_sub_i32 s25, s25, s24
	s_add_i32 s25, s25, s5
	s_mul_i32 s27, s24, 0x80000001
	s_mul_hi_u32 s5, s24, s25
	s_mul_i32 s26, s24, s25
	s_mul_hi_u32 s24, s24, s27
	s_add_u32 s24, s24, s26
	s_addc_u32 s5, 0, s5
	s_mul_hi_u32 s28, s4, s27
	s_mul_i32 s27, s4, s27
	s_add_u32 s24, s24, s27
	s_mul_hi_u32 s26, s4, s25
	s_addc_u32 s5, s5, s28
	s_addc_u32 s24, s26, 0
	s_mul_i32 s25, s4, s25
	s_add_u32 s5, s5, s25
	s_addc_u32 s24, 0, s24
	v_add_co_u32_e32 v15, vcc, s5, v15
	s_cmp_lg_u64 vcc, 0
	s_addc_u32 s24, s4, s24
	v_mad_u64_u32 v[16:17], s[4:5], v6, s24, 0
	v_mul_hi_u32 v20, v6, v15
	v_add_co_u32_e32 v22, vcc, v20, v16
	v_addc_co_u32_e32 v23, vcc, 0, v17, vcc
	v_mad_u64_u32 v[20:21], s[4:5], v7, v15, 0
	v_add_co_u32_e32 v15, vcc, v22, v20
	v_mad_u64_u32 v[16:17], s[4:5], v7, s24, 0
	v_addc_co_u32_e32 v15, vcc, v23, v21, vcc
	v_addc_co_u32_e32 v17, vcc, 0, v17, vcc
	v_add_co_u32_e32 v15, vcc, v15, v16
	v_addc_co_u32_e32 v21, vcc, 0, v17, vcc
	v_mad_u64_u32 v[16:17], s[4:5], v15, s19, 0
	v_mov_b32_e32 v20, v17
	v_mad_u64_u32 v[20:21], s[4:5], v21, s19, v[20:21]
	v_sub_co_u32_e32 v6, vcc, v6, v16
	v_subb_co_u32_e32 v7, vcc, v7, v20, vcc
	v_subrev_co_u32_e32 v15, vcc, s19, v6
	v_subbrev_co_u32_e32 v16, vcc, 0, v7, vcc
	v_subrev_co_u32_e32 v17, vcc, s19, v15
	v_subbrev_co_u32_e32 v20, vcc, 0, v16, vcc
	v_cmp_lt_u32_e32 vcc, s20, v15
	v_cndmask_b32_e64 v21, 0, -1, vcc
	v_cmp_eq_u32_e32 vcc, 0, v16
	v_cndmask_b32_e32 v21, -1, v21, vcc
	v_cmp_ne_u32_e32 vcc, 0, v21
	v_cmp_lt_u32_e64 s[4:5], s20, v6
	v_cndmask_b32_e32 v16, v16, v20, vcc
	v_cndmask_b32_e64 v20, 0, -1, s[4:5]
	v_cmp_eq_u32_e64 s[4:5], 0, v7
	v_cndmask_b32_e64 v20, -1, v20, s[4:5]
	v_cmp_ne_u32_e64 s[4:5], 0, v20
	v_cndmask_b32_e32 v15, v15, v17, vcc
	v_cndmask_b32_e64 v7, v7, v16, s[4:5]
	v_cndmask_b32_e64 v6, v6, v15, s[4:5]
	s_branch .LBB29_174
.LBB29_177:
	s_or_b64 exec, exec, s[10:11]
	s_movk_i32 s4, 0x401
	s_add_u32 s4, 0x402, s4
	v_mov_b32_e32 v3, 0xfffff800
	s_addc_u32 s5, 0, 0
	v_add_co_u32_e32 v3, vcc, s4, v3
	s_cmp_lg_u64 vcc, 0
	v_readfirstlane_b32 s10, v3
	s_addc_u32 s4, s5, 1
	s_mul_hi_u32 s11, s10, 0x80000001
	s_mul_i32 s5, s4, 0x80000001
	s_sub_i32 s11, s11, s10
	s_add_i32 s11, s11, s5
	s_mul_i32 s15, s10, 0x80000001
	s_mul_hi_u32 s5, s10, s11
	s_mul_i32 s14, s10, s11
	s_mul_hi_u32 s10, s10, s15
	s_add_u32 s10, s10, s14
	s_addc_u32 s5, 0, s5
	s_mul_hi_u32 s16, s4, s15
	s_mul_i32 s15, s4, s15
	s_add_u32 s10, s10, s15
	s_mul_hi_u32 s14, s4, s11
	s_addc_u32 s5, s5, s16
	s_addc_u32 s10, s14, 0
	s_mul_i32 s11, s4, s11
	s_add_u32 s5, s5, s11
	s_addc_u32 s10, 0, s10
	v_add_co_u32_e32 v3, vcc, s5, v3
	s_cmp_lg_u64 vcc, 0
	s_addc_u32 s10, s4, s10
	v_mad_u64_u32 v[4:5], s[4:5], v6, s10, 0
	v_mul_hi_u32 v10, v6, v3
	v_add_co_u32_e32 v12, vcc, v10, v4
	v_addc_co_u32_e32 v13, vcc, 0, v5, vcc
	v_mad_u64_u32 v[10:11], s[4:5], v7, v3, 0
	v_add_co_u32_e32 v3, vcc, v12, v10
	v_mad_u64_u32 v[4:5], s[4:5], v7, s10, 0
	v_addc_co_u32_e32 v3, vcc, v13, v11, vcc
	v_addc_co_u32_e32 v5, vcc, 0, v5, vcc
	v_add_co_u32_e32 v3, vcc, v3, v4
	s_brev_b32 s10, -2
	v_addc_co_u32_e32 v11, vcc, 0, v5, vcc
	v_mad_u64_u32 v[4:5], s[4:5], v3, s10, 0
	v_mov_b32_e32 v10, v5
	v_mad_u64_u32 v[10:11], s[4:5], v11, s10, v[10:11]
	v_sub_co_u32_e32 v3, vcc, v6, v4
	v_subb_co_u32_e32 v4, vcc, v7, v10, vcc
	v_subrev_co_u32_e32 v5, vcc, 0x7fffffff, v3
	v_subbrev_co_u32_e32 v6, vcc, 0, v4, vcc
	s_mov_b32 s4, 0x7ffffffe
	v_cmp_lt_u32_e32 vcc, s4, v5
	v_cndmask_b32_e64 v7, 0, -1, vcc
	v_cmp_eq_u32_e32 vcc, 0, v6
	v_cndmask_b32_e32 v6, -1, v7, vcc
	v_add_u32_e32 v7, 0x80000001, v5
	v_cmp_ne_u32_e32 vcc, 0, v6
	v_cndmask_b32_e32 v5, v5, v7, vcc
	v_cmp_lt_u32_e32 vcc, s4, v3
	v_cndmask_b32_e64 v6, 0, -1, vcc
	v_cmp_eq_u32_e32 vcc, 0, v4
	v_cndmask_b32_e32 v4, -1, v6, vcc
	v_cmp_ne_u32_e32 vcc, 0, v4
	v_cndmask_b32_e32 v5, v3, v5, vcc
.LBB29_178:
	s_or_b64 exec, exec, s[8:9]
	s_movk_i32 s8, 0x1388
	v_mov_b32_e32 v10, 0
	s_mov_b32 s9, 0xbc8f1391
	s_mov_b32 s10, 0xbc8f
	s_brev_b32 s11, 12
	s_mov_b32 s14, 0xf800000
	v_mov_b32_e32 v3, 0x260
.LBB29_179:                             ; =>This Inner Loop Header: Depth=1
	v_mul_hi_u32 v4, v5, s9
	v_lshrrev_b32_e32 v4, 15, v4
	v_mul_u32_u24_e32 v7, 0xadc8, v4
	v_sub_u32_e32 v5, v5, v7
	v_mul_u32_u24_e32 v4, 0xd47, v4
	v_mul_lo_u32 v5, v5, s10
	v_xor_b32_e32 v7, 0x7fffffff, v4
	v_sub_u32_e32 v11, 0, v4
	v_cmp_lt_u32_e32 vcc, v5, v4
	v_cndmask_b32_e32 v4, v11, v7, vcc
	v_add_u32_e32 v4, v4, v5
	v_mul_hi_u32 v7, v4, s9
	v_lshrrev_b32_e32 v7, 15, v7
	v_mul_u32_u24_e32 v11, 0xadc8, v7
	v_add_u32_e32 v5, -1, v4
	v_sub_u32_e32 v4, v4, v11
	v_mul_u32_u24_e32 v7, 0xd47, v7
	v_mul_lo_u32 v4, v4, s10
	v_xor_b32_e32 v11, 0x7fffffff, v7
	v_sub_u32_e32 v12, 0, v7
	v_cmp_lt_u32_e32 vcc, v4, v7
	v_cndmask_b32_e32 v7, v12, v11, vcc
	v_add_u32_e32 v4, v7, v4
	v_mul_hi_u32 v11, v4, s9
	v_add_u32_e32 v7, -1, v4
	v_lshrrev_b32_e32 v11, 15, v11
	v_cvt_f32_u32_e32 v7, v7
	v_mul_u32_u24_e32 v12, 0xadc8, v11
	v_cvt_f32_u32_e32 v5, v5
	v_sub_u32_e32 v4, v4, v12
	v_mul_u32_u24_e32 v11, 0xd47, v11
	v_mul_lo_u32 v4, v4, s10
	v_xor_b32_e32 v12, 0x7fffffff, v11
	v_sub_u32_e32 v13, 0, v11
	v_cmp_lt_u32_e32 vcc, v4, v11
	v_fma_f32 v7, v7, s11, 0
	v_cndmask_b32_e32 v11, v13, v12, vcc
	v_fma_f32 v5, v5, s11, 0
	v_mul_f32_e32 v7, v7, v7
	v_add_u32_e32 v4, v11, v4
	v_fmac_f32_e32 v7, v5, v5
	v_mul_hi_u32 v11, v4, s9
	v_add_u32_e32 v5, -1, v4
	v_mul_f32_e32 v12, 0x4f800000, v7
	v_lshrrev_b32_e32 v11, 15, v11
	v_cmp_gt_f32_e32 vcc, s14, v7
	v_cvt_f32_u32_e32 v5, v5
	v_cndmask_b32_e32 v7, v7, v12, vcc
	v_mul_u32_u24_e32 v12, 0xadc8, v11
	v_sqrt_f32_e32 v13, v7
	v_sub_u32_e32 v4, v4, v12
	v_mul_u32_u24_e32 v11, 0xd47, v11
	v_mul_lo_u32 v4, v4, s10
	v_xor_b32_e32 v12, 0x7fffffff, v11
	v_sub_u32_e32 v14, 0, v11
	v_cmp_lt_u32_e64 s[4:5], v4, v11
	v_fma_f32 v15, v5, s11, 0
	v_cndmask_b32_e64 v5, v14, v12, s[4:5]
	v_add_u32_e32 v5, v5, v4
	v_add_u32_e32 v4, -1, v13
	v_add_u32_e32 v11, 1, v13
	v_add_u32_e32 v12, -1, v5
	v_fma_f32 v14, -v4, v13, v7
	v_fma_f32 v16, -v11, v13, v7
	v_cvt_f32_u32_e32 v12, v12
	v_cmp_ge_f32_e64 s[4:5], 0, v14
	v_cndmask_b32_e64 v4, v13, v4, s[4:5]
	v_cmp_lt_f32_e64 s[4:5], 0, v16
	v_cndmask_b32_e64 v4, v4, v11, s[4:5]
	v_mul_f32_e32 v11, 0x37800000, v4
	v_cndmask_b32_e32 v4, v4, v11, vcc
	v_fma_f32 v11, v12, s11, 0
	v_cmp_class_f32_e32 vcc, v7, v3
	v_cndmask_b32_e32 v4, v4, v7, vcc
	v_mul_f32_e32 v7, v11, v11
	v_add_f32_e32 v6, 1.0, v10
	v_cmp_nge_f32_e32 vcc, 1.0, v4
	v_fmac_f32_e32 v7, v15, v15
	v_cndmask_b32_e32 v4, v6, v10, vcc
	v_mul_f32_e32 v6, 0x4f800000, v7
	v_cmp_gt_f32_e32 vcc, s14, v7
	v_cndmask_b32_e32 v6, v7, v6, vcc
	v_sqrt_f32_e32 v7, v6
	s_add_i32 s8, s8, -2
	v_add_f32_e32 v10, 1.0, v4
	s_cmp_lg_u32 s8, 0
	v_add_u32_e32 v11, -1, v7
	v_add_u32_e32 v12, 1, v7
	v_fma_f32 v13, -v11, v7, v6
	v_fma_f32 v14, -v12, v7, v6
	v_cmp_ge_f32_e64 s[4:5], 0, v13
	v_cndmask_b32_e64 v7, v7, v11, s[4:5]
	v_cmp_lt_f32_e64 s[4:5], 0, v14
	v_cndmask_b32_e64 v7, v7, v12, s[4:5]
	v_mul_f32_e32 v11, 0x37800000, v7
	v_cndmask_b32_e32 v7, v7, v11, vcc
	v_cmp_class_f32_e32 vcc, v6, v3
	v_cndmask_b32_e32 v6, v7, v6, vcc
	v_cmp_nge_f32_e32 vcc, 1.0, v6
	v_cndmask_b32_e32 v10, v10, v4, vcc
	s_cbranch_scc1 .LBB29_179
; %bb.180:
	v_add_u32_e32 v4, 0x1d4c00, v2
	v_cmp_ne_u32_e32 vcc, 0, v4
	v_mov_b32_e32 v5, 1
	s_and_saveexec_b64 s[8:9], vcc
	s_cbranch_execz .LBB29_216
; %bb.181:
	v_mov_b32_e32 v6, 1
	v_mov_b32_e32 v5, 0
	s_mov_b64 s[14:15], 0xbc8f
	s_mov_b64 s[10:11], 0
	v_mov_b32_e32 v7, 0
	s_brev_b32 s19, -2
	s_mov_b32 s20, 0x7ffffffe
	v_mov_b32_e32 v3, 0xfffff800
	s_movk_i32 s21, 0x401
	s_branch .LBB29_183
.LBB29_182:                             ;   in Loop: Header=BB29_183 Depth=1
	s_or_b64 exec, exec, s[16:17]
	s_mul_i32 s4, s14, s15
	s_mul_hi_u32 s5, s14, s14
	s_add_i32 s5, s5, s4
	s_add_i32 s4, s5, s4
	s_mul_i32 s5, s14, s14
	s_add_u32 s14, 0x402, s21
	s_addc_u32 s15, 0, 0
	v_add_co_u32_e32 v11, vcc, s14, v3
	s_cmp_lg_u64 vcc, 0
	v_readfirstlane_b32 s16, v11
	s_addc_u32 s14, s15, 1
	s_mul_hi_u32 s17, s16, 0x80000001
	s_mul_i32 s15, s14, 0x80000001
	s_sub_i32 s17, s17, s16
	s_add_i32 s17, s17, s15
	s_mul_i32 s23, s16, 0x80000001
	s_mul_hi_u32 s15, s16, s17
	s_mul_i32 s22, s16, s17
	s_mul_hi_u32 s16, s16, s23
	s_add_u32 s16, s16, s22
	s_addc_u32 s15, 0, s15
	s_mul_hi_u32 s24, s14, s23
	s_mul_i32 s23, s14, s23
	s_add_u32 s16, s16, s23
	s_mul_hi_u32 s22, s14, s17
	s_addc_u32 s15, s15, s24
	s_addc_u32 s16, s22, 0
	s_mul_i32 s17, s14, s17
	s_add_u32 s15, s15, s17
	s_addc_u32 s16, 0, s16
	v_add_co_u32_e32 v11, vcc, s15, v11
	s_cmp_lg_u64 vcc, 0
	s_addc_u32 s14, s14, s16
	v_readfirstlane_b32 s17, v11
	s_mul_i32 s16, s5, s14
	s_mul_hi_u32 s22, s5, s17
	s_mul_hi_u32 s15, s5, s14
	s_add_u32 s16, s22, s16
	s_addc_u32 s15, 0, s15
	s_mul_hi_u32 s23, s4, s17
	s_mul_i32 s17, s4, s17
	s_add_u32 s16, s16, s17
	s_mul_hi_u32 s22, s4, s14
	s_addc_u32 s15, s15, s23
	s_addc_u32 s16, s22, 0
	s_mul_i32 s14, s4, s14
	s_add_u32 s14, s15, s14
	s_addc_u32 s15, 0, s16
	s_mul_hi_u32 s16, s14, 0x7fffffff
	s_mul_i32 s14, s14, 0x7fffffff
	s_mul_i32 s15, s15, 0x7fffffff
	v_mov_b32_e32 v11, s14
	s_add_i32 s16, s16, s15
	v_sub_co_u32_e32 v11, vcc, s5, v11
	s_cmp_lg_u64 vcc, 0
	s_subb_u32 s4, s4, s16
	v_subrev_co_u32_e32 v14, vcc, s19, v11
	s_cmp_lg_u64 vcc, 0
	s_subb_u32 s5, s4, 0
	v_subrev_co_u32_e32 v15, vcc, s19, v14
	s_cmp_lg_u64 vcc, 0
	s_subb_u32 s14, s5, 0
	v_readfirstlane_b32 s15, v14
	s_cmp_gt_u32 s15, 0x7ffffffe
	s_cselect_b32 s16, -1, 0
	s_cmp_eq_u32 s5, 0
	s_cselect_b32 s16, s16, -1
	s_cmp_lg_u32 s16, 0
	s_cselect_b32 s5, s14, s5
	v_readfirstlane_b32 s14, v15
	v_readfirstlane_b32 s16, v11
	s_cselect_b32 s14, s14, s15
	s_cmp_gt_u32 s16, 0x7ffffffe
	s_cselect_b32 s15, -1, 0
	s_cmp_eq_u32 s4, 0
	s_cselect_b32 s15, s15, -1
	v_lshrrev_b64 v[12:13], 1, v[4:5]
	s_cmp_lg_u32 s15, 0
	v_cmp_gt_u64_e32 vcc, 2, v[4:5]
	s_cselect_b32 s15, s5, s4
	s_cselect_b32 s14, s14, s16
	s_or_b64 s[10:11], vcc, s[10:11]
	v_pk_mov_b32 v[4:5], v[12:13], v[12:13] op_sel:[0,1]
	s_andn2_b64 exec, exec, s[10:11]
	s_cbranch_execz .LBB29_215
.LBB29_183:                             ; =>This Inner Loop Header: Depth=1
	v_and_b32_e32 v11, 1, v4
	v_cmp_eq_u32_e32 vcc, 1, v11
	s_and_saveexec_b64 s[16:17], vcc
	s_cbranch_execz .LBB29_182
; %bb.184:                              ;   in Loop: Header=BB29_183 Depth=1
	v_mul_lo_u32 v11, s15, v6
	v_mul_lo_u32 v12, s14, v7
	v_mad_u64_u32 v[6:7], s[4:5], s14, v6, 0
	s_add_u32 s4, 0x402, s21
	v_add3_u32 v7, v7, v12, v11
	s_addc_u32 s5, 0, 0
	v_add_co_u32_e32 v11, vcc, s4, v3
	s_cmp_lg_u64 vcc, 0
	v_readfirstlane_b32 s22, v11
	s_addc_u32 s4, s5, 1
	s_mul_hi_u32 s23, s22, 0x80000001
	s_mul_i32 s5, s4, 0x80000001
	s_sub_i32 s23, s23, s22
	s_add_i32 s23, s23, s5
	s_mul_i32 s25, s22, 0x80000001
	s_mul_hi_u32 s5, s22, s23
	s_mul_i32 s24, s22, s23
	s_mul_hi_u32 s22, s22, s25
	s_add_u32 s22, s22, s24
	s_addc_u32 s5, 0, s5
	s_mul_hi_u32 s26, s4, s25
	s_mul_i32 s25, s4, s25
	s_add_u32 s22, s22, s25
	s_mul_hi_u32 s24, s4, s23
	s_addc_u32 s5, s5, s26
	s_addc_u32 s22, s24, 0
	s_mul_i32 s23, s4, s23
	s_add_u32 s5, s5, s23
	s_addc_u32 s22, 0, s22
	v_add_co_u32_e32 v11, vcc, s5, v11
	s_cmp_lg_u64 vcc, 0
	s_addc_u32 s22, s4, s22
	v_mad_u64_u32 v[12:13], s[4:5], v6, s22, 0
	v_mul_hi_u32 v14, v6, v11
	v_add_co_u32_e32 v16, vcc, v14, v12
	v_addc_co_u32_e32 v17, vcc, 0, v13, vcc
	v_mad_u64_u32 v[14:15], s[4:5], v7, v11, 0
	v_add_co_u32_e32 v11, vcc, v16, v14
	v_mad_u64_u32 v[12:13], s[4:5], v7, s22, 0
	v_addc_co_u32_e32 v11, vcc, v17, v15, vcc
	v_addc_co_u32_e32 v13, vcc, 0, v13, vcc
	v_add_co_u32_e32 v11, vcc, v11, v12
	v_addc_co_u32_e32 v15, vcc, 0, v13, vcc
	v_mad_u64_u32 v[12:13], s[4:5], v11, s19, 0
	v_mov_b32_e32 v14, v13
	v_mad_u64_u32 v[14:15], s[4:5], v15, s19, v[14:15]
	v_sub_co_u32_e32 v6, vcc, v6, v12
	v_subb_co_u32_e32 v7, vcc, v7, v14, vcc
	v_subrev_co_u32_e32 v11, vcc, s19, v6
	v_subbrev_co_u32_e32 v12, vcc, 0, v7, vcc
	v_subrev_co_u32_e32 v13, vcc, s19, v11
	v_subbrev_co_u32_e32 v14, vcc, 0, v12, vcc
	v_cmp_lt_u32_e32 vcc, s20, v11
	v_cndmask_b32_e64 v15, 0, -1, vcc
	v_cmp_eq_u32_e32 vcc, 0, v12
	v_cndmask_b32_e32 v15, -1, v15, vcc
	v_cmp_ne_u32_e32 vcc, 0, v15
	v_cmp_lt_u32_e64 s[4:5], s20, v6
	v_cndmask_b32_e32 v12, v12, v14, vcc
	v_cndmask_b32_e64 v14, 0, -1, s[4:5]
	v_cmp_eq_u32_e64 s[4:5], 0, v7
	v_cndmask_b32_e64 v14, -1, v14, s[4:5]
	v_cmp_ne_u32_e64 s[4:5], 0, v14
	v_cndmask_b32_e32 v11, v11, v13, vcc
	v_cndmask_b32_e64 v7, v7, v12, s[4:5]
	v_cndmask_b32_e64 v6, v6, v11, s[4:5]
	s_branch .LBB29_182
.LBB29_185:
	s_or_b64 exec, exec, s[10:11]
	s_movk_i32 s4, 0x401
	s_add_u32 s4, 0x402, s4
	v_mov_b32_e32 v5, 0xfffff800
	s_addc_u32 s5, 0, 0
	v_add_co_u32_e32 v5, vcc, s4, v5
	s_cmp_lg_u64 vcc, 0
	v_readfirstlane_b32 s10, v5
	s_addc_u32 s4, s5, 1
	s_mul_hi_u32 s11, s10, 0x80000001
	s_mul_i32 s5, s4, 0x80000001
	s_sub_i32 s11, s11, s10
	s_add_i32 s11, s11, s5
	s_mul_i32 s15, s10, 0x80000001
	s_mul_hi_u32 s5, s10, s11
	s_mul_i32 s14, s10, s11
	s_mul_hi_u32 s10, s10, s15
	s_add_u32 s10, s10, s14
	s_addc_u32 s5, 0, s5
	s_mul_hi_u32 s16, s4, s15
	s_mul_i32 s15, s4, s15
	s_add_u32 s10, s10, s15
	s_mul_hi_u32 s14, s4, s11
	s_addc_u32 s5, s5, s16
	s_addc_u32 s10, s14, 0
	s_mul_i32 s11, s4, s11
	s_add_u32 s5, s5, s11
	s_addc_u32 s10, 0, s10
	v_add_co_u32_e32 v5, vcc, s5, v5
	s_cmp_lg_u64 vcc, 0
	s_addc_u32 s10, s4, s10
	v_mad_u64_u32 v[6:7], s[4:5], v8, s10, 0
	v_mul_hi_u32 v14, v8, v5
	v_add_co_u32_e32 v16, vcc, v14, v6
	v_addc_co_u32_e32 v17, vcc, 0, v7, vcc
	v_mad_u64_u32 v[14:15], s[4:5], v9, v5, 0
	v_add_co_u32_e32 v5, vcc, v16, v14
	v_mad_u64_u32 v[6:7], s[4:5], v9, s10, 0
	v_addc_co_u32_e32 v5, vcc, v17, v15, vcc
	v_addc_co_u32_e32 v7, vcc, 0, v7, vcc
	v_add_co_u32_e32 v5, vcc, v5, v6
	s_brev_b32 s10, -2
	v_addc_co_u32_e32 v15, vcc, 0, v7, vcc
	v_mad_u64_u32 v[6:7], s[4:5], v5, s10, 0
	v_mov_b32_e32 v14, v7
	v_mad_u64_u32 v[14:15], s[4:5], v15, s10, v[14:15]
	v_sub_co_u32_e32 v5, vcc, v8, v6
	v_subb_co_u32_e32 v6, vcc, v9, v14, vcc
	v_subrev_co_u32_e32 v7, vcc, 0x7fffffff, v5
	v_subbrev_co_u32_e32 v8, vcc, 0, v6, vcc
	s_mov_b32 s4, 0x7ffffffe
	v_cmp_lt_u32_e32 vcc, s4, v7
	v_cndmask_b32_e64 v9, 0, -1, vcc
	v_cmp_eq_u32_e32 vcc, 0, v8
	v_cndmask_b32_e32 v8, -1, v9, vcc
	v_add_u32_e32 v9, 0x80000001, v7
	v_cmp_ne_u32_e32 vcc, 0, v8
	v_cndmask_b32_e32 v7, v7, v9, vcc
	v_cmp_lt_u32_e32 vcc, s4, v5
	v_cndmask_b32_e64 v8, 0, -1, vcc
	v_cmp_eq_u32_e32 vcc, 0, v6
	v_cndmask_b32_e32 v6, -1, v8, vcc
	v_cmp_ne_u32_e32 vcc, 0, v6
	v_cndmask_b32_e32 v7, v5, v7, vcc
.LBB29_186:
	s_or_b64 exec, exec, s[8:9]
	s_movk_i32 s8, 0x1388
	v_mov_b32_e32 v14, 0
	s_mov_b32 s9, 0xbc8f1391
	s_mov_b32 s10, 0xbc8f
	s_brev_b32 s11, 12
	s_mov_b32 s14, 0xf800000
	v_mov_b32_e32 v5, 0x260
.LBB29_187:                             ; =>This Inner Loop Header: Depth=1
	v_mul_hi_u32 v6, v7, s9
	v_lshrrev_b32_e32 v6, 15, v6
	v_mul_u32_u24_e32 v9, 0xadc8, v6
	v_sub_u32_e32 v7, v7, v9
	v_mul_u32_u24_e32 v6, 0xd47, v6
	v_mul_lo_u32 v7, v7, s10
	v_xor_b32_e32 v9, 0x7fffffff, v6
	v_sub_u32_e32 v15, 0, v6
	v_cmp_lt_u32_e32 vcc, v7, v6
	v_cndmask_b32_e32 v6, v15, v9, vcc
	v_add_u32_e32 v6, v6, v7
	v_mul_hi_u32 v9, v6, s9
	v_lshrrev_b32_e32 v9, 15, v9
	v_mul_u32_u24_e32 v15, 0xadc8, v9
	v_add_u32_e32 v7, -1, v6
	v_sub_u32_e32 v6, v6, v15
	v_mul_u32_u24_e32 v9, 0xd47, v9
	v_mul_lo_u32 v6, v6, s10
	v_xor_b32_e32 v15, 0x7fffffff, v9
	v_sub_u32_e32 v16, 0, v9
	v_cmp_lt_u32_e32 vcc, v6, v9
	v_cndmask_b32_e32 v9, v16, v15, vcc
	v_add_u32_e32 v6, v9, v6
	v_mul_hi_u32 v15, v6, s9
	v_add_u32_e32 v9, -1, v6
	v_lshrrev_b32_e32 v15, 15, v15
	v_cvt_f32_u32_e32 v9, v9
	v_mul_u32_u24_e32 v16, 0xadc8, v15
	v_cvt_f32_u32_e32 v7, v7
	v_sub_u32_e32 v6, v6, v16
	v_mul_u32_u24_e32 v15, 0xd47, v15
	v_mul_lo_u32 v6, v6, s10
	v_xor_b32_e32 v16, 0x7fffffff, v15
	v_sub_u32_e32 v17, 0, v15
	v_cmp_lt_u32_e32 vcc, v6, v15
	v_fma_f32 v9, v9, s11, 0
	v_cndmask_b32_e32 v15, v17, v16, vcc
	v_fma_f32 v7, v7, s11, 0
	v_mul_f32_e32 v9, v9, v9
	v_add_u32_e32 v6, v15, v6
	v_fmac_f32_e32 v9, v7, v7
	v_mul_hi_u32 v15, v6, s9
	v_add_u32_e32 v7, -1, v6
	v_mul_f32_e32 v16, 0x4f800000, v9
	v_lshrrev_b32_e32 v15, 15, v15
	v_cmp_gt_f32_e32 vcc, s14, v9
	v_cvt_f32_u32_e32 v7, v7
	v_cndmask_b32_e32 v9, v9, v16, vcc
	v_mul_u32_u24_e32 v16, 0xadc8, v15
	v_sqrt_f32_e32 v17, v9
	v_sub_u32_e32 v6, v6, v16
	v_mul_u32_u24_e32 v15, 0xd47, v15
	v_mul_lo_u32 v6, v6, s10
	v_xor_b32_e32 v16, 0x7fffffff, v15
	v_sub_u32_e32 v18, 0, v15
	v_cmp_lt_u32_e64 s[4:5], v6, v15
	v_fma_f32 v19, v7, s11, 0
	v_cndmask_b32_e64 v7, v18, v16, s[4:5]
	v_add_u32_e32 v7, v7, v6
	v_add_u32_e32 v6, -1, v17
	v_add_u32_e32 v15, 1, v17
	v_add_u32_e32 v16, -1, v7
	v_fma_f32 v18, -v6, v17, v9
	v_fma_f32 v20, -v15, v17, v9
	v_cvt_f32_u32_e32 v16, v16
	v_cmp_ge_f32_e64 s[4:5], 0, v18
	v_cndmask_b32_e64 v6, v17, v6, s[4:5]
	v_cmp_lt_f32_e64 s[4:5], 0, v20
	v_cndmask_b32_e64 v6, v6, v15, s[4:5]
	v_mul_f32_e32 v15, 0x37800000, v6
	v_cndmask_b32_e32 v6, v6, v15, vcc
	v_fma_f32 v15, v16, s11, 0
	v_cmp_class_f32_e32 vcc, v9, v5
	v_cndmask_b32_e32 v6, v6, v9, vcc
	v_mul_f32_e32 v9, v15, v15
	v_add_f32_e32 v8, 1.0, v14
	v_cmp_nge_f32_e32 vcc, 1.0, v6
	v_fmac_f32_e32 v9, v19, v19
	v_cndmask_b32_e32 v6, v8, v14, vcc
	v_mul_f32_e32 v8, 0x4f800000, v9
	v_cmp_gt_f32_e32 vcc, s14, v9
	v_cndmask_b32_e32 v8, v9, v8, vcc
	v_sqrt_f32_e32 v9, v8
	s_add_i32 s8, s8, -2
	v_add_f32_e32 v14, 1.0, v6
	s_cmp_lg_u32 s8, 0
	v_add_u32_e32 v15, -1, v9
	v_add_u32_e32 v16, 1, v9
	v_fma_f32 v17, -v15, v9, v8
	v_fma_f32 v18, -v16, v9, v8
	v_cmp_ge_f32_e64 s[4:5], 0, v17
	v_cndmask_b32_e64 v9, v9, v15, s[4:5]
	v_cmp_lt_f32_e64 s[4:5], 0, v18
	v_cndmask_b32_e64 v9, v9, v16, s[4:5]
	v_mul_f32_e32 v15, 0x37800000, v9
	v_cndmask_b32_e32 v9, v9, v15, vcc
	v_cmp_class_f32_e32 vcc, v8, v5
	v_cndmask_b32_e32 v8, v9, v8, vcc
	v_cmp_nge_f32_e32 vcc, 1.0, v8
	v_cndmask_b32_e32 v14, v14, v6, vcc
	s_cbranch_scc1 .LBB29_187
; %bb.188:
	v_add_u32_e32 v6, 0x1d4c00, v4
	v_cmp_ne_u32_e32 vcc, 0, v6
	v_mov_b32_e32 v7, 1
	s_and_saveexec_b64 s[8:9], vcc
	s_cbranch_execz .LBB29_224
; %bb.189:
	v_mov_b32_e32 v8, 1
	v_mov_b32_e32 v7, 0
	s_mov_b64 s[14:15], 0xbc8f
	s_mov_b64 s[10:11], 0
	v_mov_b32_e32 v9, 0
	s_brev_b32 s19, -2
	s_mov_b32 s20, 0x7ffffffe
	v_mov_b32_e32 v5, 0xfffff800
	s_movk_i32 s21, 0x401
	s_branch .LBB29_191
.LBB29_190:                             ;   in Loop: Header=BB29_191 Depth=1
	s_or_b64 exec, exec, s[16:17]
	s_mul_i32 s4, s14, s15
	s_mul_hi_u32 s5, s14, s14
	s_add_i32 s5, s5, s4
	s_add_i32 s4, s5, s4
	s_mul_i32 s5, s14, s14
	s_add_u32 s14, 0x402, s21
	s_addc_u32 s15, 0, 0
	v_add_co_u32_e32 v15, vcc, s14, v5
	s_cmp_lg_u64 vcc, 0
	v_readfirstlane_b32 s16, v15
	s_addc_u32 s14, s15, 1
	s_mul_hi_u32 s17, s16, 0x80000001
	s_mul_i32 s15, s14, 0x80000001
	s_sub_i32 s17, s17, s16
	s_add_i32 s17, s17, s15
	s_mul_i32 s23, s16, 0x80000001
	s_mul_hi_u32 s15, s16, s17
	s_mul_i32 s22, s16, s17
	s_mul_hi_u32 s16, s16, s23
	s_add_u32 s16, s16, s22
	s_addc_u32 s15, 0, s15
	s_mul_hi_u32 s24, s14, s23
	s_mul_i32 s23, s14, s23
	s_add_u32 s16, s16, s23
	s_mul_hi_u32 s22, s14, s17
	s_addc_u32 s15, s15, s24
	s_addc_u32 s16, s22, 0
	s_mul_i32 s17, s14, s17
	s_add_u32 s15, s15, s17
	s_addc_u32 s16, 0, s16
	v_add_co_u32_e32 v15, vcc, s15, v15
	s_cmp_lg_u64 vcc, 0
	s_addc_u32 s14, s14, s16
	v_readfirstlane_b32 s17, v15
	s_mul_i32 s16, s5, s14
	s_mul_hi_u32 s22, s5, s17
	s_mul_hi_u32 s15, s5, s14
	s_add_u32 s16, s22, s16
	s_addc_u32 s15, 0, s15
	s_mul_hi_u32 s23, s4, s17
	s_mul_i32 s17, s4, s17
	s_add_u32 s16, s16, s17
	s_mul_hi_u32 s22, s4, s14
	s_addc_u32 s15, s15, s23
	s_addc_u32 s16, s22, 0
	s_mul_i32 s14, s4, s14
	s_add_u32 s14, s15, s14
	s_addc_u32 s15, 0, s16
	s_mul_hi_u32 s16, s14, 0x7fffffff
	s_mul_i32 s14, s14, 0x7fffffff
	s_mul_i32 s15, s15, 0x7fffffff
	v_mov_b32_e32 v15, s14
	s_add_i32 s16, s16, s15
	v_sub_co_u32_e32 v15, vcc, s5, v15
	s_cmp_lg_u64 vcc, 0
	s_subb_u32 s4, s4, s16
	v_subrev_co_u32_e32 v18, vcc, s19, v15
	s_cmp_lg_u64 vcc, 0
	s_subb_u32 s5, s4, 0
	v_subrev_co_u32_e32 v19, vcc, s19, v18
	s_cmp_lg_u64 vcc, 0
	s_subb_u32 s14, s5, 0
	v_readfirstlane_b32 s15, v18
	s_cmp_gt_u32 s15, 0x7ffffffe
	s_cselect_b32 s16, -1, 0
	s_cmp_eq_u32 s5, 0
	s_cselect_b32 s16, s16, -1
	s_cmp_lg_u32 s16, 0
	s_cselect_b32 s5, s14, s5
	v_readfirstlane_b32 s14, v19
	v_readfirstlane_b32 s16, v15
	s_cselect_b32 s14, s14, s15
	s_cmp_gt_u32 s16, 0x7ffffffe
	s_cselect_b32 s15, -1, 0
	s_cmp_eq_u32 s4, 0
	s_cselect_b32 s15, s15, -1
	v_lshrrev_b64 v[16:17], 1, v[6:7]
	s_cmp_lg_u32 s15, 0
	v_cmp_gt_u64_e32 vcc, 2, v[6:7]
	s_cselect_b32 s15, s5, s4
	s_cselect_b32 s14, s14, s16
	s_or_b64 s[10:11], vcc, s[10:11]
	v_pk_mov_b32 v[6:7], v[16:17], v[16:17] op_sel:[0,1]
	s_andn2_b64 exec, exec, s[10:11]
	s_cbranch_execz .LBB29_223
.LBB29_191:                             ; =>This Inner Loop Header: Depth=1
	v_and_b32_e32 v15, 1, v6
	v_cmp_eq_u32_e32 vcc, 1, v15
	s_and_saveexec_b64 s[16:17], vcc
	s_cbranch_execz .LBB29_190
; %bb.192:                              ;   in Loop: Header=BB29_191 Depth=1
	v_mul_lo_u32 v15, s15, v8
	v_mul_lo_u32 v16, s14, v9
	v_mad_u64_u32 v[8:9], s[4:5], s14, v8, 0
	s_add_u32 s4, 0x402, s21
	v_add3_u32 v9, v9, v16, v15
	s_addc_u32 s5, 0, 0
	v_add_co_u32_e32 v15, vcc, s4, v5
	s_cmp_lg_u64 vcc, 0
	v_readfirstlane_b32 s22, v15
	s_addc_u32 s4, s5, 1
	s_mul_hi_u32 s23, s22, 0x80000001
	s_mul_i32 s5, s4, 0x80000001
	s_sub_i32 s23, s23, s22
	s_add_i32 s23, s23, s5
	s_mul_i32 s25, s22, 0x80000001
	s_mul_hi_u32 s5, s22, s23
	s_mul_i32 s24, s22, s23
	s_mul_hi_u32 s22, s22, s25
	s_add_u32 s22, s22, s24
	s_addc_u32 s5, 0, s5
	s_mul_hi_u32 s26, s4, s25
	s_mul_i32 s25, s4, s25
	s_add_u32 s22, s22, s25
	s_mul_hi_u32 s24, s4, s23
	s_addc_u32 s5, s5, s26
	s_addc_u32 s22, s24, 0
	s_mul_i32 s23, s4, s23
	s_add_u32 s5, s5, s23
	s_addc_u32 s22, 0, s22
	v_add_co_u32_e32 v15, vcc, s5, v15
	s_cmp_lg_u64 vcc, 0
	s_addc_u32 s22, s4, s22
	v_mad_u64_u32 v[16:17], s[4:5], v8, s22, 0
	v_mul_hi_u32 v18, v8, v15
	v_add_co_u32_e32 v20, vcc, v18, v16
	v_addc_co_u32_e32 v21, vcc, 0, v17, vcc
	v_mad_u64_u32 v[18:19], s[4:5], v9, v15, 0
	v_add_co_u32_e32 v15, vcc, v20, v18
	v_mad_u64_u32 v[16:17], s[4:5], v9, s22, 0
	v_addc_co_u32_e32 v15, vcc, v21, v19, vcc
	v_addc_co_u32_e32 v17, vcc, 0, v17, vcc
	v_add_co_u32_e32 v15, vcc, v15, v16
	v_addc_co_u32_e32 v19, vcc, 0, v17, vcc
	v_mad_u64_u32 v[16:17], s[4:5], v15, s19, 0
	v_mov_b32_e32 v18, v17
	v_mad_u64_u32 v[18:19], s[4:5], v19, s19, v[18:19]
	v_sub_co_u32_e32 v8, vcc, v8, v16
	v_subb_co_u32_e32 v9, vcc, v9, v18, vcc
	v_subrev_co_u32_e32 v15, vcc, s19, v8
	v_subbrev_co_u32_e32 v16, vcc, 0, v9, vcc
	v_subrev_co_u32_e32 v17, vcc, s19, v15
	v_subbrev_co_u32_e32 v18, vcc, 0, v16, vcc
	v_cmp_lt_u32_e32 vcc, s20, v15
	v_cndmask_b32_e64 v19, 0, -1, vcc
	v_cmp_eq_u32_e32 vcc, 0, v16
	v_cndmask_b32_e32 v19, -1, v19, vcc
	v_cmp_ne_u32_e32 vcc, 0, v19
	v_cmp_lt_u32_e64 s[4:5], s20, v8
	v_cndmask_b32_e32 v16, v16, v18, vcc
	v_cndmask_b32_e64 v18, 0, -1, s[4:5]
	v_cmp_eq_u32_e64 s[4:5], 0, v9
	v_cndmask_b32_e64 v18, -1, v18, s[4:5]
	v_cmp_ne_u32_e64 s[4:5], 0, v18
	v_cndmask_b32_e32 v15, v15, v17, vcc
	v_cndmask_b32_e64 v9, v9, v16, s[4:5]
	v_cndmask_b32_e64 v8, v8, v15, s[4:5]
	s_branch .LBB29_190
.LBB29_193:
	s_or_b64 exec, exec, s[10:11]
	s_movk_i32 s4, 0x401
	s_add_u32 s4, 0x402, s4
	v_mov_b32_e32 v2, 0xfffff800
	s_addc_u32 s5, 0, 0
	v_add_co_u32_e32 v2, vcc, s4, v2
	s_cmp_lg_u64 vcc, 0
	v_readfirstlane_b32 s10, v2
	s_addc_u32 s4, s5, 1
	s_mul_hi_u32 s11, s10, 0x80000001
	s_mul_i32 s5, s4, 0x80000001
	s_sub_i32 s11, s11, s10
	s_add_i32 s11, s11, s5
	s_mul_i32 s17, s10, 0x80000001
	s_mul_hi_u32 s5, s10, s11
	s_mul_i32 s16, s10, s11
	s_mul_hi_u32 s10, s10, s17
	s_add_u32 s10, s10, s16
	s_addc_u32 s5, 0, s5
	s_mul_hi_u32 s18, s4, s17
	s_mul_i32 s17, s4, s17
	s_add_u32 s10, s10, s17
	s_mul_hi_u32 s16, s4, s11
	s_addc_u32 s5, s5, s18
	s_addc_u32 s10, s16, 0
	s_mul_i32 s11, s4, s11
	s_add_u32 s5, s5, s11
	s_addc_u32 s10, 0, s10
	v_add_co_u32_e32 v11, vcc, s5, v2
	s_cmp_lg_u64 vcc, 0
	s_addc_u32 s10, s4, s10
	v_mad_u64_u32 v[2:3], s[4:5], v4, s10, 0
	v_mul_hi_u32 v16, v4, v11
	v_add_co_u32_e32 v18, vcc, v16, v2
	v_addc_co_u32_e32 v19, vcc, 0, v3, vcc
	v_mad_u64_u32 v[16:17], s[4:5], v5, v11, 0
	v_add_co_u32_e32 v11, vcc, v18, v16
	v_mad_u64_u32 v[2:3], s[4:5], v5, s10, 0
	v_addc_co_u32_e32 v11, vcc, v19, v17, vcc
	v_addc_co_u32_e32 v3, vcc, 0, v3, vcc
	v_add_co_u32_e32 v2, vcc, v11, v2
	s_brev_b32 s10, -2
	v_addc_co_u32_e32 v11, vcc, 0, v3, vcc
	v_mad_u64_u32 v[2:3], s[4:5], v2, s10, 0
	v_mov_b32_e32 v16, v3
	v_mad_u64_u32 v[16:17], s[4:5], v11, s10, v[16:17]
	v_sub_co_u32_e32 v2, vcc, v4, v2
	v_subb_co_u32_e32 v3, vcc, v5, v16, vcc
	v_subrev_co_u32_e32 v4, vcc, 0x7fffffff, v2
	v_subbrev_co_u32_e32 v5, vcc, 0, v3, vcc
	s_mov_b32 s4, 0x7ffffffe
	v_cmp_lt_u32_e32 vcc, s4, v4
	v_cndmask_b32_e64 v11, 0, -1, vcc
	v_cmp_eq_u32_e32 vcc, 0, v5
	v_cndmask_b32_e32 v5, -1, v11, vcc
	v_add_u32_e32 v11, 0x80000001, v4
	v_cmp_ne_u32_e32 vcc, 0, v5
	v_cndmask_b32_e32 v4, v4, v11, vcc
	v_cmp_lt_u32_e32 vcc, s4, v2
	v_cndmask_b32_e64 v5, 0, -1, vcc
	v_cmp_eq_u32_e32 vcc, 0, v3
	v_cndmask_b32_e32 v3, -1, v5, vcc
	v_cmp_ne_u32_e32 vcc, 0, v3
	v_cndmask_b32_e32 v4, v2, v4, vcc
.LBB29_194:
	s_or_b64 exec, exec, s[8:9]
	s_movk_i32 s8, 0x1388
	v_mov_b32_e32 v2, 0
	s_mov_b32 s9, 0xbc8f1391
	s_mov_b32 s10, 0xbc8f
	s_brev_b32 s11, 12
	s_mov_b32 s16, 0xf800000
	v_mov_b32_e32 v3, 0x260
.LBB29_195:                             ; =>This Inner Loop Header: Depth=1
	v_mul_hi_u32 v5, v4, s9
	v_lshrrev_b32_e32 v5, 15, v5
	v_mul_u32_u24_e32 v16, 0xadc8, v5
	v_sub_u32_e32 v4, v4, v16
	v_mul_u32_u24_e32 v5, 0xd47, v5
	v_mul_lo_u32 v4, v4, s10
	v_xor_b32_e32 v16, 0x7fffffff, v5
	v_sub_u32_e32 v17, 0, v5
	v_cmp_lt_u32_e32 vcc, v4, v5
	v_cndmask_b32_e32 v5, v17, v16, vcc
	v_add_u32_e32 v4, v5, v4
	v_mul_hi_u32 v16, v4, s9
	v_lshrrev_b32_e32 v16, 15, v16
	v_mul_u32_u24_e32 v17, 0xadc8, v16
	v_add_u32_e32 v5, -1, v4
	v_sub_u32_e32 v4, v4, v17
	v_mul_u32_u24_e32 v16, 0xd47, v16
	v_mul_lo_u32 v4, v4, s10
	v_xor_b32_e32 v17, 0x7fffffff, v16
	v_sub_u32_e32 v18, 0, v16
	v_cmp_lt_u32_e32 vcc, v4, v16
	v_cndmask_b32_e32 v16, v18, v17, vcc
	v_add_u32_e32 v4, v16, v4
	v_mul_hi_u32 v17, v4, s9
	v_add_u32_e32 v16, -1, v4
	v_lshrrev_b32_e32 v17, 15, v17
	v_cvt_f32_u32_e32 v16, v16
	v_mul_u32_u24_e32 v18, 0xadc8, v17
	v_cvt_f32_u32_e32 v5, v5
	v_sub_u32_e32 v4, v4, v18
	v_mul_u32_u24_e32 v17, 0xd47, v17
	v_mul_lo_u32 v4, v4, s10
	v_xor_b32_e32 v18, 0x7fffffff, v17
	v_sub_u32_e32 v19, 0, v17
	v_cmp_lt_u32_e32 vcc, v4, v17
	v_fma_f32 v16, v16, s11, 0
	v_cndmask_b32_e32 v17, v19, v18, vcc
	v_fma_f32 v5, v5, s11, 0
	v_mul_f32_e32 v16, v16, v16
	v_add_u32_e32 v4, v17, v4
	v_fmac_f32_e32 v16, v5, v5
	v_mul_hi_u32 v17, v4, s9
	v_mul_f32_e32 v18, 0x4f800000, v16
	v_lshrrev_b32_e32 v17, 15, v17
	v_cmp_gt_f32_e32 vcc, s16, v16
	v_cndmask_b32_e32 v16, v16, v18, vcc
	v_mul_u32_u24_e32 v18, 0xadc8, v17
	v_add_u32_e32 v5, -1, v4
	v_sqrt_f32_e32 v19, v16
	v_sub_u32_e32 v4, v4, v18
	v_mul_u32_u24_e32 v17, 0xd47, v17
	v_mul_lo_u32 v4, v4, s10
	v_xor_b32_e32 v18, 0x7fffffff, v17
	v_sub_u32_e32 v20, 0, v17
	v_cmp_lt_u32_e64 s[4:5], v4, v17
	v_cndmask_b32_e64 v17, v20, v18, s[4:5]
	v_add_u32_e32 v4, v17, v4
	v_add_u32_e32 v17, -1, v19
	v_add_u32_e32 v18, 1, v19
	v_add_u32_e32 v20, -1, v4
	v_fma_f32 v21, -v17, v19, v16
	v_fma_f32 v22, -v18, v19, v16
	v_cvt_f32_u32_e32 v20, v20
	v_cmp_ge_f32_e64 s[4:5], 0, v21
	v_cvt_f32_u32_e32 v5, v5
	v_cndmask_b32_e64 v17, v19, v17, s[4:5]
	v_cmp_lt_f32_e64 s[4:5], 0, v22
	v_cndmask_b32_e64 v17, v17, v18, s[4:5]
	v_mul_f32_e32 v18, 0x37800000, v17
	v_cndmask_b32_e32 v17, v17, v18, vcc
	v_fma_f32 v18, v20, s11, 0
	v_cmp_class_f32_e32 vcc, v16, v3
	v_fma_f32 v5, v5, s11, 0
	v_cndmask_b32_e32 v16, v17, v16, vcc
	v_mul_f32_e32 v17, v18, v18
	v_add_f32_e32 v11, 1.0, v2
	v_cmp_nge_f32_e32 vcc, 1.0, v16
	v_fmac_f32_e32 v17, v5, v5
	v_cndmask_b32_e32 v2, v11, v2, vcc
	v_mul_f32_e32 v5, 0x4f800000, v17
	v_cmp_gt_f32_e32 vcc, s16, v17
	v_cndmask_b32_e32 v5, v17, v5, vcc
	v_sqrt_f32_e32 v16, v5
	s_add_i32 s8, s8, -2
	v_add_f32_e32 v11, 1.0, v2
	s_cmp_lg_u32 s8, 0
	v_add_u32_e32 v17, -1, v16
	v_add_u32_e32 v18, 1, v16
	v_fma_f32 v19, -v17, v16, v5
	v_fma_f32 v20, -v18, v16, v5
	v_cmp_ge_f32_e64 s[4:5], 0, v19
	v_cndmask_b32_e64 v16, v16, v17, s[4:5]
	v_cmp_lt_f32_e64 s[4:5], 0, v20
	v_cndmask_b32_e64 v16, v16, v18, s[4:5]
	v_mul_f32_e32 v17, 0x37800000, v16
	v_cndmask_b32_e32 v16, v16, v17, vcc
	v_cmp_class_f32_e32 vcc, v5, v3
	v_cndmask_b32_e32 v5, v16, v5, vcc
	v_cmp_nge_f32_e32 vcc, 1.0, v5
	v_cndmask_b32_e32 v2, v11, v2, vcc
	s_cbranch_scc1 .LBB29_195
; %bb.196:
	v_mul_f32_e32 v3, 4.0, v10
	s_mov_b32 s8, 0x459c4000
	v_div_scale_f32 v4, s[4:5], s8, s8, v3
	v_rcp_f32_e32 v5, v4
	v_mul_f32_e32 v2, 4.0, v2
	v_fma_f32 v10, -v4, v5, 1.0
	v_fmac_f32_e32 v5, v10, v5
	v_div_scale_f32 v10, vcc, v3, s8, v3
	v_mul_f32_e32 v11, v10, v5
	v_fma_f32 v16, -v4, v11, v10
	v_fmac_f32_e32 v11, v16, v5
	v_fma_f32 v4, -v4, v11, v10
	v_mul_f32_e32 v10, 4.0, v13
	v_div_scale_f32 v13, s[4:5], s8, s8, v10
	v_rcp_f32_e32 v16, v13
	v_div_fmas_f32 v4, v4, v5, v11
	v_div_fixup_f32 v3, v4, s8, v3
	v_fma_f32 v4, -v13, v16, 1.0
	v_fmac_f32_e32 v16, v4, v16
	v_div_scale_f32 v4, vcc, v10, s8, v10
	v_mul_f32_e32 v5, v4, v16
	v_fma_f32 v11, -v13, v5, v4
	v_fmac_f32_e32 v5, v11, v16
	v_mul_f32_e32 v11, 4.0, v12
	v_div_scale_f32 v12, s[4:5], s8, s8, v11
	v_fma_f32 v4, -v13, v5, v4
	v_rcp_f32_e32 v13, v12
	v_div_fmas_f32 v4, v4, v16, v5
	v_div_fixup_f32 v4, v4, s8, v10
	v_fma_f32 v5, -v12, v13, 1.0
	v_fmac_f32_e32 v13, v5, v13
	v_div_scale_f32 v5, vcc, v11, s8, v11
	v_mul_f32_e32 v10, v5, v13
	v_fma_f32 v16, -v12, v10, v5
	v_fmac_f32_e32 v10, v16, v13
	v_fma_f32 v5, -v12, v10, v5
	v_div_scale_f32 v12, s[4:5], s8, s8, v2
	v_rcp_f32_e32 v16, v12
	v_div_fmas_f32 v5, v5, v13, v10
	v_div_fixup_f32 v5, v5, s8, v11
	v_add_f32_e32 v4, v5, v4
	v_fma_f32 v10, -v12, v16, 1.0
	v_fmac_f32_e32 v16, v10, v16
	v_div_scale_f32 v10, vcc, v2, s8, v2
	v_mul_f32_e32 v11, v10, v16
	v_fma_f32 v13, -v12, v11, v10
	v_fmac_f32_e32 v11, v13, v16
	v_fma_f32 v10, -v12, v11, v10
	v_div_fmas_f32 v10, v10, v16, v11
	v_div_fixup_f32 v2, v10, s8, v2
	v_add_f32_e32 v3, v4, v3
	v_add_f32_e32 v3, v3, v2
	v_mbcnt_lo_u32_b32 v2, -1, 0
	v_mbcnt_hi_u32_b32 v2, -1, v2
	v_add_f32_dpp v3, v3, v3 quad_perm:[1,0,3,2] row_mask:0xf bank_mask:0xf bound_ctrl:1
	v_cmp_eq_u32_e32 vcc, 0, v2
	s_nop 0
	v_add_f32_dpp v3, v3, v3 quad_perm:[2,3,0,1] row_mask:0xf bank_mask:0xf bound_ctrl:1
	s_nop 1
	v_add_f32_dpp v3, v3, v3 row_ror:4 row_mask:0xf bank_mask:0xf bound_ctrl:1
	s_nop 1
	v_add_f32_dpp v3, v3, v3 row_ror:8 row_mask:0xf bank_mask:0xf bound_ctrl:1
	s_nop 1
	v_add_f32_dpp v3, v3, v3 row_bcast:15 row_mask:0xf bank_mask:0xf bound_ctrl:1
	s_nop 1
	v_add_f32_dpp v4, v3, v3 row_bcast:31 row_mask:0xf bank_mask:0xf bound_ctrl:1
	v_lshlrev_b32_e32 v3, 2, v2
	v_or_b32_e32 v5, 0xfc, v3
	ds_bpermute_b32 v4, v5, v4
	s_and_saveexec_b64 s[4:5], vcc
	s_cbranch_execz .LBB29_198
; %bb.197:
	v_lshrrev_b32_e32 v5, 4, v15
	v_and_b32_e32 v5, 60, v5
	s_waitcnt lgkmcnt(0)
	ds_write_b32 v5, v4 offset:32
.LBB29_198:
	s_or_b64 exec, exec, s[4:5]
	v_cmp_gt_u32_e32 vcc, 64, v15
	s_waitcnt lgkmcnt(0)
	s_barrier
	s_and_saveexec_b64 s[4:5], vcc
	s_cbranch_execz .LBB29_200
; %bb.199:
	v_and_b32_e32 v2, 1, v2
	v_lshlrev_b32_e32 v2, 2, v2
	ds_read_b32 v2, v2 offset:32
	v_or_b32_e32 v3, 4, v3
	s_waitcnt lgkmcnt(0)
	ds_bpermute_b32 v3, v3, v2
	s_waitcnt lgkmcnt(0)
	v_add_f32_e32 v4, v2, v3
.LBB29_200:
	s_or_b64 exec, exec, s[4:5]
                                        ; implicit-def: $vgpr17
	s_andn2_saveexec_b64 s[16:17], s[6:7]
	s_cbranch_execz .LBB29_13
.LBB29_201:
	v_subrev_u32_e32 v16, s20, v6
	v_cmp_lt_u32_e32 vcc, v15, v16
                                        ; implicit-def: $vgpr2_vgpr3_vgpr4_vgpr5
	s_and_saveexec_b64 s[6:7], vcc
	s_cbranch_execz .LBB29_624
; %bb.202:
	v_add_u32_e32 v2, v17, v15
	s_movk_i32 s4, 0x1388
	v_mul_lo_u32 v2, v2, s4
	v_cmp_ne_u32_e32 vcc, 0, v2
	v_mov_b32_e32 v4, 1
	s_and_saveexec_b64 s[8:9], vcc
	s_cbranch_execz .LBB29_621
; %bb.203:
	v_mov_b32_e32 v4, 1
	v_mov_b32_e32 v3, 0
	s_mov_b64 s[18:19], 0xbc8f
	s_mov_b64 s[10:11], 0
	v_mov_b32_e32 v5, 0
	s_brev_b32 s22, -2
	s_mov_b32 s23, 0x7ffffffe
	v_mov_b32_e32 v10, 0xfffff800
	s_movk_i32 s24, 0x401
	s_branch .LBB29_205
.LBB29_204:                             ;   in Loop: Header=BB29_205 Depth=1
	s_or_b64 exec, exec, s[20:21]
	s_mul_i32 s4, s18, s19
	s_mul_hi_u32 s5, s18, s18
	s_add_i32 s5, s5, s4
	s_add_i32 s4, s5, s4
	s_mul_i32 s5, s18, s18
	s_add_u32 s18, 0x402, s24
	s_addc_u32 s19, 0, 0
	v_add_co_u32_e32 v11, vcc, s18, v10
	s_cmp_lg_u64 vcc, 0
	v_readfirstlane_b32 s20, v11
	s_addc_u32 s18, s19, 1
	s_mul_hi_u32 s21, s20, 0x80000001
	s_mul_i32 s19, s18, 0x80000001
	s_sub_i32 s21, s21, s20
	s_add_i32 s21, s21, s19
	s_mul_i32 s26, s20, 0x80000001
	s_mul_hi_u32 s19, s20, s21
	s_mul_i32 s25, s20, s21
	s_mul_hi_u32 s20, s20, s26
	s_add_u32 s20, s20, s25
	s_addc_u32 s19, 0, s19
	s_mul_hi_u32 s27, s18, s26
	s_mul_i32 s26, s18, s26
	s_add_u32 s20, s20, s26
	s_mul_hi_u32 s25, s18, s21
	s_addc_u32 s19, s19, s27
	s_addc_u32 s20, s25, 0
	s_mul_i32 s21, s18, s21
	s_add_u32 s19, s19, s21
	s_addc_u32 s20, 0, s20
	v_add_co_u32_e32 v11, vcc, s19, v11
	s_cmp_lg_u64 vcc, 0
	s_addc_u32 s18, s18, s20
	v_readfirstlane_b32 s21, v11
	s_mul_i32 s20, s5, s18
	s_mul_hi_u32 s25, s5, s21
	s_mul_hi_u32 s19, s5, s18
	s_add_u32 s20, s25, s20
	s_addc_u32 s19, 0, s19
	s_mul_hi_u32 s26, s4, s21
	s_mul_i32 s21, s4, s21
	s_add_u32 s20, s20, s21
	s_mul_hi_u32 s25, s4, s18
	s_addc_u32 s19, s19, s26
	s_addc_u32 s20, s25, 0
	s_mul_i32 s18, s4, s18
	s_add_u32 s18, s19, s18
	s_addc_u32 s19, 0, s20
	s_mul_hi_u32 s20, s18, 0x7fffffff
	s_mul_i32 s18, s18, 0x7fffffff
	s_mul_i32 s19, s19, 0x7fffffff
	v_mov_b32_e32 v11, s18
	s_add_i32 s20, s20, s19
	v_sub_co_u32_e32 v11, vcc, s5, v11
	s_cmp_lg_u64 vcc, 0
	s_subb_u32 s4, s4, s20
	v_subrev_co_u32_e32 v18, vcc, s22, v11
	s_cmp_lg_u64 vcc, 0
	s_subb_u32 s5, s4, 0
	v_subrev_co_u32_e32 v19, vcc, s22, v18
	s_cmp_lg_u64 vcc, 0
	s_subb_u32 s18, s5, 0
	v_readfirstlane_b32 s19, v18
	s_cmp_gt_u32 s19, 0x7ffffffe
	s_cselect_b32 s20, -1, 0
	s_cmp_eq_u32 s5, 0
	s_cselect_b32 s20, s20, -1
	s_cmp_lg_u32 s20, 0
	s_cselect_b32 s5, s18, s5
	v_readfirstlane_b32 s18, v19
	v_readfirstlane_b32 s20, v11
	s_cselect_b32 s18, s18, s19
	s_cmp_gt_u32 s20, 0x7ffffffe
	s_cselect_b32 s19, -1, 0
	s_cmp_eq_u32 s4, 0
	s_cselect_b32 s19, s19, -1
	v_lshrrev_b64 v[12:13], 1, v[2:3]
	s_cmp_lg_u32 s19, 0
	v_cmp_gt_u64_e32 vcc, 2, v[2:3]
	s_cselect_b32 s19, s5, s4
	s_cselect_b32 s18, s18, s20
	s_or_b64 s[10:11], vcc, s[10:11]
	v_pk_mov_b32 v[2:3], v[12:13], v[12:13] op_sel:[0,1]
	s_andn2_b64 exec, exec, s[10:11]
	s_cbranch_execz .LBB29_620
.LBB29_205:                             ; =>This Inner Loop Header: Depth=1
	v_and_b32_e32 v11, 1, v2
	v_cmp_eq_u32_e32 vcc, 1, v11
	s_and_saveexec_b64 s[20:21], vcc
	s_cbranch_execz .LBB29_204
; %bb.206:                              ;   in Loop: Header=BB29_205 Depth=1
	v_mul_lo_u32 v11, s19, v4
	v_mul_lo_u32 v12, s18, v5
	v_mad_u64_u32 v[4:5], s[4:5], s18, v4, 0
	s_add_u32 s4, 0x402, s24
	v_add3_u32 v5, v5, v12, v11
	s_addc_u32 s5, 0, 0
	v_add_co_u32_e32 v11, vcc, s4, v10
	s_cmp_lg_u64 vcc, 0
	v_readfirstlane_b32 s25, v11
	s_addc_u32 s4, s5, 1
	s_mul_hi_u32 s26, s25, 0x80000001
	s_mul_i32 s5, s4, 0x80000001
	s_sub_i32 s26, s26, s25
	s_add_i32 s26, s26, s5
	s_mul_i32 s28, s25, 0x80000001
	s_mul_hi_u32 s5, s25, s26
	s_mul_i32 s27, s25, s26
	s_mul_hi_u32 s25, s25, s28
	s_add_u32 s25, s25, s27
	s_addc_u32 s5, 0, s5
	s_mul_hi_u32 s29, s4, s28
	s_mul_i32 s28, s4, s28
	s_add_u32 s25, s25, s28
	s_mul_hi_u32 s27, s4, s26
	s_addc_u32 s5, s5, s29
	s_addc_u32 s25, s27, 0
	s_mul_i32 s26, s4, s26
	s_add_u32 s5, s5, s26
	s_addc_u32 s25, 0, s25
	v_add_co_u32_e32 v11, vcc, s5, v11
	s_cmp_lg_u64 vcc, 0
	s_addc_u32 s25, s4, s25
	v_mad_u64_u32 v[12:13], s[4:5], v4, s25, 0
	v_mul_hi_u32 v18, v4, v11
	v_add_co_u32_e32 v20, vcc, v18, v12
	v_addc_co_u32_e32 v21, vcc, 0, v13, vcc
	v_mad_u64_u32 v[18:19], s[4:5], v5, v11, 0
	v_add_co_u32_e32 v11, vcc, v20, v18
	v_mad_u64_u32 v[12:13], s[4:5], v5, s25, 0
	v_addc_co_u32_e32 v11, vcc, v21, v19, vcc
	v_addc_co_u32_e32 v13, vcc, 0, v13, vcc
	v_add_co_u32_e32 v11, vcc, v11, v12
	v_addc_co_u32_e32 v19, vcc, 0, v13, vcc
	v_mad_u64_u32 v[12:13], s[4:5], v11, s22, 0
	v_mov_b32_e32 v18, v13
	v_mad_u64_u32 v[18:19], s[4:5], v19, s22, v[18:19]
	v_sub_co_u32_e32 v4, vcc, v4, v12
	v_subb_co_u32_e32 v5, vcc, v5, v18, vcc
	v_subrev_co_u32_e32 v11, vcc, s22, v4
	v_subbrev_co_u32_e32 v12, vcc, 0, v5, vcc
	v_subrev_co_u32_e32 v13, vcc, s22, v11
	v_subbrev_co_u32_e32 v18, vcc, 0, v12, vcc
	v_cmp_lt_u32_e32 vcc, s23, v11
	v_cndmask_b32_e64 v19, 0, -1, vcc
	v_cmp_eq_u32_e32 vcc, 0, v12
	v_cndmask_b32_e32 v19, -1, v19, vcc
	v_cmp_ne_u32_e32 vcc, 0, v19
	v_cmp_lt_u32_e64 s[4:5], s23, v4
	v_cndmask_b32_e32 v12, v12, v18, vcc
	v_cndmask_b32_e64 v18, 0, -1, s[4:5]
	v_cmp_eq_u32_e64 s[4:5], 0, v5
	v_cndmask_b32_e64 v18, -1, v18, s[4:5]
	v_cmp_ne_u32_e64 s[4:5], 0, v18
	v_cndmask_b32_e32 v11, v11, v13, vcc
	v_cndmask_b32_e64 v5, v5, v12, s[4:5]
	v_cndmask_b32_e64 v4, v4, v11, s[4:5]
	s_branch .LBB29_204
.LBB29_207:
	s_or_b64 exec, exec, s[10:11]
	s_movk_i32 s4, 0x401
	s_add_u32 s4, 0x402, s4
	v_mov_b32_e32 v3, 0xfffff800
	s_addc_u32 s5, 0, 0
	v_add_co_u32_e32 v3, vcc, s4, v3
	s_cmp_lg_u64 vcc, 0
	v_readfirstlane_b32 s10, v3
	s_addc_u32 s4, s5, 1
	s_mul_hi_u32 s11, s10, 0x80000001
	s_mul_i32 s5, s4, 0x80000001
	s_sub_i32 s11, s11, s10
	s_add_i32 s11, s11, s5
	s_mul_i32 s15, s10, 0x80000001
	s_mul_hi_u32 s5, s10, s11
	s_mul_i32 s14, s10, s11
	s_mul_hi_u32 s10, s10, s15
	s_add_u32 s10, s10, s14
	s_addc_u32 s5, 0, s5
	s_mul_hi_u32 s16, s4, s15
	s_mul_i32 s15, s4, s15
	s_add_u32 s10, s10, s15
	s_mul_hi_u32 s14, s4, s11
	s_addc_u32 s5, s5, s16
	s_addc_u32 s10, s14, 0
	s_mul_i32 s11, s4, s11
	s_add_u32 s5, s5, s11
	s_addc_u32 s10, 0, s10
	v_add_co_u32_e32 v3, vcc, s5, v3
	s_cmp_lg_u64 vcc, 0
	s_addc_u32 s10, s4, s10
	v_mad_u64_u32 v[4:5], s[4:5], v6, s10, 0
	v_mul_hi_u32 v15, v6, v3
	v_add_co_u32_e32 v15, vcc, v15, v4
	v_addc_co_u32_e32 v20, vcc, 0, v5, vcc
	v_mad_u64_u32 v[16:17], s[4:5], v7, v3, 0
	v_add_co_u32_e32 v3, vcc, v15, v16
	v_mad_u64_u32 v[4:5], s[4:5], v7, s10, 0
	v_addc_co_u32_e32 v3, vcc, v20, v17, vcc
	v_addc_co_u32_e32 v5, vcc, 0, v5, vcc
	v_add_co_u32_e32 v3, vcc, v3, v4
	s_brev_b32 s10, -2
	v_addc_co_u32_e32 v15, vcc, 0, v5, vcc
	v_mad_u64_u32 v[4:5], s[4:5], v3, s10, 0
	v_mov_b32_e32 v16, v5
	v_mad_u64_u32 v[16:17], s[4:5], v15, s10, v[16:17]
	v_sub_co_u32_e32 v3, vcc, v6, v4
	v_subb_co_u32_e32 v4, vcc, v7, v16, vcc
	v_subrev_co_u32_e32 v5, vcc, 0x7fffffff, v3
	v_subbrev_co_u32_e32 v6, vcc, 0, v4, vcc
	s_mov_b32 s4, 0x7ffffffe
	v_cmp_lt_u32_e32 vcc, s4, v5
	v_cndmask_b32_e64 v7, 0, -1, vcc
	v_cmp_eq_u32_e32 vcc, 0, v6
	v_cndmask_b32_e32 v6, -1, v7, vcc
	v_add_u32_e32 v7, 0x80000001, v5
	v_cmp_ne_u32_e32 vcc, 0, v6
	v_cndmask_b32_e32 v5, v5, v7, vcc
	v_cmp_lt_u32_e32 vcc, s4, v3
	v_cndmask_b32_e64 v6, 0, -1, vcc
	v_cmp_eq_u32_e32 vcc, 0, v4
	v_cndmask_b32_e32 v4, -1, v6, vcc
	v_cmp_ne_u32_e32 vcc, 0, v4
	v_cndmask_b32_e32 v5, v3, v5, vcc
.LBB29_208:
	s_or_b64 exec, exec, s[8:9]
	s_movk_i32 s8, 0x1388
	v_mov_b32_e32 v15, 0
	s_mov_b32 s9, 0xbc8f1391
	s_mov_b32 s10, 0xbc8f
	s_brev_b32 s11, 12
	s_mov_b32 s14, 0xf800000
	v_mov_b32_e32 v3, 0x260
.LBB29_209:                             ; =>This Inner Loop Header: Depth=1
	v_mul_hi_u32 v4, v5, s9
	v_lshrrev_b32_e32 v4, 15, v4
	v_mul_u32_u24_e32 v7, 0xadc8, v4
	v_sub_u32_e32 v5, v5, v7
	v_mul_u32_u24_e32 v4, 0xd47, v4
	v_mul_lo_u32 v5, v5, s10
	v_xor_b32_e32 v7, 0x7fffffff, v4
	v_sub_u32_e32 v16, 0, v4
	v_cmp_lt_u32_e32 vcc, v5, v4
	v_cndmask_b32_e32 v4, v16, v7, vcc
	v_add_u32_e32 v4, v4, v5
	v_mul_hi_u32 v7, v4, s9
	v_lshrrev_b32_e32 v7, 15, v7
	v_mul_u32_u24_e32 v16, 0xadc8, v7
	v_add_u32_e32 v5, -1, v4
	v_sub_u32_e32 v4, v4, v16
	v_mul_u32_u24_e32 v7, 0xd47, v7
	v_mul_lo_u32 v4, v4, s10
	v_xor_b32_e32 v16, 0x7fffffff, v7
	v_sub_u32_e32 v17, 0, v7
	v_cmp_lt_u32_e32 vcc, v4, v7
	v_cndmask_b32_e32 v7, v17, v16, vcc
	v_add_u32_e32 v4, v7, v4
	v_mul_hi_u32 v16, v4, s9
	v_add_u32_e32 v7, -1, v4
	v_lshrrev_b32_e32 v16, 15, v16
	v_cvt_f32_u32_e32 v7, v7
	v_mul_u32_u24_e32 v17, 0xadc8, v16
	v_cvt_f32_u32_e32 v5, v5
	v_sub_u32_e32 v4, v4, v17
	v_mul_u32_u24_e32 v16, 0xd47, v16
	v_mul_lo_u32 v4, v4, s10
	v_xor_b32_e32 v17, 0x7fffffff, v16
	v_sub_u32_e32 v20, 0, v16
	v_cmp_lt_u32_e32 vcc, v4, v16
	v_fma_f32 v7, v7, s11, 0
	v_cndmask_b32_e32 v16, v20, v17, vcc
	v_fma_f32 v5, v5, s11, 0
	v_mul_f32_e32 v7, v7, v7
	v_add_u32_e32 v4, v16, v4
	v_fmac_f32_e32 v7, v5, v5
	v_mul_hi_u32 v16, v4, s9
	v_add_u32_e32 v5, -1, v4
	v_mul_f32_e32 v17, 0x4f800000, v7
	v_lshrrev_b32_e32 v16, 15, v16
	v_cmp_gt_f32_e32 vcc, s14, v7
	v_cvt_f32_u32_e32 v5, v5
	v_cndmask_b32_e32 v7, v7, v17, vcc
	v_mul_u32_u24_e32 v17, 0xadc8, v16
	v_sqrt_f32_e32 v20, v7
	v_sub_u32_e32 v4, v4, v17
	v_mul_u32_u24_e32 v16, 0xd47, v16
	v_mul_lo_u32 v4, v4, s10
	v_xor_b32_e32 v17, 0x7fffffff, v16
	v_sub_u32_e32 v21, 0, v16
	v_cmp_lt_u32_e64 s[4:5], v4, v16
	v_fma_f32 v22, v5, s11, 0
	v_cndmask_b32_e64 v5, v21, v17, s[4:5]
	v_add_u32_e32 v5, v5, v4
	v_add_u32_e32 v4, -1, v20
	v_add_u32_e32 v16, 1, v20
	v_add_u32_e32 v17, -1, v5
	v_fma_f32 v21, -v4, v20, v7
	v_fma_f32 v23, -v16, v20, v7
	v_cvt_f32_u32_e32 v17, v17
	v_cmp_ge_f32_e64 s[4:5], 0, v21
	v_cndmask_b32_e64 v4, v20, v4, s[4:5]
	v_cmp_lt_f32_e64 s[4:5], 0, v23
	v_cndmask_b32_e64 v4, v4, v16, s[4:5]
	v_mul_f32_e32 v16, 0x37800000, v4
	v_cndmask_b32_e32 v4, v4, v16, vcc
	v_fma_f32 v16, v17, s11, 0
	v_cmp_class_f32_e32 vcc, v7, v3
	v_cndmask_b32_e32 v4, v4, v7, vcc
	v_mul_f32_e32 v7, v16, v16
	v_add_f32_e32 v6, 1.0, v15
	v_cmp_nge_f32_e32 vcc, 1.0, v4
	v_fmac_f32_e32 v7, v22, v22
	v_cndmask_b32_e32 v4, v6, v15, vcc
	v_mul_f32_e32 v6, 0x4f800000, v7
	v_cmp_gt_f32_e32 vcc, s14, v7
	v_cndmask_b32_e32 v6, v7, v6, vcc
	v_sqrt_f32_e32 v7, v6
	s_add_i32 s8, s8, -2
	v_add_f32_e32 v15, 1.0, v4
	s_cmp_lg_u32 s8, 0
	v_add_u32_e32 v16, -1, v7
	v_add_u32_e32 v17, 1, v7
	v_fma_f32 v20, -v16, v7, v6
	v_fma_f32 v21, -v17, v7, v6
	v_cmp_ge_f32_e64 s[4:5], 0, v20
	v_cndmask_b32_e64 v7, v7, v16, s[4:5]
	v_cmp_lt_f32_e64 s[4:5], 0, v21
	v_cndmask_b32_e64 v7, v7, v17, s[4:5]
	v_mul_f32_e32 v16, 0x37800000, v7
	v_cndmask_b32_e32 v7, v7, v16, vcc
	v_cmp_class_f32_e32 vcc, v6, v3
	v_cndmask_b32_e32 v6, v7, v6, vcc
	v_cmp_nge_f32_e32 vcc, 1.0, v6
	v_cndmask_b32_e32 v15, v15, v4, vcc
	s_cbranch_scc1 .LBB29_209
; %bb.210:
	v_add_u32_e32 v4, 0x271000, v2
	v_cmp_ne_u32_e32 vcc, 0, v4
	v_mov_b32_e32 v5, 1
	s_and_saveexec_b64 s[8:9], vcc
	s_cbranch_execz .LBB29_232
; %bb.211:
	v_mov_b32_e32 v6, 1
	v_mov_b32_e32 v5, 0
	s_mov_b64 s[14:15], 0xbc8f
	s_mov_b64 s[10:11], 0
	v_mov_b32_e32 v7, 0
	s_brev_b32 s19, -2
	s_mov_b32 s20, 0x7ffffffe
	v_mov_b32_e32 v3, 0xfffff800
	s_movk_i32 s21, 0x401
	s_branch .LBB29_213
.LBB29_212:                             ;   in Loop: Header=BB29_213 Depth=1
	s_or_b64 exec, exec, s[16:17]
	s_mul_i32 s4, s14, s15
	s_mul_hi_u32 s5, s14, s14
	s_add_i32 s5, s5, s4
	s_add_i32 s4, s5, s4
	s_mul_i32 s5, s14, s14
	s_add_u32 s14, 0x402, s21
	s_addc_u32 s15, 0, 0
	v_add_co_u32_e32 v20, vcc, s14, v3
	s_cmp_lg_u64 vcc, 0
	v_readfirstlane_b32 s16, v20
	s_addc_u32 s14, s15, 1
	s_mul_hi_u32 s17, s16, 0x80000001
	s_mul_i32 s15, s14, 0x80000001
	s_sub_i32 s17, s17, s16
	s_add_i32 s17, s17, s15
	s_mul_i32 s25, s16, 0x80000001
	s_mul_hi_u32 s15, s16, s17
	s_mul_i32 s24, s16, s17
	s_mul_hi_u32 s16, s16, s25
	s_add_u32 s16, s16, s24
	s_addc_u32 s15, 0, s15
	s_mul_hi_u32 s26, s14, s25
	s_mul_i32 s25, s14, s25
	s_add_u32 s16, s16, s25
	s_mul_hi_u32 s24, s14, s17
	s_addc_u32 s15, s15, s26
	s_addc_u32 s16, s24, 0
	s_mul_i32 s17, s14, s17
	s_add_u32 s15, s15, s17
	s_addc_u32 s16, 0, s16
	v_add_co_u32_e32 v20, vcc, s15, v20
	s_cmp_lg_u64 vcc, 0
	s_addc_u32 s14, s14, s16
	v_readfirstlane_b32 s17, v20
	s_mul_i32 s16, s5, s14
	s_mul_hi_u32 s24, s5, s17
	s_mul_hi_u32 s15, s5, s14
	s_add_u32 s16, s24, s16
	s_addc_u32 s15, 0, s15
	s_mul_hi_u32 s25, s4, s17
	s_mul_i32 s17, s4, s17
	s_add_u32 s16, s16, s17
	s_mul_hi_u32 s24, s4, s14
	s_addc_u32 s15, s15, s25
	s_addc_u32 s16, s24, 0
	s_mul_i32 s14, s4, s14
	s_add_u32 s14, s15, s14
	s_addc_u32 s15, 0, s16
	s_mul_hi_u32 s16, s14, 0x7fffffff
	s_mul_i32 s14, s14, 0x7fffffff
	s_mul_i32 s15, s15, 0x7fffffff
	v_mov_b32_e32 v20, s14
	s_add_i32 s16, s16, s15
	v_sub_co_u32_e32 v20, vcc, s5, v20
	s_cmp_lg_u64 vcc, 0
	s_subb_u32 s4, s4, s16
	v_subrev_co_u32_e32 v21, vcc, s19, v20
	s_cmp_lg_u64 vcc, 0
	s_subb_u32 s5, s4, 0
	v_subrev_co_u32_e32 v22, vcc, s19, v21
	s_cmp_lg_u64 vcc, 0
	s_subb_u32 s14, s5, 0
	v_readfirstlane_b32 s15, v21
	s_cmp_gt_u32 s15, 0x7ffffffe
	s_cselect_b32 s16, -1, 0
	s_cmp_eq_u32 s5, 0
	s_cselect_b32 s16, s16, -1
	s_cmp_lg_u32 s16, 0
	s_cselect_b32 s5, s14, s5
	v_readfirstlane_b32 s14, v22
	v_readfirstlane_b32 s16, v20
	s_cselect_b32 s14, s14, s15
	s_cmp_gt_u32 s16, 0x7ffffffe
	s_cselect_b32 s15, -1, 0
	s_cmp_eq_u32 s4, 0
	s_cselect_b32 s15, s15, -1
	v_lshrrev_b64 v[16:17], 1, v[4:5]
	s_cmp_lg_u32 s15, 0
	v_cmp_gt_u64_e32 vcc, 2, v[4:5]
	s_cselect_b32 s15, s5, s4
	s_cselect_b32 s14, s14, s16
	s_or_b64 s[10:11], vcc, s[10:11]
	v_pk_mov_b32 v[4:5], v[16:17], v[16:17] op_sel:[0,1]
	s_andn2_b64 exec, exec, s[10:11]
	s_cbranch_execz .LBB29_231
.LBB29_213:                             ; =>This Inner Loop Header: Depth=1
	v_and_b32_e32 v16, 1, v4
	v_cmp_eq_u32_e32 vcc, 1, v16
	s_and_saveexec_b64 s[16:17], vcc
	s_cbranch_execz .LBB29_212
; %bb.214:                              ;   in Loop: Header=BB29_213 Depth=1
	v_mul_lo_u32 v16, s15, v6
	v_mul_lo_u32 v17, s14, v7
	v_mad_u64_u32 v[6:7], s[4:5], s14, v6, 0
	s_add_u32 s4, 0x402, s21
	v_add3_u32 v7, v7, v17, v16
	s_addc_u32 s5, 0, 0
	v_add_co_u32_e32 v16, vcc, s4, v3
	s_cmp_lg_u64 vcc, 0
	v_readfirstlane_b32 s24, v16
	s_addc_u32 s4, s5, 1
	s_mul_hi_u32 s25, s24, 0x80000001
	s_mul_i32 s5, s4, 0x80000001
	s_sub_i32 s25, s25, s24
	s_add_i32 s25, s25, s5
	s_mul_i32 s27, s24, 0x80000001
	s_mul_hi_u32 s5, s24, s25
	s_mul_i32 s26, s24, s25
	s_mul_hi_u32 s24, s24, s27
	s_add_u32 s24, s24, s26
	s_addc_u32 s5, 0, s5
	s_mul_hi_u32 s28, s4, s27
	s_mul_i32 s27, s4, s27
	s_add_u32 s24, s24, s27
	s_mul_hi_u32 s26, s4, s25
	s_addc_u32 s5, s5, s28
	s_addc_u32 s24, s26, 0
	s_mul_i32 s25, s4, s25
	s_add_u32 s5, s5, s25
	s_addc_u32 s24, 0, s24
	v_add_co_u32_e32 v20, vcc, s5, v16
	s_cmp_lg_u64 vcc, 0
	s_addc_u32 s24, s4, s24
	v_mad_u64_u32 v[16:17], s[4:5], v6, s24, 0
	v_mul_hi_u32 v21, v6, v20
	v_add_co_u32_e32 v22, vcc, v21, v16
	v_addc_co_u32_e32 v23, vcc, 0, v17, vcc
	v_mad_u64_u32 v[20:21], s[4:5], v7, v20, 0
	v_add_co_u32_e32 v20, vcc, v22, v20
	v_mad_u64_u32 v[16:17], s[4:5], v7, s24, 0
	v_addc_co_u32_e32 v20, vcc, v23, v21, vcc
	v_addc_co_u32_e32 v17, vcc, 0, v17, vcc
	v_add_co_u32_e32 v16, vcc, v20, v16
	v_addc_co_u32_e32 v21, vcc, 0, v17, vcc
	v_mad_u64_u32 v[16:17], s[4:5], v16, s19, 0
	v_mov_b32_e32 v20, v17
	v_mad_u64_u32 v[20:21], s[4:5], v21, s19, v[20:21]
	v_sub_co_u32_e32 v6, vcc, v6, v16
	v_subb_co_u32_e32 v7, vcc, v7, v20, vcc
	v_subrev_co_u32_e32 v16, vcc, s19, v6
	v_subbrev_co_u32_e32 v17, vcc, 0, v7, vcc
	v_subrev_co_u32_e32 v20, vcc, s19, v16
	v_subbrev_co_u32_e32 v21, vcc, 0, v17, vcc
	v_cmp_lt_u32_e32 vcc, s20, v16
	v_cndmask_b32_e64 v22, 0, -1, vcc
	v_cmp_eq_u32_e32 vcc, 0, v17
	v_cndmask_b32_e32 v22, -1, v22, vcc
	v_cmp_ne_u32_e32 vcc, 0, v22
	v_cmp_lt_u32_e64 s[4:5], s20, v6
	v_cndmask_b32_e32 v17, v17, v21, vcc
	v_cndmask_b32_e64 v21, 0, -1, s[4:5]
	v_cmp_eq_u32_e64 s[4:5], 0, v7
	v_cndmask_b32_e64 v21, -1, v21, s[4:5]
	v_cmp_ne_u32_e64 s[4:5], 0, v21
	v_cndmask_b32_e32 v16, v16, v20, vcc
	v_cndmask_b32_e64 v7, v7, v17, s[4:5]
	v_cndmask_b32_e64 v6, v6, v16, s[4:5]
	s_branch .LBB29_212
.LBB29_215:
	s_or_b64 exec, exec, s[10:11]
	s_movk_i32 s4, 0x401
	s_add_u32 s4, 0x402, s4
	v_mov_b32_e32 v3, 0xfffff800
	s_addc_u32 s5, 0, 0
	v_add_co_u32_e32 v3, vcc, s4, v3
	s_cmp_lg_u64 vcc, 0
	v_readfirstlane_b32 s10, v3
	s_addc_u32 s4, s5, 1
	s_mul_hi_u32 s11, s10, 0x80000001
	s_mul_i32 s5, s4, 0x80000001
	s_sub_i32 s11, s11, s10
	s_add_i32 s11, s11, s5
	s_mul_i32 s15, s10, 0x80000001
	s_mul_hi_u32 s5, s10, s11
	s_mul_i32 s14, s10, s11
	s_mul_hi_u32 s10, s10, s15
	s_add_u32 s10, s10, s14
	s_addc_u32 s5, 0, s5
	s_mul_hi_u32 s16, s4, s15
	s_mul_i32 s15, s4, s15
	s_add_u32 s10, s10, s15
	s_mul_hi_u32 s14, s4, s11
	s_addc_u32 s5, s5, s16
	s_addc_u32 s10, s14, 0
	s_mul_i32 s11, s4, s11
	s_add_u32 s5, s5, s11
	s_addc_u32 s10, 0, s10
	v_add_co_u32_e32 v3, vcc, s5, v3
	s_cmp_lg_u64 vcc, 0
	s_addc_u32 s10, s4, s10
	v_mad_u64_u32 v[4:5], s[4:5], v6, s10, 0
	v_mul_hi_u32 v11, v6, v3
	v_add_co_u32_e32 v11, vcc, v11, v4
	v_addc_co_u32_e32 v14, vcc, 0, v5, vcc
	v_mad_u64_u32 v[12:13], s[4:5], v7, v3, 0
	v_add_co_u32_e32 v3, vcc, v11, v12
	v_mad_u64_u32 v[4:5], s[4:5], v7, s10, 0
	v_addc_co_u32_e32 v3, vcc, v14, v13, vcc
	v_addc_co_u32_e32 v5, vcc, 0, v5, vcc
	v_add_co_u32_e32 v3, vcc, v3, v4
	s_brev_b32 s10, -2
	v_addc_co_u32_e32 v11, vcc, 0, v5, vcc
	v_mad_u64_u32 v[4:5], s[4:5], v3, s10, 0
	v_mov_b32_e32 v12, v5
	v_mad_u64_u32 v[12:13], s[4:5], v11, s10, v[12:13]
	v_sub_co_u32_e32 v3, vcc, v6, v4
	v_subb_co_u32_e32 v4, vcc, v7, v12, vcc
	v_subrev_co_u32_e32 v5, vcc, 0x7fffffff, v3
	v_subbrev_co_u32_e32 v6, vcc, 0, v4, vcc
	s_mov_b32 s4, 0x7ffffffe
	v_cmp_lt_u32_e32 vcc, s4, v5
	v_cndmask_b32_e64 v7, 0, -1, vcc
	v_cmp_eq_u32_e32 vcc, 0, v6
	v_cndmask_b32_e32 v6, -1, v7, vcc
	v_add_u32_e32 v7, 0x80000001, v5
	v_cmp_ne_u32_e32 vcc, 0, v6
	v_cndmask_b32_e32 v5, v5, v7, vcc
	v_cmp_lt_u32_e32 vcc, s4, v3
	v_cndmask_b32_e64 v6, 0, -1, vcc
	v_cmp_eq_u32_e32 vcc, 0, v4
	v_cndmask_b32_e32 v4, -1, v6, vcc
	v_cmp_ne_u32_e32 vcc, 0, v4
	v_cndmask_b32_e32 v5, v3, v5, vcc
.LBB29_216:
	s_or_b64 exec, exec, s[8:9]
	s_movk_i32 s8, 0x1388
	v_mov_b32_e32 v11, 0
	s_mov_b32 s9, 0xbc8f1391
	s_mov_b32 s10, 0xbc8f
	s_brev_b32 s11, 12
	s_mov_b32 s14, 0xf800000
	v_mov_b32_e32 v3, 0x260
.LBB29_217:                             ; =>This Inner Loop Header: Depth=1
	v_mul_hi_u32 v4, v5, s9
	v_lshrrev_b32_e32 v4, 15, v4
	v_mul_u32_u24_e32 v7, 0xadc8, v4
	v_sub_u32_e32 v5, v5, v7
	v_mul_u32_u24_e32 v4, 0xd47, v4
	v_mul_lo_u32 v5, v5, s10
	v_xor_b32_e32 v7, 0x7fffffff, v4
	v_sub_u32_e32 v12, 0, v4
	v_cmp_lt_u32_e32 vcc, v5, v4
	v_cndmask_b32_e32 v4, v12, v7, vcc
	v_add_u32_e32 v4, v4, v5
	v_mul_hi_u32 v7, v4, s9
	v_lshrrev_b32_e32 v7, 15, v7
	v_mul_u32_u24_e32 v12, 0xadc8, v7
	v_add_u32_e32 v5, -1, v4
	v_sub_u32_e32 v4, v4, v12
	v_mul_u32_u24_e32 v7, 0xd47, v7
	v_mul_lo_u32 v4, v4, s10
	v_xor_b32_e32 v12, 0x7fffffff, v7
	v_sub_u32_e32 v13, 0, v7
	v_cmp_lt_u32_e32 vcc, v4, v7
	v_cndmask_b32_e32 v7, v13, v12, vcc
	v_add_u32_e32 v4, v7, v4
	v_mul_hi_u32 v12, v4, s9
	v_add_u32_e32 v7, -1, v4
	v_lshrrev_b32_e32 v12, 15, v12
	v_cvt_f32_u32_e32 v7, v7
	v_mul_u32_u24_e32 v13, 0xadc8, v12
	v_cvt_f32_u32_e32 v5, v5
	v_sub_u32_e32 v4, v4, v13
	v_mul_u32_u24_e32 v12, 0xd47, v12
	v_mul_lo_u32 v4, v4, s10
	v_xor_b32_e32 v13, 0x7fffffff, v12
	v_sub_u32_e32 v14, 0, v12
	v_cmp_lt_u32_e32 vcc, v4, v12
	v_fma_f32 v7, v7, s11, 0
	v_cndmask_b32_e32 v12, v14, v13, vcc
	v_fma_f32 v5, v5, s11, 0
	v_mul_f32_e32 v7, v7, v7
	v_add_u32_e32 v4, v12, v4
	v_fmac_f32_e32 v7, v5, v5
	v_mul_hi_u32 v12, v4, s9
	v_add_u32_e32 v5, -1, v4
	v_mul_f32_e32 v13, 0x4f800000, v7
	v_lshrrev_b32_e32 v12, 15, v12
	v_cmp_gt_f32_e32 vcc, s14, v7
	v_cvt_f32_u32_e32 v5, v5
	v_cndmask_b32_e32 v7, v7, v13, vcc
	v_mul_u32_u24_e32 v13, 0xadc8, v12
	v_sqrt_f32_e32 v14, v7
	v_sub_u32_e32 v4, v4, v13
	v_mul_u32_u24_e32 v12, 0xd47, v12
	v_mul_lo_u32 v4, v4, s10
	v_xor_b32_e32 v13, 0x7fffffff, v12
	v_sub_u32_e32 v15, 0, v12
	v_cmp_lt_u32_e64 s[4:5], v4, v12
	v_fma_f32 v16, v5, s11, 0
	v_cndmask_b32_e64 v5, v15, v13, s[4:5]
	v_add_u32_e32 v5, v5, v4
	v_add_u32_e32 v4, -1, v14
	v_add_u32_e32 v12, 1, v14
	v_add_u32_e32 v13, -1, v5
	v_fma_f32 v15, -v4, v14, v7
	v_fma_f32 v17, -v12, v14, v7
	v_cvt_f32_u32_e32 v13, v13
	v_cmp_ge_f32_e64 s[4:5], 0, v15
	v_cndmask_b32_e64 v4, v14, v4, s[4:5]
	v_cmp_lt_f32_e64 s[4:5], 0, v17
	v_cndmask_b32_e64 v4, v4, v12, s[4:5]
	v_mul_f32_e32 v12, 0x37800000, v4
	v_cndmask_b32_e32 v4, v4, v12, vcc
	v_fma_f32 v12, v13, s11, 0
	v_cmp_class_f32_e32 vcc, v7, v3
	v_cndmask_b32_e32 v4, v4, v7, vcc
	v_mul_f32_e32 v7, v12, v12
	v_add_f32_e32 v6, 1.0, v11
	v_cmp_nge_f32_e32 vcc, 1.0, v4
	v_fmac_f32_e32 v7, v16, v16
	v_cndmask_b32_e32 v4, v6, v11, vcc
	v_mul_f32_e32 v6, 0x4f800000, v7
	v_cmp_gt_f32_e32 vcc, s14, v7
	v_cndmask_b32_e32 v6, v7, v6, vcc
	v_sqrt_f32_e32 v7, v6
	s_add_i32 s8, s8, -2
	v_add_f32_e32 v11, 1.0, v4
	s_cmp_lg_u32 s8, 0
	v_add_u32_e32 v12, -1, v7
	v_add_u32_e32 v13, 1, v7
	v_fma_f32 v14, -v12, v7, v6
	v_fma_f32 v15, -v13, v7, v6
	v_cmp_ge_f32_e64 s[4:5], 0, v14
	v_cndmask_b32_e64 v7, v7, v12, s[4:5]
	v_cmp_lt_f32_e64 s[4:5], 0, v15
	v_cndmask_b32_e64 v7, v7, v13, s[4:5]
	v_mul_f32_e32 v12, 0x37800000, v7
	v_cndmask_b32_e32 v7, v7, v12, vcc
	v_cmp_class_f32_e32 vcc, v6, v3
	v_cndmask_b32_e32 v6, v7, v6, vcc
	v_cmp_nge_f32_e32 vcc, 1.0, v6
	v_cndmask_b32_e32 v11, v11, v4, vcc
	s_cbranch_scc1 .LBB29_217
; %bb.218:
	v_add_u32_e32 v4, 0x271000, v2
	v_cmp_ne_u32_e32 vcc, 0, v4
	v_mov_b32_e32 v5, 1
	s_and_saveexec_b64 s[8:9], vcc
	s_cbranch_execz .LBB29_240
; %bb.219:
	v_mov_b32_e32 v6, 1
	v_mov_b32_e32 v5, 0
	s_mov_b64 s[14:15], 0xbc8f
	s_mov_b64 s[10:11], 0
	v_mov_b32_e32 v7, 0
	s_brev_b32 s19, -2
	s_mov_b32 s20, 0x7ffffffe
	v_mov_b32_e32 v3, 0xfffff800
	s_movk_i32 s21, 0x401
	s_branch .LBB29_221
.LBB29_220:                             ;   in Loop: Header=BB29_221 Depth=1
	s_or_b64 exec, exec, s[16:17]
	s_mul_i32 s4, s14, s15
	s_mul_hi_u32 s5, s14, s14
	s_add_i32 s5, s5, s4
	s_add_i32 s4, s5, s4
	s_mul_i32 s5, s14, s14
	s_add_u32 s14, 0x402, s21
	s_addc_u32 s15, 0, 0
	v_add_co_u32_e32 v14, vcc, s14, v3
	s_cmp_lg_u64 vcc, 0
	v_readfirstlane_b32 s16, v14
	s_addc_u32 s14, s15, 1
	s_mul_hi_u32 s17, s16, 0x80000001
	s_mul_i32 s15, s14, 0x80000001
	s_sub_i32 s17, s17, s16
	s_add_i32 s17, s17, s15
	s_mul_i32 s23, s16, 0x80000001
	s_mul_hi_u32 s15, s16, s17
	s_mul_i32 s22, s16, s17
	s_mul_hi_u32 s16, s16, s23
	s_add_u32 s16, s16, s22
	s_addc_u32 s15, 0, s15
	s_mul_hi_u32 s24, s14, s23
	s_mul_i32 s23, s14, s23
	s_add_u32 s16, s16, s23
	s_mul_hi_u32 s22, s14, s17
	s_addc_u32 s15, s15, s24
	s_addc_u32 s16, s22, 0
	s_mul_i32 s17, s14, s17
	s_add_u32 s15, s15, s17
	s_addc_u32 s16, 0, s16
	v_add_co_u32_e32 v14, vcc, s15, v14
	s_cmp_lg_u64 vcc, 0
	s_addc_u32 s14, s14, s16
	v_readfirstlane_b32 s17, v14
	s_mul_i32 s16, s5, s14
	s_mul_hi_u32 s22, s5, s17
	s_mul_hi_u32 s15, s5, s14
	s_add_u32 s16, s22, s16
	s_addc_u32 s15, 0, s15
	s_mul_hi_u32 s23, s4, s17
	s_mul_i32 s17, s4, s17
	s_add_u32 s16, s16, s17
	s_mul_hi_u32 s22, s4, s14
	s_addc_u32 s15, s15, s23
	s_addc_u32 s16, s22, 0
	s_mul_i32 s14, s4, s14
	s_add_u32 s14, s15, s14
	s_addc_u32 s15, 0, s16
	s_mul_hi_u32 s16, s14, 0x7fffffff
	s_mul_i32 s14, s14, 0x7fffffff
	s_mul_i32 s15, s15, 0x7fffffff
	v_mov_b32_e32 v14, s14
	s_add_i32 s16, s16, s15
	v_sub_co_u32_e32 v14, vcc, s5, v14
	s_cmp_lg_u64 vcc, 0
	s_subb_u32 s4, s4, s16
	v_subrev_co_u32_e32 v15, vcc, s19, v14
	s_cmp_lg_u64 vcc, 0
	s_subb_u32 s5, s4, 0
	v_subrev_co_u32_e32 v16, vcc, s19, v15
	s_cmp_lg_u64 vcc, 0
	s_subb_u32 s14, s5, 0
	v_readfirstlane_b32 s15, v15
	s_cmp_gt_u32 s15, 0x7ffffffe
	s_cselect_b32 s16, -1, 0
	s_cmp_eq_u32 s5, 0
	s_cselect_b32 s16, s16, -1
	s_cmp_lg_u32 s16, 0
	s_cselect_b32 s5, s14, s5
	v_readfirstlane_b32 s14, v16
	v_readfirstlane_b32 s16, v14
	s_cselect_b32 s14, s14, s15
	s_cmp_gt_u32 s16, 0x7ffffffe
	s_cselect_b32 s15, -1, 0
	s_cmp_eq_u32 s4, 0
	s_cselect_b32 s15, s15, -1
	v_lshrrev_b64 v[12:13], 1, v[4:5]
	s_cmp_lg_u32 s15, 0
	v_cmp_gt_u64_e32 vcc, 2, v[4:5]
	s_cselect_b32 s15, s5, s4
	s_cselect_b32 s14, s14, s16
	s_or_b64 s[10:11], vcc, s[10:11]
	v_pk_mov_b32 v[4:5], v[12:13], v[12:13] op_sel:[0,1]
	s_andn2_b64 exec, exec, s[10:11]
	s_cbranch_execz .LBB29_239
.LBB29_221:                             ; =>This Inner Loop Header: Depth=1
	v_and_b32_e32 v12, 1, v4
	v_cmp_eq_u32_e32 vcc, 1, v12
	s_and_saveexec_b64 s[16:17], vcc
	s_cbranch_execz .LBB29_220
; %bb.222:                              ;   in Loop: Header=BB29_221 Depth=1
	v_mul_lo_u32 v12, s15, v6
	v_mul_lo_u32 v13, s14, v7
	v_mad_u64_u32 v[6:7], s[4:5], s14, v6, 0
	s_add_u32 s4, 0x402, s21
	v_add3_u32 v7, v7, v13, v12
	s_addc_u32 s5, 0, 0
	v_add_co_u32_e32 v12, vcc, s4, v3
	s_cmp_lg_u64 vcc, 0
	v_readfirstlane_b32 s22, v12
	s_addc_u32 s4, s5, 1
	s_mul_hi_u32 s23, s22, 0x80000001
	s_mul_i32 s5, s4, 0x80000001
	s_sub_i32 s23, s23, s22
	s_add_i32 s23, s23, s5
	s_mul_i32 s25, s22, 0x80000001
	s_mul_hi_u32 s5, s22, s23
	s_mul_i32 s24, s22, s23
	s_mul_hi_u32 s22, s22, s25
	s_add_u32 s22, s22, s24
	s_addc_u32 s5, 0, s5
	s_mul_hi_u32 s26, s4, s25
	s_mul_i32 s25, s4, s25
	s_add_u32 s22, s22, s25
	s_mul_hi_u32 s24, s4, s23
	s_addc_u32 s5, s5, s26
	s_addc_u32 s22, s24, 0
	s_mul_i32 s23, s4, s23
	s_add_u32 s5, s5, s23
	s_addc_u32 s22, 0, s22
	v_add_co_u32_e32 v14, vcc, s5, v12
	s_cmp_lg_u64 vcc, 0
	s_addc_u32 s22, s4, s22
	v_mad_u64_u32 v[12:13], s[4:5], v6, s22, 0
	v_mul_hi_u32 v15, v6, v14
	v_add_co_u32_e32 v16, vcc, v15, v12
	v_addc_co_u32_e32 v17, vcc, 0, v13, vcc
	v_mad_u64_u32 v[14:15], s[4:5], v7, v14, 0
	v_add_co_u32_e32 v14, vcc, v16, v14
	v_mad_u64_u32 v[12:13], s[4:5], v7, s22, 0
	v_addc_co_u32_e32 v14, vcc, v17, v15, vcc
	v_addc_co_u32_e32 v13, vcc, 0, v13, vcc
	v_add_co_u32_e32 v12, vcc, v14, v12
	v_addc_co_u32_e32 v15, vcc, 0, v13, vcc
	v_mad_u64_u32 v[12:13], s[4:5], v12, s19, 0
	v_mov_b32_e32 v14, v13
	v_mad_u64_u32 v[14:15], s[4:5], v15, s19, v[14:15]
	v_sub_co_u32_e32 v6, vcc, v6, v12
	v_subb_co_u32_e32 v7, vcc, v7, v14, vcc
	v_subrev_co_u32_e32 v12, vcc, s19, v6
	v_subbrev_co_u32_e32 v13, vcc, 0, v7, vcc
	v_subrev_co_u32_e32 v14, vcc, s19, v12
	v_subbrev_co_u32_e32 v15, vcc, 0, v13, vcc
	v_cmp_lt_u32_e32 vcc, s20, v12
	v_cndmask_b32_e64 v16, 0, -1, vcc
	v_cmp_eq_u32_e32 vcc, 0, v13
	v_cndmask_b32_e32 v16, -1, v16, vcc
	v_cmp_ne_u32_e32 vcc, 0, v16
	v_cmp_lt_u32_e64 s[4:5], s20, v6
	v_cndmask_b32_e32 v13, v13, v15, vcc
	v_cndmask_b32_e64 v15, 0, -1, s[4:5]
	v_cmp_eq_u32_e64 s[4:5], 0, v7
	v_cndmask_b32_e64 v15, -1, v15, s[4:5]
	v_cmp_ne_u32_e64 s[4:5], 0, v15
	v_cndmask_b32_e32 v12, v12, v14, vcc
	v_cndmask_b32_e64 v7, v7, v13, s[4:5]
	v_cndmask_b32_e64 v6, v6, v12, s[4:5]
	s_branch .LBB29_220
.LBB29_223:
	s_or_b64 exec, exec, s[10:11]
	s_movk_i32 s4, 0x401
	s_add_u32 s4, 0x402, s4
	v_mov_b32_e32 v5, 0xfffff800
	s_addc_u32 s5, 0, 0
	v_add_co_u32_e32 v5, vcc, s4, v5
	s_cmp_lg_u64 vcc, 0
	v_readfirstlane_b32 s10, v5
	s_addc_u32 s4, s5, 1
	s_mul_hi_u32 s11, s10, 0x80000001
	s_mul_i32 s5, s4, 0x80000001
	s_sub_i32 s11, s11, s10
	s_add_i32 s11, s11, s5
	s_mul_i32 s15, s10, 0x80000001
	s_mul_hi_u32 s5, s10, s11
	s_mul_i32 s14, s10, s11
	s_mul_hi_u32 s10, s10, s15
	s_add_u32 s10, s10, s14
	s_addc_u32 s5, 0, s5
	s_mul_hi_u32 s16, s4, s15
	s_mul_i32 s15, s4, s15
	s_add_u32 s10, s10, s15
	s_mul_hi_u32 s14, s4, s11
	s_addc_u32 s5, s5, s16
	s_addc_u32 s10, s14, 0
	s_mul_i32 s11, s4, s11
	s_add_u32 s5, s5, s11
	s_addc_u32 s10, 0, s10
	v_add_co_u32_e32 v5, vcc, s5, v5
	s_cmp_lg_u64 vcc, 0
	s_addc_u32 s10, s4, s10
	v_mad_u64_u32 v[6:7], s[4:5], v8, s10, 0
	v_mul_hi_u32 v15, v8, v5
	v_add_co_u32_e32 v15, vcc, v15, v6
	v_addc_co_u32_e32 v18, vcc, 0, v7, vcc
	v_mad_u64_u32 v[16:17], s[4:5], v9, v5, 0
	v_add_co_u32_e32 v5, vcc, v15, v16
	v_mad_u64_u32 v[6:7], s[4:5], v9, s10, 0
	v_addc_co_u32_e32 v5, vcc, v18, v17, vcc
	v_addc_co_u32_e32 v7, vcc, 0, v7, vcc
	v_add_co_u32_e32 v5, vcc, v5, v6
	s_brev_b32 s10, -2
	v_addc_co_u32_e32 v15, vcc, 0, v7, vcc
	v_mad_u64_u32 v[6:7], s[4:5], v5, s10, 0
	v_mov_b32_e32 v16, v7
	v_mad_u64_u32 v[16:17], s[4:5], v15, s10, v[16:17]
	v_sub_co_u32_e32 v5, vcc, v8, v6
	v_subb_co_u32_e32 v6, vcc, v9, v16, vcc
	v_subrev_co_u32_e32 v7, vcc, 0x7fffffff, v5
	v_subbrev_co_u32_e32 v8, vcc, 0, v6, vcc
	s_mov_b32 s4, 0x7ffffffe
	v_cmp_lt_u32_e32 vcc, s4, v7
	v_cndmask_b32_e64 v9, 0, -1, vcc
	v_cmp_eq_u32_e32 vcc, 0, v8
	v_cndmask_b32_e32 v8, -1, v9, vcc
	v_add_u32_e32 v9, 0x80000001, v7
	v_cmp_ne_u32_e32 vcc, 0, v8
	v_cndmask_b32_e32 v7, v7, v9, vcc
	v_cmp_lt_u32_e32 vcc, s4, v5
	v_cndmask_b32_e64 v8, 0, -1, vcc
	v_cmp_eq_u32_e32 vcc, 0, v6
	v_cndmask_b32_e32 v6, -1, v8, vcc
	v_cmp_ne_u32_e32 vcc, 0, v6
	v_cndmask_b32_e32 v7, v5, v7, vcc
.LBB29_224:
	s_or_b64 exec, exec, s[8:9]
	s_movk_i32 s8, 0x1388
	v_mov_b32_e32 v15, 0
	s_mov_b32 s9, 0xbc8f1391
	s_mov_b32 s10, 0xbc8f
	s_brev_b32 s11, 12
	s_mov_b32 s14, 0xf800000
	v_mov_b32_e32 v5, 0x260
.LBB29_225:                             ; =>This Inner Loop Header: Depth=1
	v_mul_hi_u32 v6, v7, s9
	v_lshrrev_b32_e32 v6, 15, v6
	v_mul_u32_u24_e32 v9, 0xadc8, v6
	v_sub_u32_e32 v7, v7, v9
	v_mul_u32_u24_e32 v6, 0xd47, v6
	v_mul_lo_u32 v7, v7, s10
	v_xor_b32_e32 v9, 0x7fffffff, v6
	v_sub_u32_e32 v16, 0, v6
	v_cmp_lt_u32_e32 vcc, v7, v6
	v_cndmask_b32_e32 v6, v16, v9, vcc
	v_add_u32_e32 v6, v6, v7
	v_mul_hi_u32 v9, v6, s9
	v_lshrrev_b32_e32 v9, 15, v9
	v_mul_u32_u24_e32 v16, 0xadc8, v9
	v_add_u32_e32 v7, -1, v6
	v_sub_u32_e32 v6, v6, v16
	v_mul_u32_u24_e32 v9, 0xd47, v9
	v_mul_lo_u32 v6, v6, s10
	v_xor_b32_e32 v16, 0x7fffffff, v9
	v_sub_u32_e32 v17, 0, v9
	v_cmp_lt_u32_e32 vcc, v6, v9
	v_cndmask_b32_e32 v9, v17, v16, vcc
	v_add_u32_e32 v6, v9, v6
	v_mul_hi_u32 v16, v6, s9
	v_add_u32_e32 v9, -1, v6
	v_lshrrev_b32_e32 v16, 15, v16
	v_cvt_f32_u32_e32 v9, v9
	v_mul_u32_u24_e32 v17, 0xadc8, v16
	v_cvt_f32_u32_e32 v7, v7
	v_sub_u32_e32 v6, v6, v17
	v_mul_u32_u24_e32 v16, 0xd47, v16
	v_mul_lo_u32 v6, v6, s10
	v_xor_b32_e32 v17, 0x7fffffff, v16
	v_sub_u32_e32 v18, 0, v16
	v_cmp_lt_u32_e32 vcc, v6, v16
	v_fma_f32 v9, v9, s11, 0
	v_cndmask_b32_e32 v16, v18, v17, vcc
	v_fma_f32 v7, v7, s11, 0
	v_mul_f32_e32 v9, v9, v9
	v_add_u32_e32 v6, v16, v6
	v_fmac_f32_e32 v9, v7, v7
	v_mul_hi_u32 v16, v6, s9
	v_add_u32_e32 v7, -1, v6
	v_mul_f32_e32 v17, 0x4f800000, v9
	v_lshrrev_b32_e32 v16, 15, v16
	v_cmp_gt_f32_e32 vcc, s14, v9
	v_cvt_f32_u32_e32 v7, v7
	v_cndmask_b32_e32 v9, v9, v17, vcc
	v_mul_u32_u24_e32 v17, 0xadc8, v16
	v_sqrt_f32_e32 v18, v9
	v_sub_u32_e32 v6, v6, v17
	v_mul_u32_u24_e32 v16, 0xd47, v16
	v_mul_lo_u32 v6, v6, s10
	v_xor_b32_e32 v17, 0x7fffffff, v16
	v_sub_u32_e32 v19, 0, v16
	v_cmp_lt_u32_e64 s[4:5], v6, v16
	v_fma_f32 v20, v7, s11, 0
	v_cndmask_b32_e64 v7, v19, v17, s[4:5]
	v_add_u32_e32 v7, v7, v6
	v_add_u32_e32 v6, -1, v18
	v_add_u32_e32 v16, 1, v18
	v_add_u32_e32 v17, -1, v7
	v_fma_f32 v19, -v6, v18, v9
	v_fma_f32 v21, -v16, v18, v9
	v_cvt_f32_u32_e32 v17, v17
	v_cmp_ge_f32_e64 s[4:5], 0, v19
	v_cndmask_b32_e64 v6, v18, v6, s[4:5]
	v_cmp_lt_f32_e64 s[4:5], 0, v21
	v_cndmask_b32_e64 v6, v6, v16, s[4:5]
	v_mul_f32_e32 v16, 0x37800000, v6
	v_cndmask_b32_e32 v6, v6, v16, vcc
	v_fma_f32 v16, v17, s11, 0
	v_cmp_class_f32_e32 vcc, v9, v5
	v_cndmask_b32_e32 v6, v6, v9, vcc
	v_mul_f32_e32 v9, v16, v16
	v_add_f32_e32 v8, 1.0, v15
	v_cmp_nge_f32_e32 vcc, 1.0, v6
	v_fmac_f32_e32 v9, v20, v20
	v_cndmask_b32_e32 v6, v8, v15, vcc
	v_mul_f32_e32 v8, 0x4f800000, v9
	v_cmp_gt_f32_e32 vcc, s14, v9
	v_cndmask_b32_e32 v8, v9, v8, vcc
	v_sqrt_f32_e32 v9, v8
	s_add_i32 s8, s8, -2
	v_add_f32_e32 v15, 1.0, v6
	s_cmp_lg_u32 s8, 0
	v_add_u32_e32 v16, -1, v9
	v_add_u32_e32 v17, 1, v9
	v_fma_f32 v18, -v16, v9, v8
	v_fma_f32 v19, -v17, v9, v8
	v_cmp_ge_f32_e64 s[4:5], 0, v18
	v_cndmask_b32_e64 v9, v9, v16, s[4:5]
	v_cmp_lt_f32_e64 s[4:5], 0, v19
	v_cndmask_b32_e64 v9, v9, v17, s[4:5]
	v_mul_f32_e32 v16, 0x37800000, v9
	v_cndmask_b32_e32 v9, v9, v16, vcc
	v_cmp_class_f32_e32 vcc, v8, v5
	v_cndmask_b32_e32 v8, v9, v8, vcc
	v_cmp_nge_f32_e32 vcc, 1.0, v8
	v_cndmask_b32_e32 v15, v15, v6, vcc
	s_cbranch_scc1 .LBB29_225
; %bb.226:
	v_add_u32_e32 v6, 0x271000, v4
	v_cmp_ne_u32_e32 vcc, 0, v6
	v_mov_b32_e32 v7, 1
	s_and_saveexec_b64 s[8:9], vcc
	s_cbranch_execz .LBB29_248
; %bb.227:
	v_mov_b32_e32 v8, 1
	v_mov_b32_e32 v7, 0
	s_mov_b64 s[14:15], 0xbc8f
	s_mov_b64 s[10:11], 0
	v_mov_b32_e32 v9, 0
	s_brev_b32 s19, -2
	s_mov_b32 s20, 0x7ffffffe
	v_mov_b32_e32 v5, 0xfffff800
	s_movk_i32 s21, 0x401
	s_branch .LBB29_229
.LBB29_228:                             ;   in Loop: Header=BB29_229 Depth=1
	s_or_b64 exec, exec, s[16:17]
	s_mul_i32 s4, s14, s15
	s_mul_hi_u32 s5, s14, s14
	s_add_i32 s5, s5, s4
	s_add_i32 s4, s5, s4
	s_mul_i32 s5, s14, s14
	s_add_u32 s14, 0x402, s21
	s_addc_u32 s15, 0, 0
	v_add_co_u32_e32 v18, vcc, s14, v5
	s_cmp_lg_u64 vcc, 0
	v_readfirstlane_b32 s16, v18
	s_addc_u32 s14, s15, 1
	s_mul_hi_u32 s17, s16, 0x80000001
	s_mul_i32 s15, s14, 0x80000001
	s_sub_i32 s17, s17, s16
	s_add_i32 s17, s17, s15
	s_mul_i32 s23, s16, 0x80000001
	s_mul_hi_u32 s15, s16, s17
	s_mul_i32 s22, s16, s17
	s_mul_hi_u32 s16, s16, s23
	s_add_u32 s16, s16, s22
	s_addc_u32 s15, 0, s15
	s_mul_hi_u32 s24, s14, s23
	s_mul_i32 s23, s14, s23
	s_add_u32 s16, s16, s23
	s_mul_hi_u32 s22, s14, s17
	s_addc_u32 s15, s15, s24
	s_addc_u32 s16, s22, 0
	s_mul_i32 s17, s14, s17
	s_add_u32 s15, s15, s17
	s_addc_u32 s16, 0, s16
	v_add_co_u32_e32 v18, vcc, s15, v18
	s_cmp_lg_u64 vcc, 0
	s_addc_u32 s14, s14, s16
	v_readfirstlane_b32 s17, v18
	s_mul_i32 s16, s5, s14
	s_mul_hi_u32 s22, s5, s17
	s_mul_hi_u32 s15, s5, s14
	s_add_u32 s16, s22, s16
	s_addc_u32 s15, 0, s15
	s_mul_hi_u32 s23, s4, s17
	s_mul_i32 s17, s4, s17
	s_add_u32 s16, s16, s17
	s_mul_hi_u32 s22, s4, s14
	s_addc_u32 s15, s15, s23
	s_addc_u32 s16, s22, 0
	s_mul_i32 s14, s4, s14
	s_add_u32 s14, s15, s14
	s_addc_u32 s15, 0, s16
	s_mul_hi_u32 s16, s14, 0x7fffffff
	s_mul_i32 s14, s14, 0x7fffffff
	s_mul_i32 s15, s15, 0x7fffffff
	v_mov_b32_e32 v18, s14
	s_add_i32 s16, s16, s15
	v_sub_co_u32_e32 v18, vcc, s5, v18
	s_cmp_lg_u64 vcc, 0
	s_subb_u32 s4, s4, s16
	v_subrev_co_u32_e32 v19, vcc, s19, v18
	s_cmp_lg_u64 vcc, 0
	s_subb_u32 s5, s4, 0
	v_subrev_co_u32_e32 v20, vcc, s19, v19
	s_cmp_lg_u64 vcc, 0
	s_subb_u32 s14, s5, 0
	v_readfirstlane_b32 s15, v19
	s_cmp_gt_u32 s15, 0x7ffffffe
	s_cselect_b32 s16, -1, 0
	s_cmp_eq_u32 s5, 0
	s_cselect_b32 s16, s16, -1
	s_cmp_lg_u32 s16, 0
	s_cselect_b32 s5, s14, s5
	v_readfirstlane_b32 s14, v20
	v_readfirstlane_b32 s16, v18
	s_cselect_b32 s14, s14, s15
	s_cmp_gt_u32 s16, 0x7ffffffe
	s_cselect_b32 s15, -1, 0
	s_cmp_eq_u32 s4, 0
	s_cselect_b32 s15, s15, -1
	v_lshrrev_b64 v[16:17], 1, v[6:7]
	s_cmp_lg_u32 s15, 0
	v_cmp_gt_u64_e32 vcc, 2, v[6:7]
	s_cselect_b32 s15, s5, s4
	s_cselect_b32 s14, s14, s16
	s_or_b64 s[10:11], vcc, s[10:11]
	v_pk_mov_b32 v[6:7], v[16:17], v[16:17] op_sel:[0,1]
	s_andn2_b64 exec, exec, s[10:11]
	s_cbranch_execz .LBB29_247
.LBB29_229:                             ; =>This Inner Loop Header: Depth=1
	v_and_b32_e32 v16, 1, v6
	v_cmp_eq_u32_e32 vcc, 1, v16
	s_and_saveexec_b64 s[16:17], vcc
	s_cbranch_execz .LBB29_228
; %bb.230:                              ;   in Loop: Header=BB29_229 Depth=1
	v_mul_lo_u32 v16, s15, v8
	v_mul_lo_u32 v17, s14, v9
	v_mad_u64_u32 v[8:9], s[4:5], s14, v8, 0
	s_add_u32 s4, 0x402, s21
	v_add3_u32 v9, v9, v17, v16
	s_addc_u32 s5, 0, 0
	v_add_co_u32_e32 v16, vcc, s4, v5
	s_cmp_lg_u64 vcc, 0
	v_readfirstlane_b32 s22, v16
	s_addc_u32 s4, s5, 1
	s_mul_hi_u32 s23, s22, 0x80000001
	s_mul_i32 s5, s4, 0x80000001
	s_sub_i32 s23, s23, s22
	s_add_i32 s23, s23, s5
	s_mul_i32 s25, s22, 0x80000001
	s_mul_hi_u32 s5, s22, s23
	s_mul_i32 s24, s22, s23
	s_mul_hi_u32 s22, s22, s25
	s_add_u32 s22, s22, s24
	s_addc_u32 s5, 0, s5
	s_mul_hi_u32 s26, s4, s25
	s_mul_i32 s25, s4, s25
	s_add_u32 s22, s22, s25
	s_mul_hi_u32 s24, s4, s23
	s_addc_u32 s5, s5, s26
	s_addc_u32 s22, s24, 0
	s_mul_i32 s23, s4, s23
	s_add_u32 s5, s5, s23
	s_addc_u32 s22, 0, s22
	v_add_co_u32_e32 v18, vcc, s5, v16
	s_cmp_lg_u64 vcc, 0
	s_addc_u32 s22, s4, s22
	v_mad_u64_u32 v[16:17], s[4:5], v8, s22, 0
	v_mul_hi_u32 v19, v8, v18
	v_add_co_u32_e32 v20, vcc, v19, v16
	v_addc_co_u32_e32 v21, vcc, 0, v17, vcc
	v_mad_u64_u32 v[18:19], s[4:5], v9, v18, 0
	v_add_co_u32_e32 v18, vcc, v20, v18
	v_mad_u64_u32 v[16:17], s[4:5], v9, s22, 0
	v_addc_co_u32_e32 v18, vcc, v21, v19, vcc
	v_addc_co_u32_e32 v17, vcc, 0, v17, vcc
	v_add_co_u32_e32 v16, vcc, v18, v16
	v_addc_co_u32_e32 v19, vcc, 0, v17, vcc
	v_mad_u64_u32 v[16:17], s[4:5], v16, s19, 0
	v_mov_b32_e32 v18, v17
	v_mad_u64_u32 v[18:19], s[4:5], v19, s19, v[18:19]
	v_sub_co_u32_e32 v8, vcc, v8, v16
	v_subb_co_u32_e32 v9, vcc, v9, v18, vcc
	v_subrev_co_u32_e32 v16, vcc, s19, v8
	v_subbrev_co_u32_e32 v17, vcc, 0, v9, vcc
	v_subrev_co_u32_e32 v18, vcc, s19, v16
	v_subbrev_co_u32_e32 v19, vcc, 0, v17, vcc
	v_cmp_lt_u32_e32 vcc, s20, v16
	v_cndmask_b32_e64 v20, 0, -1, vcc
	v_cmp_eq_u32_e32 vcc, 0, v17
	v_cndmask_b32_e32 v20, -1, v20, vcc
	v_cmp_ne_u32_e32 vcc, 0, v20
	v_cmp_lt_u32_e64 s[4:5], s20, v8
	v_cndmask_b32_e32 v17, v17, v19, vcc
	v_cndmask_b32_e64 v19, 0, -1, s[4:5]
	v_cmp_eq_u32_e64 s[4:5], 0, v9
	v_cndmask_b32_e64 v19, -1, v19, s[4:5]
	v_cmp_ne_u32_e64 s[4:5], 0, v19
	v_cndmask_b32_e32 v16, v16, v18, vcc
	v_cndmask_b32_e64 v9, v9, v17, s[4:5]
	v_cndmask_b32_e64 v8, v8, v16, s[4:5]
	s_branch .LBB29_228
.LBB29_231:
	s_or_b64 exec, exec, s[10:11]
	s_movk_i32 s4, 0x401
	s_add_u32 s4, 0x402, s4
	v_mov_b32_e32 v3, 0xfffff800
	s_addc_u32 s5, 0, 0
	v_add_co_u32_e32 v3, vcc, s4, v3
	s_cmp_lg_u64 vcc, 0
	v_readfirstlane_b32 s10, v3
	s_addc_u32 s4, s5, 1
	s_mul_hi_u32 s11, s10, 0x80000001
	s_mul_i32 s5, s4, 0x80000001
	s_sub_i32 s11, s11, s10
	s_add_i32 s11, s11, s5
	s_mul_i32 s15, s10, 0x80000001
	s_mul_hi_u32 s5, s10, s11
	s_mul_i32 s14, s10, s11
	s_mul_hi_u32 s10, s10, s15
	s_add_u32 s10, s10, s14
	s_addc_u32 s5, 0, s5
	s_mul_hi_u32 s16, s4, s15
	s_mul_i32 s15, s4, s15
	s_add_u32 s10, s10, s15
	s_mul_hi_u32 s14, s4, s11
	s_addc_u32 s5, s5, s16
	s_addc_u32 s10, s14, 0
	s_mul_i32 s11, s4, s11
	s_add_u32 s5, s5, s11
	s_addc_u32 s10, 0, s10
	v_add_co_u32_e32 v3, vcc, s5, v3
	s_cmp_lg_u64 vcc, 0
	s_addc_u32 s10, s4, s10
	v_mad_u64_u32 v[4:5], s[4:5], v6, s10, 0
	v_mul_hi_u32 v16, v6, v3
	v_add_co_u32_e32 v20, vcc, v16, v4
	v_addc_co_u32_e32 v21, vcc, 0, v5, vcc
	v_mad_u64_u32 v[16:17], s[4:5], v7, v3, 0
	v_add_co_u32_e32 v3, vcc, v20, v16
	v_mad_u64_u32 v[4:5], s[4:5], v7, s10, 0
	v_addc_co_u32_e32 v3, vcc, v21, v17, vcc
	v_addc_co_u32_e32 v5, vcc, 0, v5, vcc
	v_add_co_u32_e32 v3, vcc, v3, v4
	s_brev_b32 s10, -2
	v_addc_co_u32_e32 v17, vcc, 0, v5, vcc
	v_mad_u64_u32 v[4:5], s[4:5], v3, s10, 0
	v_mov_b32_e32 v16, v5
	v_mad_u64_u32 v[16:17], s[4:5], v17, s10, v[16:17]
	v_sub_co_u32_e32 v3, vcc, v6, v4
	v_subb_co_u32_e32 v4, vcc, v7, v16, vcc
	v_subrev_co_u32_e32 v5, vcc, 0x7fffffff, v3
	v_subbrev_co_u32_e32 v6, vcc, 0, v4, vcc
	s_mov_b32 s4, 0x7ffffffe
	v_cmp_lt_u32_e32 vcc, s4, v5
	v_cndmask_b32_e64 v7, 0, -1, vcc
	v_cmp_eq_u32_e32 vcc, 0, v6
	v_cndmask_b32_e32 v6, -1, v7, vcc
	v_add_u32_e32 v7, 0x80000001, v5
	v_cmp_ne_u32_e32 vcc, 0, v6
	v_cndmask_b32_e32 v5, v5, v7, vcc
	v_cmp_lt_u32_e32 vcc, s4, v3
	v_cndmask_b32_e64 v6, 0, -1, vcc
	v_cmp_eq_u32_e32 vcc, 0, v4
	v_cndmask_b32_e32 v4, -1, v6, vcc
	v_cmp_ne_u32_e32 vcc, 0, v4
	v_cndmask_b32_e32 v5, v3, v5, vcc
.LBB29_232:
	s_or_b64 exec, exec, s[8:9]
	s_movk_i32 s8, 0x1388
	v_mov_b32_e32 v16, 0
	s_mov_b32 s9, 0xbc8f1391
	s_mov_b32 s10, 0xbc8f
	s_brev_b32 s11, 12
	s_mov_b32 s14, 0xf800000
	v_mov_b32_e32 v3, 0x260
.LBB29_233:                             ; =>This Inner Loop Header: Depth=1
	v_mul_hi_u32 v4, v5, s9
	v_lshrrev_b32_e32 v4, 15, v4
	v_mul_u32_u24_e32 v7, 0xadc8, v4
	v_sub_u32_e32 v5, v5, v7
	v_mul_u32_u24_e32 v4, 0xd47, v4
	v_mul_lo_u32 v5, v5, s10
	v_xor_b32_e32 v7, 0x7fffffff, v4
	v_sub_u32_e32 v17, 0, v4
	v_cmp_lt_u32_e32 vcc, v5, v4
	v_cndmask_b32_e32 v4, v17, v7, vcc
	v_add_u32_e32 v4, v4, v5
	v_mul_hi_u32 v7, v4, s9
	v_lshrrev_b32_e32 v7, 15, v7
	v_mul_u32_u24_e32 v17, 0xadc8, v7
	v_add_u32_e32 v5, -1, v4
	v_sub_u32_e32 v4, v4, v17
	v_mul_u32_u24_e32 v7, 0xd47, v7
	v_mul_lo_u32 v4, v4, s10
	v_xor_b32_e32 v17, 0x7fffffff, v7
	v_sub_u32_e32 v20, 0, v7
	v_cmp_lt_u32_e32 vcc, v4, v7
	v_cndmask_b32_e32 v7, v20, v17, vcc
	v_add_u32_e32 v4, v7, v4
	v_mul_hi_u32 v17, v4, s9
	v_add_u32_e32 v7, -1, v4
	v_lshrrev_b32_e32 v17, 15, v17
	v_cvt_f32_u32_e32 v7, v7
	v_mul_u32_u24_e32 v20, 0xadc8, v17
	v_cvt_f32_u32_e32 v5, v5
	v_sub_u32_e32 v4, v4, v20
	v_mul_u32_u24_e32 v17, 0xd47, v17
	v_mul_lo_u32 v4, v4, s10
	v_xor_b32_e32 v20, 0x7fffffff, v17
	v_sub_u32_e32 v21, 0, v17
	v_cmp_lt_u32_e32 vcc, v4, v17
	v_fma_f32 v7, v7, s11, 0
	v_cndmask_b32_e32 v17, v21, v20, vcc
	v_fma_f32 v5, v5, s11, 0
	v_mul_f32_e32 v7, v7, v7
	v_add_u32_e32 v4, v17, v4
	v_fmac_f32_e32 v7, v5, v5
	v_mul_hi_u32 v17, v4, s9
	v_add_u32_e32 v5, -1, v4
	v_mul_f32_e32 v20, 0x4f800000, v7
	v_lshrrev_b32_e32 v17, 15, v17
	v_cmp_gt_f32_e32 vcc, s14, v7
	v_cvt_f32_u32_e32 v5, v5
	v_cndmask_b32_e32 v7, v7, v20, vcc
	v_mul_u32_u24_e32 v20, 0xadc8, v17
	v_sqrt_f32_e32 v21, v7
	v_sub_u32_e32 v4, v4, v20
	v_mul_u32_u24_e32 v17, 0xd47, v17
	v_mul_lo_u32 v4, v4, s10
	v_xor_b32_e32 v20, 0x7fffffff, v17
	v_sub_u32_e32 v22, 0, v17
	v_cmp_lt_u32_e64 s[4:5], v4, v17
	v_fma_f32 v23, v5, s11, 0
	v_cndmask_b32_e64 v5, v22, v20, s[4:5]
	v_add_u32_e32 v5, v5, v4
	v_add_u32_e32 v4, -1, v21
	v_add_u32_e32 v17, 1, v21
	v_add_u32_e32 v20, -1, v5
	v_fma_f32 v22, -v4, v21, v7
	v_fma_f32 v24, -v17, v21, v7
	v_cvt_f32_u32_e32 v20, v20
	v_cmp_ge_f32_e64 s[4:5], 0, v22
	v_cndmask_b32_e64 v4, v21, v4, s[4:5]
	v_cmp_lt_f32_e64 s[4:5], 0, v24
	v_cndmask_b32_e64 v4, v4, v17, s[4:5]
	v_mul_f32_e32 v17, 0x37800000, v4
	v_cndmask_b32_e32 v4, v4, v17, vcc
	v_fma_f32 v17, v20, s11, 0
	v_cmp_class_f32_e32 vcc, v7, v3
	v_cndmask_b32_e32 v4, v4, v7, vcc
	v_mul_f32_e32 v7, v17, v17
	v_add_f32_e32 v6, 1.0, v16
	v_cmp_nge_f32_e32 vcc, 1.0, v4
	v_fmac_f32_e32 v7, v23, v23
	v_cndmask_b32_e32 v4, v6, v16, vcc
	v_mul_f32_e32 v6, 0x4f800000, v7
	v_cmp_gt_f32_e32 vcc, s14, v7
	v_cndmask_b32_e32 v6, v7, v6, vcc
	v_sqrt_f32_e32 v7, v6
	s_add_i32 s8, s8, -2
	v_add_f32_e32 v16, 1.0, v4
	s_cmp_lg_u32 s8, 0
	v_add_u32_e32 v17, -1, v7
	v_add_u32_e32 v20, 1, v7
	v_fma_f32 v21, -v17, v7, v6
	v_fma_f32 v22, -v20, v7, v6
	v_cmp_ge_f32_e64 s[4:5], 0, v21
	v_cndmask_b32_e64 v7, v7, v17, s[4:5]
	v_cmp_lt_f32_e64 s[4:5], 0, v22
	v_cndmask_b32_e64 v7, v7, v20, s[4:5]
	v_mul_f32_e32 v17, 0x37800000, v7
	v_cndmask_b32_e32 v7, v7, v17, vcc
	v_cmp_class_f32_e32 vcc, v6, v3
	v_cndmask_b32_e32 v6, v7, v6, vcc
	v_cmp_nge_f32_e32 vcc, 1.0, v6
	v_cndmask_b32_e32 v16, v16, v4, vcc
	s_cbranch_scc1 .LBB29_233
; %bb.234:
	v_add_u32_e32 v4, 0x30d400, v2
	v_cmp_ne_u32_e32 vcc, 0, v4
	v_mov_b32_e32 v5, 1
	s_and_saveexec_b64 s[8:9], vcc
	s_cbranch_execz .LBB29_256
; %bb.235:
	v_mov_b32_e32 v6, 1
	v_mov_b32_e32 v5, 0
	s_mov_b64 s[14:15], 0xbc8f
	s_mov_b64 s[10:11], 0
	v_mov_b32_e32 v7, 0
	s_brev_b32 s19, -2
	s_mov_b32 s20, 0x7ffffffe
	v_mov_b32_e32 v3, 0xfffff800
	s_movk_i32 s21, 0x401
	s_branch .LBB29_237
.LBB29_236:                             ;   in Loop: Header=BB29_237 Depth=1
	s_or_b64 exec, exec, s[16:17]
	s_mul_i32 s4, s14, s15
	s_mul_hi_u32 s5, s14, s14
	s_add_i32 s5, s5, s4
	s_add_i32 s4, s5, s4
	s_mul_i32 s5, s14, s14
	s_add_u32 s14, 0x402, s21
	s_addc_u32 s15, 0, 0
	v_add_co_u32_e32 v17, vcc, s14, v3
	s_cmp_lg_u64 vcc, 0
	v_readfirstlane_b32 s16, v17
	s_addc_u32 s14, s15, 1
	s_mul_hi_u32 s17, s16, 0x80000001
	s_mul_i32 s15, s14, 0x80000001
	s_sub_i32 s17, s17, s16
	s_add_i32 s17, s17, s15
	s_mul_i32 s25, s16, 0x80000001
	s_mul_hi_u32 s15, s16, s17
	s_mul_i32 s24, s16, s17
	s_mul_hi_u32 s16, s16, s25
	s_add_u32 s16, s16, s24
	s_addc_u32 s15, 0, s15
	s_mul_hi_u32 s26, s14, s25
	s_mul_i32 s25, s14, s25
	s_add_u32 s16, s16, s25
	s_mul_hi_u32 s24, s14, s17
	s_addc_u32 s15, s15, s26
	s_addc_u32 s16, s24, 0
	s_mul_i32 s17, s14, s17
	s_add_u32 s15, s15, s17
	s_addc_u32 s16, 0, s16
	v_add_co_u32_e32 v17, vcc, s15, v17
	s_cmp_lg_u64 vcc, 0
	s_addc_u32 s14, s14, s16
	v_readfirstlane_b32 s17, v17
	s_mul_i32 s16, s5, s14
	s_mul_hi_u32 s24, s5, s17
	s_mul_hi_u32 s15, s5, s14
	s_add_u32 s16, s24, s16
	s_addc_u32 s15, 0, s15
	s_mul_hi_u32 s25, s4, s17
	s_mul_i32 s17, s4, s17
	s_add_u32 s16, s16, s17
	s_mul_hi_u32 s24, s4, s14
	s_addc_u32 s15, s15, s25
	s_addc_u32 s16, s24, 0
	s_mul_i32 s14, s4, s14
	s_add_u32 s14, s15, s14
	s_addc_u32 s15, 0, s16
	s_mul_hi_u32 s16, s14, 0x7fffffff
	s_mul_i32 s14, s14, 0x7fffffff
	s_mul_i32 s15, s15, 0x7fffffff
	v_mov_b32_e32 v17, s14
	s_add_i32 s16, s16, s15
	v_sub_co_u32_e32 v17, vcc, s5, v17
	s_cmp_lg_u64 vcc, 0
	s_subb_u32 s4, s4, s16
	v_subrev_co_u32_e32 v22, vcc, s19, v17
	s_cmp_lg_u64 vcc, 0
	s_subb_u32 s5, s4, 0
	v_subrev_co_u32_e32 v23, vcc, s19, v22
	s_cmp_lg_u64 vcc, 0
	s_subb_u32 s14, s5, 0
	v_readfirstlane_b32 s15, v22
	s_cmp_gt_u32 s15, 0x7ffffffe
	s_cselect_b32 s16, -1, 0
	s_cmp_eq_u32 s5, 0
	s_cselect_b32 s16, s16, -1
	s_cmp_lg_u32 s16, 0
	s_cselect_b32 s5, s14, s5
	v_readfirstlane_b32 s14, v23
	v_readfirstlane_b32 s16, v17
	s_cselect_b32 s14, s14, s15
	s_cmp_gt_u32 s16, 0x7ffffffe
	s_cselect_b32 s15, -1, 0
	s_cmp_eq_u32 s4, 0
	s_cselect_b32 s15, s15, -1
	v_lshrrev_b64 v[20:21], 1, v[4:5]
	s_cmp_lg_u32 s15, 0
	v_cmp_gt_u64_e32 vcc, 2, v[4:5]
	s_cselect_b32 s15, s5, s4
	s_cselect_b32 s14, s14, s16
	s_or_b64 s[10:11], vcc, s[10:11]
	v_pk_mov_b32 v[4:5], v[20:21], v[20:21] op_sel:[0,1]
	s_andn2_b64 exec, exec, s[10:11]
	s_cbranch_execz .LBB29_255
.LBB29_237:                             ; =>This Inner Loop Header: Depth=1
	v_and_b32_e32 v17, 1, v4
	v_cmp_eq_u32_e32 vcc, 1, v17
	s_and_saveexec_b64 s[16:17], vcc
	s_cbranch_execz .LBB29_236
; %bb.238:                              ;   in Loop: Header=BB29_237 Depth=1
	v_mul_lo_u32 v17, s15, v6
	v_mul_lo_u32 v20, s14, v7
	v_mad_u64_u32 v[6:7], s[4:5], s14, v6, 0
	s_add_u32 s4, 0x402, s21
	v_add3_u32 v7, v7, v20, v17
	s_addc_u32 s5, 0, 0
	v_add_co_u32_e32 v17, vcc, s4, v3
	s_cmp_lg_u64 vcc, 0
	v_readfirstlane_b32 s24, v17
	s_addc_u32 s4, s5, 1
	s_mul_hi_u32 s25, s24, 0x80000001
	s_mul_i32 s5, s4, 0x80000001
	s_sub_i32 s25, s25, s24
	s_add_i32 s25, s25, s5
	s_mul_i32 s27, s24, 0x80000001
	s_mul_hi_u32 s5, s24, s25
	s_mul_i32 s26, s24, s25
	s_mul_hi_u32 s24, s24, s27
	s_add_u32 s24, s24, s26
	s_addc_u32 s5, 0, s5
	s_mul_hi_u32 s28, s4, s27
	s_mul_i32 s27, s4, s27
	s_add_u32 s24, s24, s27
	s_mul_hi_u32 s26, s4, s25
	s_addc_u32 s5, s5, s28
	s_addc_u32 s24, s26, 0
	s_mul_i32 s25, s4, s25
	s_add_u32 s5, s5, s25
	s_addc_u32 s24, 0, s24
	v_add_co_u32_e32 v17, vcc, s5, v17
	s_cmp_lg_u64 vcc, 0
	s_addc_u32 s24, s4, s24
	v_mad_u64_u32 v[20:21], s[4:5], v6, s24, 0
	v_mul_hi_u32 v22, v6, v17
	v_add_co_u32_e32 v24, vcc, v22, v20
	v_addc_co_u32_e32 v25, vcc, 0, v21, vcc
	v_mad_u64_u32 v[22:23], s[4:5], v7, v17, 0
	v_add_co_u32_e32 v17, vcc, v24, v22
	v_mad_u64_u32 v[20:21], s[4:5], v7, s24, 0
	v_addc_co_u32_e32 v17, vcc, v25, v23, vcc
	v_addc_co_u32_e32 v21, vcc, 0, v21, vcc
	v_add_co_u32_e32 v17, vcc, v17, v20
	v_addc_co_u32_e32 v23, vcc, 0, v21, vcc
	v_mad_u64_u32 v[20:21], s[4:5], v17, s19, 0
	v_mov_b32_e32 v22, v21
	v_mad_u64_u32 v[22:23], s[4:5], v23, s19, v[22:23]
	v_sub_co_u32_e32 v6, vcc, v6, v20
	v_subb_co_u32_e32 v7, vcc, v7, v22, vcc
	v_subrev_co_u32_e32 v17, vcc, s19, v6
	v_subbrev_co_u32_e32 v20, vcc, 0, v7, vcc
	v_subrev_co_u32_e32 v21, vcc, s19, v17
	v_subbrev_co_u32_e32 v22, vcc, 0, v20, vcc
	v_cmp_lt_u32_e32 vcc, s20, v17
	v_cndmask_b32_e64 v23, 0, -1, vcc
	v_cmp_eq_u32_e32 vcc, 0, v20
	v_cndmask_b32_e32 v23, -1, v23, vcc
	v_cmp_ne_u32_e32 vcc, 0, v23
	v_cmp_lt_u32_e64 s[4:5], s20, v6
	v_cndmask_b32_e32 v20, v20, v22, vcc
	v_cndmask_b32_e64 v22, 0, -1, s[4:5]
	v_cmp_eq_u32_e64 s[4:5], 0, v7
	v_cndmask_b32_e64 v22, -1, v22, s[4:5]
	v_cmp_ne_u32_e64 s[4:5], 0, v22
	v_cndmask_b32_e32 v17, v17, v21, vcc
	v_cndmask_b32_e64 v7, v7, v20, s[4:5]
	v_cndmask_b32_e64 v6, v6, v17, s[4:5]
	s_branch .LBB29_236
.LBB29_239:
	s_or_b64 exec, exec, s[10:11]
	s_movk_i32 s4, 0x401
	s_add_u32 s4, 0x402, s4
	v_mov_b32_e32 v3, 0xfffff800
	s_addc_u32 s5, 0, 0
	v_add_co_u32_e32 v3, vcc, s4, v3
	s_cmp_lg_u64 vcc, 0
	v_readfirstlane_b32 s10, v3
	s_addc_u32 s4, s5, 1
	s_mul_hi_u32 s11, s10, 0x80000001
	s_mul_i32 s5, s4, 0x80000001
	s_sub_i32 s11, s11, s10
	s_add_i32 s11, s11, s5
	s_mul_i32 s15, s10, 0x80000001
	s_mul_hi_u32 s5, s10, s11
	s_mul_i32 s14, s10, s11
	s_mul_hi_u32 s10, s10, s15
	s_add_u32 s10, s10, s14
	s_addc_u32 s5, 0, s5
	s_mul_hi_u32 s16, s4, s15
	s_mul_i32 s15, s4, s15
	s_add_u32 s10, s10, s15
	s_mul_hi_u32 s14, s4, s11
	s_addc_u32 s5, s5, s16
	s_addc_u32 s10, s14, 0
	s_mul_i32 s11, s4, s11
	s_add_u32 s5, s5, s11
	s_addc_u32 s10, 0, s10
	v_add_co_u32_e32 v3, vcc, s5, v3
	s_cmp_lg_u64 vcc, 0
	s_addc_u32 s10, s4, s10
	v_mad_u64_u32 v[4:5], s[4:5], v6, s10, 0
	v_mul_hi_u32 v12, v6, v3
	v_add_co_u32_e32 v14, vcc, v12, v4
	v_addc_co_u32_e32 v15, vcc, 0, v5, vcc
	v_mad_u64_u32 v[12:13], s[4:5], v7, v3, 0
	v_add_co_u32_e32 v3, vcc, v14, v12
	v_mad_u64_u32 v[4:5], s[4:5], v7, s10, 0
	v_addc_co_u32_e32 v3, vcc, v15, v13, vcc
	v_addc_co_u32_e32 v5, vcc, 0, v5, vcc
	v_add_co_u32_e32 v3, vcc, v3, v4
	s_brev_b32 s10, -2
	v_addc_co_u32_e32 v13, vcc, 0, v5, vcc
	v_mad_u64_u32 v[4:5], s[4:5], v3, s10, 0
	v_mov_b32_e32 v12, v5
	v_mad_u64_u32 v[12:13], s[4:5], v13, s10, v[12:13]
	v_sub_co_u32_e32 v3, vcc, v6, v4
	v_subb_co_u32_e32 v4, vcc, v7, v12, vcc
	v_subrev_co_u32_e32 v5, vcc, 0x7fffffff, v3
	v_subbrev_co_u32_e32 v6, vcc, 0, v4, vcc
	s_mov_b32 s4, 0x7ffffffe
	v_cmp_lt_u32_e32 vcc, s4, v5
	v_cndmask_b32_e64 v7, 0, -1, vcc
	v_cmp_eq_u32_e32 vcc, 0, v6
	v_cndmask_b32_e32 v6, -1, v7, vcc
	v_add_u32_e32 v7, 0x80000001, v5
	v_cmp_ne_u32_e32 vcc, 0, v6
	v_cndmask_b32_e32 v5, v5, v7, vcc
	v_cmp_lt_u32_e32 vcc, s4, v3
	v_cndmask_b32_e64 v6, 0, -1, vcc
	v_cmp_eq_u32_e32 vcc, 0, v4
	v_cndmask_b32_e32 v4, -1, v6, vcc
	v_cmp_ne_u32_e32 vcc, 0, v4
	v_cndmask_b32_e32 v5, v3, v5, vcc
.LBB29_240:
	s_or_b64 exec, exec, s[8:9]
	s_movk_i32 s8, 0x1388
	v_mov_b32_e32 v12, 0
	s_mov_b32 s9, 0xbc8f1391
	s_mov_b32 s10, 0xbc8f
	s_brev_b32 s11, 12
	s_mov_b32 s14, 0xf800000
	v_mov_b32_e32 v3, 0x260
.LBB29_241:                             ; =>This Inner Loop Header: Depth=1
	v_mul_hi_u32 v4, v5, s9
	v_lshrrev_b32_e32 v4, 15, v4
	v_mul_u32_u24_e32 v7, 0xadc8, v4
	v_sub_u32_e32 v5, v5, v7
	v_mul_u32_u24_e32 v4, 0xd47, v4
	v_mul_lo_u32 v5, v5, s10
	v_xor_b32_e32 v7, 0x7fffffff, v4
	v_sub_u32_e32 v13, 0, v4
	v_cmp_lt_u32_e32 vcc, v5, v4
	v_cndmask_b32_e32 v4, v13, v7, vcc
	v_add_u32_e32 v4, v4, v5
	v_mul_hi_u32 v7, v4, s9
	v_lshrrev_b32_e32 v7, 15, v7
	v_mul_u32_u24_e32 v13, 0xadc8, v7
	v_add_u32_e32 v5, -1, v4
	v_sub_u32_e32 v4, v4, v13
	v_mul_u32_u24_e32 v7, 0xd47, v7
	v_mul_lo_u32 v4, v4, s10
	v_xor_b32_e32 v13, 0x7fffffff, v7
	v_sub_u32_e32 v14, 0, v7
	v_cmp_lt_u32_e32 vcc, v4, v7
	v_cndmask_b32_e32 v7, v14, v13, vcc
	v_add_u32_e32 v4, v7, v4
	v_mul_hi_u32 v13, v4, s9
	v_add_u32_e32 v7, -1, v4
	v_lshrrev_b32_e32 v13, 15, v13
	v_cvt_f32_u32_e32 v7, v7
	v_mul_u32_u24_e32 v14, 0xadc8, v13
	v_cvt_f32_u32_e32 v5, v5
	v_sub_u32_e32 v4, v4, v14
	v_mul_u32_u24_e32 v13, 0xd47, v13
	v_mul_lo_u32 v4, v4, s10
	v_xor_b32_e32 v14, 0x7fffffff, v13
	v_sub_u32_e32 v15, 0, v13
	v_cmp_lt_u32_e32 vcc, v4, v13
	v_fma_f32 v7, v7, s11, 0
	v_cndmask_b32_e32 v13, v15, v14, vcc
	v_fma_f32 v5, v5, s11, 0
	v_mul_f32_e32 v7, v7, v7
	v_add_u32_e32 v4, v13, v4
	v_fmac_f32_e32 v7, v5, v5
	v_mul_hi_u32 v13, v4, s9
	v_add_u32_e32 v5, -1, v4
	v_mul_f32_e32 v14, 0x4f800000, v7
	v_lshrrev_b32_e32 v13, 15, v13
	v_cmp_gt_f32_e32 vcc, s14, v7
	v_cvt_f32_u32_e32 v5, v5
	v_cndmask_b32_e32 v7, v7, v14, vcc
	v_mul_u32_u24_e32 v14, 0xadc8, v13
	v_sqrt_f32_e32 v15, v7
	v_sub_u32_e32 v4, v4, v14
	v_mul_u32_u24_e32 v13, 0xd47, v13
	v_mul_lo_u32 v4, v4, s10
	v_xor_b32_e32 v14, 0x7fffffff, v13
	v_sub_u32_e32 v16, 0, v13
	v_cmp_lt_u32_e64 s[4:5], v4, v13
	v_fma_f32 v17, v5, s11, 0
	v_cndmask_b32_e64 v5, v16, v14, s[4:5]
	v_add_u32_e32 v5, v5, v4
	v_add_u32_e32 v4, -1, v15
	v_add_u32_e32 v13, 1, v15
	v_add_u32_e32 v14, -1, v5
	v_fma_f32 v16, -v4, v15, v7
	v_fma_f32 v22, -v13, v15, v7
	v_cvt_f32_u32_e32 v14, v14
	v_cmp_ge_f32_e64 s[4:5], 0, v16
	v_cndmask_b32_e64 v4, v15, v4, s[4:5]
	v_cmp_lt_f32_e64 s[4:5], 0, v22
	v_cndmask_b32_e64 v4, v4, v13, s[4:5]
	v_mul_f32_e32 v13, 0x37800000, v4
	v_cndmask_b32_e32 v4, v4, v13, vcc
	v_fma_f32 v13, v14, s11, 0
	v_cmp_class_f32_e32 vcc, v7, v3
	v_cndmask_b32_e32 v4, v4, v7, vcc
	v_mul_f32_e32 v7, v13, v13
	v_add_f32_e32 v6, 1.0, v12
	v_cmp_nge_f32_e32 vcc, 1.0, v4
	v_fmac_f32_e32 v7, v17, v17
	v_cndmask_b32_e32 v4, v6, v12, vcc
	v_mul_f32_e32 v6, 0x4f800000, v7
	v_cmp_gt_f32_e32 vcc, s14, v7
	v_cndmask_b32_e32 v6, v7, v6, vcc
	v_sqrt_f32_e32 v7, v6
	s_add_i32 s8, s8, -2
	v_add_f32_e32 v12, 1.0, v4
	s_cmp_lg_u32 s8, 0
	v_add_u32_e32 v13, -1, v7
	v_add_u32_e32 v14, 1, v7
	v_fma_f32 v15, -v13, v7, v6
	v_fma_f32 v16, -v14, v7, v6
	v_cmp_ge_f32_e64 s[4:5], 0, v15
	v_cndmask_b32_e64 v7, v7, v13, s[4:5]
	v_cmp_lt_f32_e64 s[4:5], 0, v16
	v_cndmask_b32_e64 v7, v7, v14, s[4:5]
	v_mul_f32_e32 v13, 0x37800000, v7
	v_cndmask_b32_e32 v7, v7, v13, vcc
	v_cmp_class_f32_e32 vcc, v6, v3
	v_cndmask_b32_e32 v6, v7, v6, vcc
	v_cmp_nge_f32_e32 vcc, 1.0, v6
	v_cndmask_b32_e32 v12, v12, v4, vcc
	s_cbranch_scc1 .LBB29_241
; %bb.242:
	v_add_u32_e32 v4, 0x30d400, v2
	v_cmp_ne_u32_e32 vcc, 0, v4
	v_mov_b32_e32 v5, 1
	s_and_saveexec_b64 s[8:9], vcc
	s_cbranch_execz .LBB29_264
; %bb.243:
	v_mov_b32_e32 v6, 1
	v_mov_b32_e32 v5, 0
	s_mov_b64 s[14:15], 0xbc8f
	s_mov_b64 s[10:11], 0
	v_mov_b32_e32 v7, 0
	s_brev_b32 s19, -2
	s_mov_b32 s20, 0x7ffffffe
	v_mov_b32_e32 v3, 0xfffff800
	s_movk_i32 s21, 0x401
	s_branch .LBB29_245
.LBB29_244:                             ;   in Loop: Header=BB29_245 Depth=1
	s_or_b64 exec, exec, s[16:17]
	s_mul_i32 s4, s14, s15
	s_mul_hi_u32 s5, s14, s14
	s_add_i32 s5, s5, s4
	s_add_i32 s4, s5, s4
	s_mul_i32 s5, s14, s14
	s_add_u32 s14, 0x402, s21
	s_addc_u32 s15, 0, 0
	v_add_co_u32_e32 v13, vcc, s14, v3
	s_cmp_lg_u64 vcc, 0
	v_readfirstlane_b32 s16, v13
	s_addc_u32 s14, s15, 1
	s_mul_hi_u32 s17, s16, 0x80000001
	s_mul_i32 s15, s14, 0x80000001
	s_sub_i32 s17, s17, s16
	s_add_i32 s17, s17, s15
	s_mul_i32 s23, s16, 0x80000001
	s_mul_hi_u32 s15, s16, s17
	s_mul_i32 s22, s16, s17
	s_mul_hi_u32 s16, s16, s23
	s_add_u32 s16, s16, s22
	s_addc_u32 s15, 0, s15
	s_mul_hi_u32 s24, s14, s23
	s_mul_i32 s23, s14, s23
	s_add_u32 s16, s16, s23
	s_mul_hi_u32 s22, s14, s17
	s_addc_u32 s15, s15, s24
	s_addc_u32 s16, s22, 0
	s_mul_i32 s17, s14, s17
	s_add_u32 s15, s15, s17
	s_addc_u32 s16, 0, s16
	v_add_co_u32_e32 v13, vcc, s15, v13
	s_cmp_lg_u64 vcc, 0
	s_addc_u32 s14, s14, s16
	v_readfirstlane_b32 s17, v13
	s_mul_i32 s16, s5, s14
	s_mul_hi_u32 s22, s5, s17
	s_mul_hi_u32 s15, s5, s14
	s_add_u32 s16, s22, s16
	s_addc_u32 s15, 0, s15
	s_mul_hi_u32 s23, s4, s17
	s_mul_i32 s17, s4, s17
	s_add_u32 s16, s16, s17
	s_mul_hi_u32 s22, s4, s14
	s_addc_u32 s15, s15, s23
	s_addc_u32 s16, s22, 0
	s_mul_i32 s14, s4, s14
	s_add_u32 s14, s15, s14
	s_addc_u32 s15, 0, s16
	s_mul_hi_u32 s16, s14, 0x7fffffff
	s_mul_i32 s14, s14, 0x7fffffff
	s_mul_i32 s15, s15, 0x7fffffff
	v_mov_b32_e32 v13, s14
	s_add_i32 s16, s16, s15
	v_sub_co_u32_e32 v13, vcc, s5, v13
	s_cmp_lg_u64 vcc, 0
	s_subb_u32 s4, s4, s16
	v_subrev_co_u32_e32 v16, vcc, s19, v13
	s_cmp_lg_u64 vcc, 0
	s_subb_u32 s5, s4, 0
	v_subrev_co_u32_e32 v17, vcc, s19, v16
	s_cmp_lg_u64 vcc, 0
	s_subb_u32 s14, s5, 0
	v_readfirstlane_b32 s15, v16
	s_cmp_gt_u32 s15, 0x7ffffffe
	s_cselect_b32 s16, -1, 0
	s_cmp_eq_u32 s5, 0
	s_cselect_b32 s16, s16, -1
	s_cmp_lg_u32 s16, 0
	s_cselect_b32 s5, s14, s5
	v_readfirstlane_b32 s14, v17
	v_readfirstlane_b32 s16, v13
	s_cselect_b32 s14, s14, s15
	s_cmp_gt_u32 s16, 0x7ffffffe
	s_cselect_b32 s15, -1, 0
	s_cmp_eq_u32 s4, 0
	s_cselect_b32 s15, s15, -1
	v_lshrrev_b64 v[14:15], 1, v[4:5]
	s_cmp_lg_u32 s15, 0
	v_cmp_gt_u64_e32 vcc, 2, v[4:5]
	s_cselect_b32 s15, s5, s4
	s_cselect_b32 s14, s14, s16
	s_or_b64 s[10:11], vcc, s[10:11]
	v_pk_mov_b32 v[4:5], v[14:15], v[14:15] op_sel:[0,1]
	s_andn2_b64 exec, exec, s[10:11]
	s_cbranch_execz .LBB29_263
.LBB29_245:                             ; =>This Inner Loop Header: Depth=1
	v_and_b32_e32 v13, 1, v4
	v_cmp_eq_u32_e32 vcc, 1, v13
	s_and_saveexec_b64 s[16:17], vcc
	s_cbranch_execz .LBB29_244
; %bb.246:                              ;   in Loop: Header=BB29_245 Depth=1
	v_mul_lo_u32 v13, s15, v6
	v_mul_lo_u32 v14, s14, v7
	v_mad_u64_u32 v[6:7], s[4:5], s14, v6, 0
	s_add_u32 s4, 0x402, s21
	v_add3_u32 v7, v7, v14, v13
	s_addc_u32 s5, 0, 0
	v_add_co_u32_e32 v13, vcc, s4, v3
	s_cmp_lg_u64 vcc, 0
	v_readfirstlane_b32 s22, v13
	s_addc_u32 s4, s5, 1
	s_mul_hi_u32 s23, s22, 0x80000001
	s_mul_i32 s5, s4, 0x80000001
	s_sub_i32 s23, s23, s22
	s_add_i32 s23, s23, s5
	s_mul_i32 s25, s22, 0x80000001
	s_mul_hi_u32 s5, s22, s23
	s_mul_i32 s24, s22, s23
	s_mul_hi_u32 s22, s22, s25
	s_add_u32 s22, s22, s24
	s_addc_u32 s5, 0, s5
	s_mul_hi_u32 s26, s4, s25
	s_mul_i32 s25, s4, s25
	s_add_u32 s22, s22, s25
	s_mul_hi_u32 s24, s4, s23
	s_addc_u32 s5, s5, s26
	s_addc_u32 s22, s24, 0
	s_mul_i32 s23, s4, s23
	s_add_u32 s5, s5, s23
	s_addc_u32 s22, 0, s22
	v_add_co_u32_e32 v13, vcc, s5, v13
	s_cmp_lg_u64 vcc, 0
	s_addc_u32 s22, s4, s22
	v_mad_u64_u32 v[14:15], s[4:5], v6, s22, 0
	v_mul_hi_u32 v16, v6, v13
	v_add_co_u32_e32 v22, vcc, v16, v14
	v_addc_co_u32_e32 v23, vcc, 0, v15, vcc
	v_mad_u64_u32 v[16:17], s[4:5], v7, v13, 0
	v_add_co_u32_e32 v13, vcc, v22, v16
	v_mad_u64_u32 v[14:15], s[4:5], v7, s22, 0
	v_addc_co_u32_e32 v13, vcc, v23, v17, vcc
	v_addc_co_u32_e32 v15, vcc, 0, v15, vcc
	v_add_co_u32_e32 v13, vcc, v13, v14
	v_addc_co_u32_e32 v17, vcc, 0, v15, vcc
	v_mad_u64_u32 v[14:15], s[4:5], v13, s19, 0
	v_mov_b32_e32 v16, v15
	v_mad_u64_u32 v[16:17], s[4:5], v17, s19, v[16:17]
	v_sub_co_u32_e32 v6, vcc, v6, v14
	v_subb_co_u32_e32 v7, vcc, v7, v16, vcc
	v_subrev_co_u32_e32 v13, vcc, s19, v6
	v_subbrev_co_u32_e32 v14, vcc, 0, v7, vcc
	v_subrev_co_u32_e32 v15, vcc, s19, v13
	v_subbrev_co_u32_e32 v16, vcc, 0, v14, vcc
	v_cmp_lt_u32_e32 vcc, s20, v13
	v_cndmask_b32_e64 v17, 0, -1, vcc
	v_cmp_eq_u32_e32 vcc, 0, v14
	v_cndmask_b32_e32 v17, -1, v17, vcc
	v_cmp_ne_u32_e32 vcc, 0, v17
	v_cmp_lt_u32_e64 s[4:5], s20, v6
	v_cndmask_b32_e32 v14, v14, v16, vcc
	v_cndmask_b32_e64 v16, 0, -1, s[4:5]
	v_cmp_eq_u32_e64 s[4:5], 0, v7
	v_cndmask_b32_e64 v16, -1, v16, s[4:5]
	v_cmp_ne_u32_e64 s[4:5], 0, v16
	v_cndmask_b32_e32 v13, v13, v15, vcc
	v_cndmask_b32_e64 v7, v7, v14, s[4:5]
	v_cndmask_b32_e64 v6, v6, v13, s[4:5]
	s_branch .LBB29_244
.LBB29_247:
	s_or_b64 exec, exec, s[10:11]
	s_movk_i32 s4, 0x401
	s_add_u32 s4, 0x402, s4
	v_mov_b32_e32 v5, 0xfffff800
	s_addc_u32 s5, 0, 0
	v_add_co_u32_e32 v5, vcc, s4, v5
	s_cmp_lg_u64 vcc, 0
	v_readfirstlane_b32 s10, v5
	s_addc_u32 s4, s5, 1
	s_mul_hi_u32 s11, s10, 0x80000001
	s_mul_i32 s5, s4, 0x80000001
	s_sub_i32 s11, s11, s10
	s_add_i32 s11, s11, s5
	s_mul_i32 s15, s10, 0x80000001
	s_mul_hi_u32 s5, s10, s11
	s_mul_i32 s14, s10, s11
	s_mul_hi_u32 s10, s10, s15
	s_add_u32 s10, s10, s14
	s_addc_u32 s5, 0, s5
	s_mul_hi_u32 s16, s4, s15
	s_mul_i32 s15, s4, s15
	s_add_u32 s10, s10, s15
	s_mul_hi_u32 s14, s4, s11
	s_addc_u32 s5, s5, s16
	s_addc_u32 s10, s14, 0
	s_mul_i32 s11, s4, s11
	s_add_u32 s5, s5, s11
	s_addc_u32 s10, 0, s10
	v_add_co_u32_e32 v5, vcc, s5, v5
	s_cmp_lg_u64 vcc, 0
	s_addc_u32 s10, s4, s10
	v_mad_u64_u32 v[6:7], s[4:5], v8, s10, 0
	v_mul_hi_u32 v16, v8, v5
	v_add_co_u32_e32 v18, vcc, v16, v6
	v_addc_co_u32_e32 v19, vcc, 0, v7, vcc
	v_mad_u64_u32 v[16:17], s[4:5], v9, v5, 0
	v_add_co_u32_e32 v5, vcc, v18, v16
	v_mad_u64_u32 v[6:7], s[4:5], v9, s10, 0
	v_addc_co_u32_e32 v5, vcc, v19, v17, vcc
	v_addc_co_u32_e32 v7, vcc, 0, v7, vcc
	v_add_co_u32_e32 v5, vcc, v5, v6
	s_brev_b32 s10, -2
	v_addc_co_u32_e32 v17, vcc, 0, v7, vcc
	v_mad_u64_u32 v[6:7], s[4:5], v5, s10, 0
	v_mov_b32_e32 v16, v7
	v_mad_u64_u32 v[16:17], s[4:5], v17, s10, v[16:17]
	v_sub_co_u32_e32 v5, vcc, v8, v6
	v_subb_co_u32_e32 v6, vcc, v9, v16, vcc
	v_subrev_co_u32_e32 v7, vcc, 0x7fffffff, v5
	v_subbrev_co_u32_e32 v8, vcc, 0, v6, vcc
	s_mov_b32 s4, 0x7ffffffe
	v_cmp_lt_u32_e32 vcc, s4, v7
	v_cndmask_b32_e64 v9, 0, -1, vcc
	v_cmp_eq_u32_e32 vcc, 0, v8
	v_cndmask_b32_e32 v8, -1, v9, vcc
	v_add_u32_e32 v9, 0x80000001, v7
	v_cmp_ne_u32_e32 vcc, 0, v8
	v_cndmask_b32_e32 v7, v7, v9, vcc
	v_cmp_lt_u32_e32 vcc, s4, v5
	v_cndmask_b32_e64 v8, 0, -1, vcc
	v_cmp_eq_u32_e32 vcc, 0, v6
	v_cndmask_b32_e32 v6, -1, v8, vcc
	v_cmp_ne_u32_e32 vcc, 0, v6
	v_cndmask_b32_e32 v7, v5, v7, vcc
.LBB29_248:
	s_or_b64 exec, exec, s[8:9]
	s_movk_i32 s8, 0x1388
	v_mov_b32_e32 v16, 0
	s_mov_b32 s9, 0xbc8f1391
	s_mov_b32 s10, 0xbc8f
	s_brev_b32 s11, 12
	s_mov_b32 s14, 0xf800000
	v_mov_b32_e32 v5, 0x260
.LBB29_249:                             ; =>This Inner Loop Header: Depth=1
	v_mul_hi_u32 v6, v7, s9
	v_lshrrev_b32_e32 v6, 15, v6
	v_mul_u32_u24_e32 v9, 0xadc8, v6
	v_sub_u32_e32 v7, v7, v9
	v_mul_u32_u24_e32 v6, 0xd47, v6
	v_mul_lo_u32 v7, v7, s10
	v_xor_b32_e32 v9, 0x7fffffff, v6
	v_sub_u32_e32 v17, 0, v6
	v_cmp_lt_u32_e32 vcc, v7, v6
	v_cndmask_b32_e32 v6, v17, v9, vcc
	v_add_u32_e32 v6, v6, v7
	v_mul_hi_u32 v9, v6, s9
	v_lshrrev_b32_e32 v9, 15, v9
	v_mul_u32_u24_e32 v17, 0xadc8, v9
	v_add_u32_e32 v7, -1, v6
	v_sub_u32_e32 v6, v6, v17
	v_mul_u32_u24_e32 v9, 0xd47, v9
	v_mul_lo_u32 v6, v6, s10
	v_xor_b32_e32 v17, 0x7fffffff, v9
	v_sub_u32_e32 v18, 0, v9
	v_cmp_lt_u32_e32 vcc, v6, v9
	v_cndmask_b32_e32 v9, v18, v17, vcc
	v_add_u32_e32 v6, v9, v6
	v_mul_hi_u32 v17, v6, s9
	v_add_u32_e32 v9, -1, v6
	v_lshrrev_b32_e32 v17, 15, v17
	v_cvt_f32_u32_e32 v9, v9
	v_mul_u32_u24_e32 v18, 0xadc8, v17
	v_cvt_f32_u32_e32 v7, v7
	v_sub_u32_e32 v6, v6, v18
	v_mul_u32_u24_e32 v17, 0xd47, v17
	v_mul_lo_u32 v6, v6, s10
	v_xor_b32_e32 v18, 0x7fffffff, v17
	v_sub_u32_e32 v19, 0, v17
	v_cmp_lt_u32_e32 vcc, v6, v17
	v_fma_f32 v9, v9, s11, 0
	v_cndmask_b32_e32 v17, v19, v18, vcc
	v_fma_f32 v7, v7, s11, 0
	v_mul_f32_e32 v9, v9, v9
	v_add_u32_e32 v6, v17, v6
	v_fmac_f32_e32 v9, v7, v7
	v_mul_hi_u32 v17, v6, s9
	v_add_u32_e32 v7, -1, v6
	v_mul_f32_e32 v18, 0x4f800000, v9
	v_lshrrev_b32_e32 v17, 15, v17
	v_cmp_gt_f32_e32 vcc, s14, v9
	v_cvt_f32_u32_e32 v7, v7
	v_cndmask_b32_e32 v9, v9, v18, vcc
	v_mul_u32_u24_e32 v18, 0xadc8, v17
	v_sqrt_f32_e32 v19, v9
	v_sub_u32_e32 v6, v6, v18
	v_mul_u32_u24_e32 v17, 0xd47, v17
	v_mul_lo_u32 v6, v6, s10
	v_xor_b32_e32 v18, 0x7fffffff, v17
	v_sub_u32_e32 v20, 0, v17
	v_cmp_lt_u32_e64 s[4:5], v6, v17
	v_fma_f32 v21, v7, s11, 0
	v_cndmask_b32_e64 v7, v20, v18, s[4:5]
	v_add_u32_e32 v7, v7, v6
	v_add_u32_e32 v6, -1, v19
	v_add_u32_e32 v17, 1, v19
	v_add_u32_e32 v18, -1, v7
	v_fma_f32 v20, -v6, v19, v9
	v_fma_f32 v22, -v17, v19, v9
	v_cvt_f32_u32_e32 v18, v18
	v_cmp_ge_f32_e64 s[4:5], 0, v20
	v_cndmask_b32_e64 v6, v19, v6, s[4:5]
	v_cmp_lt_f32_e64 s[4:5], 0, v22
	v_cndmask_b32_e64 v6, v6, v17, s[4:5]
	v_mul_f32_e32 v17, 0x37800000, v6
	v_cndmask_b32_e32 v6, v6, v17, vcc
	v_fma_f32 v17, v18, s11, 0
	v_cmp_class_f32_e32 vcc, v9, v5
	v_cndmask_b32_e32 v6, v6, v9, vcc
	v_mul_f32_e32 v9, v17, v17
	v_add_f32_e32 v8, 1.0, v16
	v_cmp_nge_f32_e32 vcc, 1.0, v6
	v_fmac_f32_e32 v9, v21, v21
	v_cndmask_b32_e32 v6, v8, v16, vcc
	v_mul_f32_e32 v8, 0x4f800000, v9
	v_cmp_gt_f32_e32 vcc, s14, v9
	v_cndmask_b32_e32 v8, v9, v8, vcc
	v_sqrt_f32_e32 v9, v8
	s_add_i32 s8, s8, -2
	v_add_f32_e32 v16, 1.0, v6
	s_cmp_lg_u32 s8, 0
	v_add_u32_e32 v17, -1, v9
	v_add_u32_e32 v18, 1, v9
	v_fma_f32 v19, -v17, v9, v8
	v_fma_f32 v20, -v18, v9, v8
	v_cmp_ge_f32_e64 s[4:5], 0, v19
	v_cndmask_b32_e64 v9, v9, v17, s[4:5]
	v_cmp_lt_f32_e64 s[4:5], 0, v20
	v_cndmask_b32_e64 v9, v9, v18, s[4:5]
	v_mul_f32_e32 v17, 0x37800000, v9
	v_cndmask_b32_e32 v9, v9, v17, vcc
	v_cmp_class_f32_e32 vcc, v8, v5
	v_cndmask_b32_e32 v8, v9, v8, vcc
	v_cmp_nge_f32_e32 vcc, 1.0, v8
	v_cndmask_b32_e32 v16, v16, v6, vcc
	s_cbranch_scc1 .LBB29_249
; %bb.250:
	v_add_u32_e32 v6, 0x30d400, v4
	v_cmp_ne_u32_e32 vcc, 0, v6
	v_mov_b32_e32 v7, 1
	s_and_saveexec_b64 s[8:9], vcc
	s_cbranch_execz .LBB29_272
; %bb.251:
	v_mov_b32_e32 v8, 1
	v_mov_b32_e32 v7, 0
	s_mov_b64 s[14:15], 0xbc8f
	s_mov_b64 s[10:11], 0
	v_mov_b32_e32 v9, 0
	s_brev_b32 s19, -2
	s_mov_b32 s20, 0x7ffffffe
	v_mov_b32_e32 v5, 0xfffff800
	s_movk_i32 s21, 0x401
	s_branch .LBB29_253
.LBB29_252:                             ;   in Loop: Header=BB29_253 Depth=1
	s_or_b64 exec, exec, s[16:17]
	s_mul_i32 s4, s14, s15
	s_mul_hi_u32 s5, s14, s14
	s_add_i32 s5, s5, s4
	s_add_i32 s4, s5, s4
	s_mul_i32 s5, s14, s14
	s_add_u32 s14, 0x402, s21
	s_addc_u32 s15, 0, 0
	v_add_co_u32_e32 v17, vcc, s14, v5
	s_cmp_lg_u64 vcc, 0
	v_readfirstlane_b32 s16, v17
	s_addc_u32 s14, s15, 1
	s_mul_hi_u32 s17, s16, 0x80000001
	s_mul_i32 s15, s14, 0x80000001
	s_sub_i32 s17, s17, s16
	s_add_i32 s17, s17, s15
	s_mul_i32 s23, s16, 0x80000001
	s_mul_hi_u32 s15, s16, s17
	s_mul_i32 s22, s16, s17
	s_mul_hi_u32 s16, s16, s23
	s_add_u32 s16, s16, s22
	s_addc_u32 s15, 0, s15
	s_mul_hi_u32 s24, s14, s23
	s_mul_i32 s23, s14, s23
	s_add_u32 s16, s16, s23
	s_mul_hi_u32 s22, s14, s17
	s_addc_u32 s15, s15, s24
	s_addc_u32 s16, s22, 0
	s_mul_i32 s17, s14, s17
	s_add_u32 s15, s15, s17
	s_addc_u32 s16, 0, s16
	v_add_co_u32_e32 v17, vcc, s15, v17
	s_cmp_lg_u64 vcc, 0
	s_addc_u32 s14, s14, s16
	v_readfirstlane_b32 s17, v17
	s_mul_i32 s16, s5, s14
	s_mul_hi_u32 s22, s5, s17
	s_mul_hi_u32 s15, s5, s14
	s_add_u32 s16, s22, s16
	s_addc_u32 s15, 0, s15
	s_mul_hi_u32 s23, s4, s17
	s_mul_i32 s17, s4, s17
	s_add_u32 s16, s16, s17
	s_mul_hi_u32 s22, s4, s14
	s_addc_u32 s15, s15, s23
	s_addc_u32 s16, s22, 0
	s_mul_i32 s14, s4, s14
	s_add_u32 s14, s15, s14
	s_addc_u32 s15, 0, s16
	s_mul_hi_u32 s16, s14, 0x7fffffff
	s_mul_i32 s14, s14, 0x7fffffff
	s_mul_i32 s15, s15, 0x7fffffff
	v_mov_b32_e32 v17, s14
	s_add_i32 s16, s16, s15
	v_sub_co_u32_e32 v17, vcc, s5, v17
	s_cmp_lg_u64 vcc, 0
	s_subb_u32 s4, s4, s16
	v_subrev_co_u32_e32 v20, vcc, s19, v17
	s_cmp_lg_u64 vcc, 0
	s_subb_u32 s5, s4, 0
	v_subrev_co_u32_e32 v21, vcc, s19, v20
	s_cmp_lg_u64 vcc, 0
	s_subb_u32 s14, s5, 0
	v_readfirstlane_b32 s15, v20
	s_cmp_gt_u32 s15, 0x7ffffffe
	s_cselect_b32 s16, -1, 0
	s_cmp_eq_u32 s5, 0
	s_cselect_b32 s16, s16, -1
	s_cmp_lg_u32 s16, 0
	s_cselect_b32 s5, s14, s5
	v_readfirstlane_b32 s14, v21
	v_readfirstlane_b32 s16, v17
	s_cselect_b32 s14, s14, s15
	s_cmp_gt_u32 s16, 0x7ffffffe
	s_cselect_b32 s15, -1, 0
	s_cmp_eq_u32 s4, 0
	s_cselect_b32 s15, s15, -1
	v_lshrrev_b64 v[18:19], 1, v[6:7]
	s_cmp_lg_u32 s15, 0
	v_cmp_gt_u64_e32 vcc, 2, v[6:7]
	s_cselect_b32 s15, s5, s4
	s_cselect_b32 s14, s14, s16
	s_or_b64 s[10:11], vcc, s[10:11]
	v_pk_mov_b32 v[6:7], v[18:19], v[18:19] op_sel:[0,1]
	s_andn2_b64 exec, exec, s[10:11]
	s_cbranch_execz .LBB29_271
.LBB29_253:                             ; =>This Inner Loop Header: Depth=1
	v_and_b32_e32 v17, 1, v6
	v_cmp_eq_u32_e32 vcc, 1, v17
	s_and_saveexec_b64 s[16:17], vcc
	s_cbranch_execz .LBB29_252
; %bb.254:                              ;   in Loop: Header=BB29_253 Depth=1
	v_mul_lo_u32 v17, s15, v8
	v_mul_lo_u32 v18, s14, v9
	v_mad_u64_u32 v[8:9], s[4:5], s14, v8, 0
	s_add_u32 s4, 0x402, s21
	v_add3_u32 v9, v9, v18, v17
	s_addc_u32 s5, 0, 0
	v_add_co_u32_e32 v17, vcc, s4, v5
	s_cmp_lg_u64 vcc, 0
	v_readfirstlane_b32 s22, v17
	s_addc_u32 s4, s5, 1
	s_mul_hi_u32 s23, s22, 0x80000001
	s_mul_i32 s5, s4, 0x80000001
	s_sub_i32 s23, s23, s22
	s_add_i32 s23, s23, s5
	s_mul_i32 s25, s22, 0x80000001
	s_mul_hi_u32 s5, s22, s23
	s_mul_i32 s24, s22, s23
	s_mul_hi_u32 s22, s22, s25
	s_add_u32 s22, s22, s24
	s_addc_u32 s5, 0, s5
	s_mul_hi_u32 s26, s4, s25
	s_mul_i32 s25, s4, s25
	s_add_u32 s22, s22, s25
	s_mul_hi_u32 s24, s4, s23
	s_addc_u32 s5, s5, s26
	s_addc_u32 s22, s24, 0
	s_mul_i32 s23, s4, s23
	s_add_u32 s5, s5, s23
	s_addc_u32 s22, 0, s22
	v_add_co_u32_e32 v17, vcc, s5, v17
	s_cmp_lg_u64 vcc, 0
	s_addc_u32 s22, s4, s22
	v_mad_u64_u32 v[18:19], s[4:5], v8, s22, 0
	v_mul_hi_u32 v20, v8, v17
	v_add_co_u32_e32 v22, vcc, v20, v18
	v_addc_co_u32_e32 v23, vcc, 0, v19, vcc
	v_mad_u64_u32 v[20:21], s[4:5], v9, v17, 0
	v_add_co_u32_e32 v17, vcc, v22, v20
	v_mad_u64_u32 v[18:19], s[4:5], v9, s22, 0
	v_addc_co_u32_e32 v17, vcc, v23, v21, vcc
	v_addc_co_u32_e32 v19, vcc, 0, v19, vcc
	v_add_co_u32_e32 v17, vcc, v17, v18
	v_addc_co_u32_e32 v21, vcc, 0, v19, vcc
	v_mad_u64_u32 v[18:19], s[4:5], v17, s19, 0
	v_mov_b32_e32 v20, v19
	v_mad_u64_u32 v[20:21], s[4:5], v21, s19, v[20:21]
	v_sub_co_u32_e32 v8, vcc, v8, v18
	v_subb_co_u32_e32 v9, vcc, v9, v20, vcc
	v_subrev_co_u32_e32 v17, vcc, s19, v8
	v_subbrev_co_u32_e32 v18, vcc, 0, v9, vcc
	v_subrev_co_u32_e32 v19, vcc, s19, v17
	v_subbrev_co_u32_e32 v20, vcc, 0, v18, vcc
	v_cmp_lt_u32_e32 vcc, s20, v17
	v_cndmask_b32_e64 v21, 0, -1, vcc
	v_cmp_eq_u32_e32 vcc, 0, v18
	v_cndmask_b32_e32 v21, -1, v21, vcc
	v_cmp_ne_u32_e32 vcc, 0, v21
	v_cmp_lt_u32_e64 s[4:5], s20, v8
	v_cndmask_b32_e32 v18, v18, v20, vcc
	v_cndmask_b32_e64 v20, 0, -1, s[4:5]
	v_cmp_eq_u32_e64 s[4:5], 0, v9
	v_cndmask_b32_e64 v20, -1, v20, s[4:5]
	v_cmp_ne_u32_e64 s[4:5], 0, v20
	v_cndmask_b32_e32 v17, v17, v19, vcc
	v_cndmask_b32_e64 v9, v9, v18, s[4:5]
	v_cndmask_b32_e64 v8, v8, v17, s[4:5]
	s_branch .LBB29_252
.LBB29_255:
	s_or_b64 exec, exec, s[10:11]
	s_movk_i32 s4, 0x401
	s_add_u32 s4, 0x402, s4
	v_mov_b32_e32 v3, 0xfffff800
	s_addc_u32 s5, 0, 0
	v_add_co_u32_e32 v3, vcc, s4, v3
	s_cmp_lg_u64 vcc, 0
	v_readfirstlane_b32 s10, v3
	s_addc_u32 s4, s5, 1
	s_mul_hi_u32 s11, s10, 0x80000001
	s_mul_i32 s5, s4, 0x80000001
	s_sub_i32 s11, s11, s10
	s_add_i32 s11, s11, s5
	s_mul_i32 s15, s10, 0x80000001
	s_mul_hi_u32 s5, s10, s11
	s_mul_i32 s14, s10, s11
	s_mul_hi_u32 s10, s10, s15
	s_add_u32 s10, s10, s14
	s_addc_u32 s5, 0, s5
	s_mul_hi_u32 s16, s4, s15
	s_mul_i32 s15, s4, s15
	s_add_u32 s10, s10, s15
	s_mul_hi_u32 s14, s4, s11
	s_addc_u32 s5, s5, s16
	s_addc_u32 s10, s14, 0
	s_mul_i32 s11, s4, s11
	s_add_u32 s5, s5, s11
	s_addc_u32 s10, 0, s10
	v_add_co_u32_e32 v3, vcc, s5, v3
	s_cmp_lg_u64 vcc, 0
	s_addc_u32 s10, s4, s10
	v_mad_u64_u32 v[4:5], s[4:5], v6, s10, 0
	v_mul_hi_u32 v17, v6, v3
	v_add_co_u32_e32 v17, vcc, v17, v4
	v_addc_co_u32_e32 v22, vcc, 0, v5, vcc
	v_mad_u64_u32 v[20:21], s[4:5], v7, v3, 0
	v_add_co_u32_e32 v3, vcc, v17, v20
	v_mad_u64_u32 v[4:5], s[4:5], v7, s10, 0
	v_addc_co_u32_e32 v3, vcc, v22, v21, vcc
	v_addc_co_u32_e32 v5, vcc, 0, v5, vcc
	v_add_co_u32_e32 v3, vcc, v3, v4
	s_brev_b32 s10, -2
	v_addc_co_u32_e32 v17, vcc, 0, v5, vcc
	v_mad_u64_u32 v[4:5], s[4:5], v3, s10, 0
	v_mov_b32_e32 v20, v5
	v_mad_u64_u32 v[20:21], s[4:5], v17, s10, v[20:21]
	v_sub_co_u32_e32 v3, vcc, v6, v4
	v_subb_co_u32_e32 v4, vcc, v7, v20, vcc
	v_subrev_co_u32_e32 v5, vcc, 0x7fffffff, v3
	v_subbrev_co_u32_e32 v6, vcc, 0, v4, vcc
	s_mov_b32 s4, 0x7ffffffe
	v_cmp_lt_u32_e32 vcc, s4, v5
	v_cndmask_b32_e64 v7, 0, -1, vcc
	v_cmp_eq_u32_e32 vcc, 0, v6
	v_cndmask_b32_e32 v6, -1, v7, vcc
	v_add_u32_e32 v7, 0x80000001, v5
	v_cmp_ne_u32_e32 vcc, 0, v6
	v_cndmask_b32_e32 v5, v5, v7, vcc
	v_cmp_lt_u32_e32 vcc, s4, v3
	v_cndmask_b32_e64 v6, 0, -1, vcc
	v_cmp_eq_u32_e32 vcc, 0, v4
	v_cndmask_b32_e32 v4, -1, v6, vcc
	v_cmp_ne_u32_e32 vcc, 0, v4
	v_cndmask_b32_e32 v5, v3, v5, vcc
.LBB29_256:
	s_or_b64 exec, exec, s[8:9]
	s_movk_i32 s8, 0x1388
	v_mov_b32_e32 v17, 0
	s_mov_b32 s9, 0xbc8f1391
	s_mov_b32 s10, 0xbc8f
	s_brev_b32 s11, 12
	s_mov_b32 s14, 0xf800000
	v_mov_b32_e32 v3, 0x260
.LBB29_257:                             ; =>This Inner Loop Header: Depth=1
	v_mul_hi_u32 v4, v5, s9
	v_lshrrev_b32_e32 v4, 15, v4
	v_mul_u32_u24_e32 v7, 0xadc8, v4
	v_sub_u32_e32 v5, v5, v7
	v_mul_u32_u24_e32 v4, 0xd47, v4
	v_mul_lo_u32 v5, v5, s10
	v_xor_b32_e32 v7, 0x7fffffff, v4
	v_sub_u32_e32 v20, 0, v4
	v_cmp_lt_u32_e32 vcc, v5, v4
	v_cndmask_b32_e32 v4, v20, v7, vcc
	v_add_u32_e32 v4, v4, v5
	v_mul_hi_u32 v7, v4, s9
	v_lshrrev_b32_e32 v7, 15, v7
	v_mul_u32_u24_e32 v20, 0xadc8, v7
	v_add_u32_e32 v5, -1, v4
	v_sub_u32_e32 v4, v4, v20
	v_mul_u32_u24_e32 v7, 0xd47, v7
	v_mul_lo_u32 v4, v4, s10
	v_xor_b32_e32 v20, 0x7fffffff, v7
	v_sub_u32_e32 v21, 0, v7
	v_cmp_lt_u32_e32 vcc, v4, v7
	v_cndmask_b32_e32 v7, v21, v20, vcc
	v_add_u32_e32 v4, v7, v4
	v_mul_hi_u32 v20, v4, s9
	v_add_u32_e32 v7, -1, v4
	v_lshrrev_b32_e32 v20, 15, v20
	v_cvt_f32_u32_e32 v7, v7
	v_mul_u32_u24_e32 v21, 0xadc8, v20
	v_cvt_f32_u32_e32 v5, v5
	v_sub_u32_e32 v4, v4, v21
	v_mul_u32_u24_e32 v20, 0xd47, v20
	v_mul_lo_u32 v4, v4, s10
	v_xor_b32_e32 v21, 0x7fffffff, v20
	v_sub_u32_e32 v22, 0, v20
	v_cmp_lt_u32_e32 vcc, v4, v20
	v_fma_f32 v7, v7, s11, 0
	v_cndmask_b32_e32 v20, v22, v21, vcc
	v_fma_f32 v5, v5, s11, 0
	v_mul_f32_e32 v7, v7, v7
	v_add_u32_e32 v4, v20, v4
	v_fmac_f32_e32 v7, v5, v5
	v_mul_hi_u32 v20, v4, s9
	v_add_u32_e32 v5, -1, v4
	v_mul_f32_e32 v21, 0x4f800000, v7
	v_lshrrev_b32_e32 v20, 15, v20
	v_cmp_gt_f32_e32 vcc, s14, v7
	v_cvt_f32_u32_e32 v5, v5
	v_cndmask_b32_e32 v7, v7, v21, vcc
	v_mul_u32_u24_e32 v21, 0xadc8, v20
	v_sqrt_f32_e32 v22, v7
	v_sub_u32_e32 v4, v4, v21
	v_mul_u32_u24_e32 v20, 0xd47, v20
	v_mul_lo_u32 v4, v4, s10
	v_xor_b32_e32 v21, 0x7fffffff, v20
	v_sub_u32_e32 v23, 0, v20
	v_cmp_lt_u32_e64 s[4:5], v4, v20
	v_fma_f32 v24, v5, s11, 0
	v_cndmask_b32_e64 v5, v23, v21, s[4:5]
	v_add_u32_e32 v5, v5, v4
	v_add_u32_e32 v4, -1, v22
	v_add_u32_e32 v20, 1, v22
	v_add_u32_e32 v21, -1, v5
	v_fma_f32 v23, -v4, v22, v7
	v_fma_f32 v25, -v20, v22, v7
	v_cvt_f32_u32_e32 v21, v21
	v_cmp_ge_f32_e64 s[4:5], 0, v23
	v_cndmask_b32_e64 v4, v22, v4, s[4:5]
	v_cmp_lt_f32_e64 s[4:5], 0, v25
	v_cndmask_b32_e64 v4, v4, v20, s[4:5]
	v_mul_f32_e32 v20, 0x37800000, v4
	v_cndmask_b32_e32 v4, v4, v20, vcc
	v_fma_f32 v20, v21, s11, 0
	v_cmp_class_f32_e32 vcc, v7, v3
	v_cndmask_b32_e32 v4, v4, v7, vcc
	v_mul_f32_e32 v7, v20, v20
	v_add_f32_e32 v6, 1.0, v17
	v_cmp_nge_f32_e32 vcc, 1.0, v4
	v_fmac_f32_e32 v7, v24, v24
	v_cndmask_b32_e32 v4, v6, v17, vcc
	v_mul_f32_e32 v6, 0x4f800000, v7
	v_cmp_gt_f32_e32 vcc, s14, v7
	v_cndmask_b32_e32 v6, v7, v6, vcc
	v_sqrt_f32_e32 v7, v6
	s_add_i32 s8, s8, -2
	v_add_f32_e32 v17, 1.0, v4
	s_cmp_lg_u32 s8, 0
	v_add_u32_e32 v20, -1, v7
	v_add_u32_e32 v21, 1, v7
	v_fma_f32 v22, -v20, v7, v6
	v_fma_f32 v23, -v21, v7, v6
	v_cmp_ge_f32_e64 s[4:5], 0, v22
	v_cndmask_b32_e64 v7, v7, v20, s[4:5]
	v_cmp_lt_f32_e64 s[4:5], 0, v23
	v_cndmask_b32_e64 v7, v7, v21, s[4:5]
	v_mul_f32_e32 v20, 0x37800000, v7
	v_cndmask_b32_e32 v7, v7, v20, vcc
	v_cmp_class_f32_e32 vcc, v6, v3
	v_cndmask_b32_e32 v6, v7, v6, vcc
	v_cmp_nge_f32_e32 vcc, 1.0, v6
	v_cndmask_b32_e32 v17, v17, v4, vcc
	s_cbranch_scc1 .LBB29_257
; %bb.258:
	v_add_u32_e32 v4, 0x3a9800, v2
	v_cmp_ne_u32_e32 vcc, 0, v4
	v_mov_b32_e32 v5, 1
	s_and_saveexec_b64 s[8:9], vcc
	s_cbranch_execz .LBB29_280
; %bb.259:
	v_mov_b32_e32 v6, 1
	v_mov_b32_e32 v5, 0
	s_mov_b64 s[14:15], 0xbc8f
	s_mov_b64 s[10:11], 0
	v_mov_b32_e32 v7, 0
	s_brev_b32 s19, -2
	s_mov_b32 s20, 0x7ffffffe
	v_mov_b32_e32 v3, 0xfffff800
	s_movk_i32 s21, 0x401
	s_branch .LBB29_261
.LBB29_260:                             ;   in Loop: Header=BB29_261 Depth=1
	s_or_b64 exec, exec, s[16:17]
	s_mul_i32 s4, s14, s15
	s_mul_hi_u32 s5, s14, s14
	s_add_i32 s5, s5, s4
	s_add_i32 s4, s5, s4
	s_mul_i32 s5, s14, s14
	s_add_u32 s14, 0x402, s21
	s_addc_u32 s15, 0, 0
	v_add_co_u32_e32 v22, vcc, s14, v3
	s_cmp_lg_u64 vcc, 0
	v_readfirstlane_b32 s16, v22
	s_addc_u32 s14, s15, 1
	s_mul_hi_u32 s17, s16, 0x80000001
	s_mul_i32 s15, s14, 0x80000001
	s_sub_i32 s17, s17, s16
	s_add_i32 s17, s17, s15
	s_mul_i32 s25, s16, 0x80000001
	s_mul_hi_u32 s15, s16, s17
	s_mul_i32 s24, s16, s17
	s_mul_hi_u32 s16, s16, s25
	s_add_u32 s16, s16, s24
	s_addc_u32 s15, 0, s15
	s_mul_hi_u32 s26, s14, s25
	s_mul_i32 s25, s14, s25
	s_add_u32 s16, s16, s25
	s_mul_hi_u32 s24, s14, s17
	s_addc_u32 s15, s15, s26
	s_addc_u32 s16, s24, 0
	s_mul_i32 s17, s14, s17
	s_add_u32 s15, s15, s17
	s_addc_u32 s16, 0, s16
	v_add_co_u32_e32 v22, vcc, s15, v22
	s_cmp_lg_u64 vcc, 0
	s_addc_u32 s14, s14, s16
	v_readfirstlane_b32 s17, v22
	s_mul_i32 s16, s5, s14
	s_mul_hi_u32 s24, s5, s17
	s_mul_hi_u32 s15, s5, s14
	s_add_u32 s16, s24, s16
	s_addc_u32 s15, 0, s15
	s_mul_hi_u32 s25, s4, s17
	s_mul_i32 s17, s4, s17
	s_add_u32 s16, s16, s17
	s_mul_hi_u32 s24, s4, s14
	s_addc_u32 s15, s15, s25
	s_addc_u32 s16, s24, 0
	s_mul_i32 s14, s4, s14
	s_add_u32 s14, s15, s14
	s_addc_u32 s15, 0, s16
	s_mul_hi_u32 s16, s14, 0x7fffffff
	s_mul_i32 s14, s14, 0x7fffffff
	s_mul_i32 s15, s15, 0x7fffffff
	v_mov_b32_e32 v22, s14
	s_add_i32 s16, s16, s15
	v_sub_co_u32_e32 v22, vcc, s5, v22
	s_cmp_lg_u64 vcc, 0
	s_subb_u32 s4, s4, s16
	v_subrev_co_u32_e32 v23, vcc, s19, v22
	s_cmp_lg_u64 vcc, 0
	s_subb_u32 s5, s4, 0
	v_subrev_co_u32_e32 v24, vcc, s19, v23
	s_cmp_lg_u64 vcc, 0
	s_subb_u32 s14, s5, 0
	v_readfirstlane_b32 s15, v23
	s_cmp_gt_u32 s15, 0x7ffffffe
	s_cselect_b32 s16, -1, 0
	s_cmp_eq_u32 s5, 0
	s_cselect_b32 s16, s16, -1
	s_cmp_lg_u32 s16, 0
	s_cselect_b32 s5, s14, s5
	v_readfirstlane_b32 s14, v24
	v_readfirstlane_b32 s16, v22
	s_cselect_b32 s14, s14, s15
	s_cmp_gt_u32 s16, 0x7ffffffe
	s_cselect_b32 s15, -1, 0
	s_cmp_eq_u32 s4, 0
	s_cselect_b32 s15, s15, -1
	v_lshrrev_b64 v[20:21], 1, v[4:5]
	s_cmp_lg_u32 s15, 0
	v_cmp_gt_u64_e32 vcc, 2, v[4:5]
	s_cselect_b32 s15, s5, s4
	s_cselect_b32 s14, s14, s16
	s_or_b64 s[10:11], vcc, s[10:11]
	v_pk_mov_b32 v[4:5], v[20:21], v[20:21] op_sel:[0,1]
	s_andn2_b64 exec, exec, s[10:11]
	s_cbranch_execz .LBB29_279
.LBB29_261:                             ; =>This Inner Loop Header: Depth=1
	v_and_b32_e32 v20, 1, v4
	v_cmp_eq_u32_e32 vcc, 1, v20
	s_and_saveexec_b64 s[16:17], vcc
	s_cbranch_execz .LBB29_260
; %bb.262:                              ;   in Loop: Header=BB29_261 Depth=1
	v_mul_lo_u32 v20, s15, v6
	v_mul_lo_u32 v21, s14, v7
	v_mad_u64_u32 v[6:7], s[4:5], s14, v6, 0
	s_add_u32 s4, 0x402, s21
	v_add3_u32 v7, v7, v21, v20
	s_addc_u32 s5, 0, 0
	v_add_co_u32_e32 v20, vcc, s4, v3
	s_cmp_lg_u64 vcc, 0
	v_readfirstlane_b32 s24, v20
	s_addc_u32 s4, s5, 1
	s_mul_hi_u32 s25, s24, 0x80000001
	s_mul_i32 s5, s4, 0x80000001
	s_sub_i32 s25, s25, s24
	s_add_i32 s25, s25, s5
	s_mul_i32 s27, s24, 0x80000001
	s_mul_hi_u32 s5, s24, s25
	s_mul_i32 s26, s24, s25
	s_mul_hi_u32 s24, s24, s27
	s_add_u32 s24, s24, s26
	s_addc_u32 s5, 0, s5
	s_mul_hi_u32 s28, s4, s27
	s_mul_i32 s27, s4, s27
	s_add_u32 s24, s24, s27
	s_mul_hi_u32 s26, s4, s25
	s_addc_u32 s5, s5, s28
	s_addc_u32 s24, s26, 0
	s_mul_i32 s25, s4, s25
	s_add_u32 s5, s5, s25
	s_addc_u32 s24, 0, s24
	v_add_co_u32_e32 v22, vcc, s5, v20
	s_cmp_lg_u64 vcc, 0
	s_addc_u32 s24, s4, s24
	v_mad_u64_u32 v[20:21], s[4:5], v6, s24, 0
	v_mul_hi_u32 v23, v6, v22
	v_add_co_u32_e32 v24, vcc, v23, v20
	v_addc_co_u32_e32 v25, vcc, 0, v21, vcc
	v_mad_u64_u32 v[22:23], s[4:5], v7, v22, 0
	v_add_co_u32_e32 v22, vcc, v24, v22
	v_mad_u64_u32 v[20:21], s[4:5], v7, s24, 0
	v_addc_co_u32_e32 v22, vcc, v25, v23, vcc
	v_addc_co_u32_e32 v21, vcc, 0, v21, vcc
	v_add_co_u32_e32 v20, vcc, v22, v20
	v_addc_co_u32_e32 v23, vcc, 0, v21, vcc
	v_mad_u64_u32 v[20:21], s[4:5], v20, s19, 0
	v_mov_b32_e32 v22, v21
	v_mad_u64_u32 v[22:23], s[4:5], v23, s19, v[22:23]
	v_sub_co_u32_e32 v6, vcc, v6, v20
	v_subb_co_u32_e32 v7, vcc, v7, v22, vcc
	v_subrev_co_u32_e32 v20, vcc, s19, v6
	v_subbrev_co_u32_e32 v21, vcc, 0, v7, vcc
	v_subrev_co_u32_e32 v22, vcc, s19, v20
	v_subbrev_co_u32_e32 v23, vcc, 0, v21, vcc
	v_cmp_lt_u32_e32 vcc, s20, v20
	v_cndmask_b32_e64 v24, 0, -1, vcc
	v_cmp_eq_u32_e32 vcc, 0, v21
	v_cndmask_b32_e32 v24, -1, v24, vcc
	v_cmp_ne_u32_e32 vcc, 0, v24
	v_cmp_lt_u32_e64 s[4:5], s20, v6
	v_cndmask_b32_e32 v21, v21, v23, vcc
	v_cndmask_b32_e64 v23, 0, -1, s[4:5]
	v_cmp_eq_u32_e64 s[4:5], 0, v7
	v_cndmask_b32_e64 v23, -1, v23, s[4:5]
	v_cmp_ne_u32_e64 s[4:5], 0, v23
	v_cndmask_b32_e32 v20, v20, v22, vcc
	v_cndmask_b32_e64 v7, v7, v21, s[4:5]
	v_cndmask_b32_e64 v6, v6, v20, s[4:5]
	s_branch .LBB29_260
.LBB29_263:
	s_or_b64 exec, exec, s[10:11]
	s_movk_i32 s4, 0x401
	s_add_u32 s4, 0x402, s4
	v_mov_b32_e32 v3, 0xfffff800
	s_addc_u32 s5, 0, 0
	v_add_co_u32_e32 v3, vcc, s4, v3
	s_cmp_lg_u64 vcc, 0
	v_readfirstlane_b32 s10, v3
	s_addc_u32 s4, s5, 1
	s_mul_hi_u32 s11, s10, 0x80000001
	s_mul_i32 s5, s4, 0x80000001
	s_sub_i32 s11, s11, s10
	s_add_i32 s11, s11, s5
	s_mul_i32 s15, s10, 0x80000001
	s_mul_hi_u32 s5, s10, s11
	s_mul_i32 s14, s10, s11
	s_mul_hi_u32 s10, s10, s15
	s_add_u32 s10, s10, s14
	s_addc_u32 s5, 0, s5
	s_mul_hi_u32 s16, s4, s15
	s_mul_i32 s15, s4, s15
	s_add_u32 s10, s10, s15
	s_mul_hi_u32 s14, s4, s11
	s_addc_u32 s5, s5, s16
	s_addc_u32 s10, s14, 0
	s_mul_i32 s11, s4, s11
	s_add_u32 s5, s5, s11
	s_addc_u32 s10, 0, s10
	v_add_co_u32_e32 v3, vcc, s5, v3
	s_cmp_lg_u64 vcc, 0
	s_addc_u32 s10, s4, s10
	v_mad_u64_u32 v[4:5], s[4:5], v6, s10, 0
	v_mul_hi_u32 v13, v6, v3
	v_add_co_u32_e32 v13, vcc, v13, v4
	v_addc_co_u32_e32 v16, vcc, 0, v5, vcc
	v_mad_u64_u32 v[14:15], s[4:5], v7, v3, 0
	v_add_co_u32_e32 v3, vcc, v13, v14
	v_mad_u64_u32 v[4:5], s[4:5], v7, s10, 0
	v_addc_co_u32_e32 v3, vcc, v16, v15, vcc
	v_addc_co_u32_e32 v5, vcc, 0, v5, vcc
	v_add_co_u32_e32 v3, vcc, v3, v4
	s_brev_b32 s10, -2
	v_addc_co_u32_e32 v13, vcc, 0, v5, vcc
	v_mad_u64_u32 v[4:5], s[4:5], v3, s10, 0
	v_mov_b32_e32 v14, v5
	v_mad_u64_u32 v[14:15], s[4:5], v13, s10, v[14:15]
	v_sub_co_u32_e32 v3, vcc, v6, v4
	v_subb_co_u32_e32 v4, vcc, v7, v14, vcc
	v_subrev_co_u32_e32 v5, vcc, 0x7fffffff, v3
	v_subbrev_co_u32_e32 v6, vcc, 0, v4, vcc
	s_mov_b32 s4, 0x7ffffffe
	v_cmp_lt_u32_e32 vcc, s4, v5
	v_cndmask_b32_e64 v7, 0, -1, vcc
	v_cmp_eq_u32_e32 vcc, 0, v6
	v_cndmask_b32_e32 v6, -1, v7, vcc
	v_add_u32_e32 v7, 0x80000001, v5
	v_cmp_ne_u32_e32 vcc, 0, v6
	v_cndmask_b32_e32 v5, v5, v7, vcc
	v_cmp_lt_u32_e32 vcc, s4, v3
	v_cndmask_b32_e64 v6, 0, -1, vcc
	v_cmp_eq_u32_e32 vcc, 0, v4
	v_cndmask_b32_e32 v4, -1, v6, vcc
	v_cmp_ne_u32_e32 vcc, 0, v4
	v_cndmask_b32_e32 v5, v3, v5, vcc
.LBB29_264:
	s_or_b64 exec, exec, s[8:9]
	s_movk_i32 s8, 0x1388
	v_mov_b32_e32 v13, 0
	s_mov_b32 s9, 0xbc8f1391
	s_mov_b32 s10, 0xbc8f
	s_brev_b32 s11, 12
	s_mov_b32 s14, 0xf800000
	v_mov_b32_e32 v3, 0x260
.LBB29_265:                             ; =>This Inner Loop Header: Depth=1
	v_mul_hi_u32 v4, v5, s9
	v_lshrrev_b32_e32 v4, 15, v4
	v_mul_u32_u24_e32 v7, 0xadc8, v4
	v_sub_u32_e32 v5, v5, v7
	v_mul_u32_u24_e32 v4, 0xd47, v4
	v_mul_lo_u32 v5, v5, s10
	v_xor_b32_e32 v7, 0x7fffffff, v4
	v_sub_u32_e32 v14, 0, v4
	v_cmp_lt_u32_e32 vcc, v5, v4
	v_cndmask_b32_e32 v4, v14, v7, vcc
	v_add_u32_e32 v4, v4, v5
	v_mul_hi_u32 v7, v4, s9
	v_lshrrev_b32_e32 v7, 15, v7
	v_mul_u32_u24_e32 v14, 0xadc8, v7
	v_add_u32_e32 v5, -1, v4
	v_sub_u32_e32 v4, v4, v14
	v_mul_u32_u24_e32 v7, 0xd47, v7
	v_mul_lo_u32 v4, v4, s10
	v_xor_b32_e32 v14, 0x7fffffff, v7
	v_sub_u32_e32 v15, 0, v7
	v_cmp_lt_u32_e32 vcc, v4, v7
	v_cndmask_b32_e32 v7, v15, v14, vcc
	v_add_u32_e32 v4, v7, v4
	v_mul_hi_u32 v14, v4, s9
	v_add_u32_e32 v7, -1, v4
	v_lshrrev_b32_e32 v14, 15, v14
	v_cvt_f32_u32_e32 v7, v7
	v_mul_u32_u24_e32 v15, 0xadc8, v14
	v_cvt_f32_u32_e32 v5, v5
	v_sub_u32_e32 v4, v4, v15
	v_mul_u32_u24_e32 v14, 0xd47, v14
	v_mul_lo_u32 v4, v4, s10
	v_xor_b32_e32 v15, 0x7fffffff, v14
	v_sub_u32_e32 v16, 0, v14
	v_cmp_lt_u32_e32 vcc, v4, v14
	v_fma_f32 v7, v7, s11, 0
	v_cndmask_b32_e32 v14, v16, v15, vcc
	v_fma_f32 v5, v5, s11, 0
	v_mul_f32_e32 v7, v7, v7
	v_add_u32_e32 v4, v14, v4
	v_fmac_f32_e32 v7, v5, v5
	v_mul_hi_u32 v14, v4, s9
	v_add_u32_e32 v5, -1, v4
	v_mul_f32_e32 v15, 0x4f800000, v7
	v_lshrrev_b32_e32 v14, 15, v14
	v_cmp_gt_f32_e32 vcc, s14, v7
	v_cvt_f32_u32_e32 v5, v5
	v_cndmask_b32_e32 v7, v7, v15, vcc
	v_mul_u32_u24_e32 v15, 0xadc8, v14
	v_sqrt_f32_e32 v16, v7
	v_sub_u32_e32 v4, v4, v15
	v_mul_u32_u24_e32 v14, 0xd47, v14
	v_mul_lo_u32 v4, v4, s10
	v_xor_b32_e32 v15, 0x7fffffff, v14
	v_sub_u32_e32 v17, 0, v14
	v_cmp_lt_u32_e64 s[4:5], v4, v14
	v_fma_f32 v22, v5, s11, 0
	v_cndmask_b32_e64 v5, v17, v15, s[4:5]
	v_add_u32_e32 v5, v5, v4
	v_add_u32_e32 v4, -1, v16
	v_add_u32_e32 v14, 1, v16
	v_add_u32_e32 v15, -1, v5
	v_fma_f32 v17, -v4, v16, v7
	v_fma_f32 v23, -v14, v16, v7
	v_cvt_f32_u32_e32 v15, v15
	v_cmp_ge_f32_e64 s[4:5], 0, v17
	v_cndmask_b32_e64 v4, v16, v4, s[4:5]
	v_cmp_lt_f32_e64 s[4:5], 0, v23
	v_cndmask_b32_e64 v4, v4, v14, s[4:5]
	v_mul_f32_e32 v14, 0x37800000, v4
	v_cndmask_b32_e32 v4, v4, v14, vcc
	v_fma_f32 v14, v15, s11, 0
	v_cmp_class_f32_e32 vcc, v7, v3
	v_cndmask_b32_e32 v4, v4, v7, vcc
	v_mul_f32_e32 v7, v14, v14
	v_add_f32_e32 v6, 1.0, v13
	v_cmp_nge_f32_e32 vcc, 1.0, v4
	v_fmac_f32_e32 v7, v22, v22
	v_cndmask_b32_e32 v4, v6, v13, vcc
	v_mul_f32_e32 v6, 0x4f800000, v7
	v_cmp_gt_f32_e32 vcc, s14, v7
	v_cndmask_b32_e32 v6, v7, v6, vcc
	v_sqrt_f32_e32 v7, v6
	s_add_i32 s8, s8, -2
	v_add_f32_e32 v13, 1.0, v4
	s_cmp_lg_u32 s8, 0
	v_add_u32_e32 v14, -1, v7
	v_add_u32_e32 v15, 1, v7
	v_fma_f32 v16, -v14, v7, v6
	v_fma_f32 v17, -v15, v7, v6
	v_cmp_ge_f32_e64 s[4:5], 0, v16
	v_cndmask_b32_e64 v7, v7, v14, s[4:5]
	v_cmp_lt_f32_e64 s[4:5], 0, v17
	v_cndmask_b32_e64 v7, v7, v15, s[4:5]
	v_mul_f32_e32 v14, 0x37800000, v7
	v_cndmask_b32_e32 v7, v7, v14, vcc
	v_cmp_class_f32_e32 vcc, v6, v3
	v_cndmask_b32_e32 v6, v7, v6, vcc
	v_cmp_nge_f32_e32 vcc, 1.0, v6
	v_cndmask_b32_e32 v13, v13, v4, vcc
	s_cbranch_scc1 .LBB29_265
; %bb.266:
	v_add_u32_e32 v4, 0x3a9800, v2
	v_cmp_ne_u32_e32 vcc, 0, v4
	v_mov_b32_e32 v5, 1
	s_and_saveexec_b64 s[8:9], vcc
	s_cbranch_execz .LBB29_288
; %bb.267:
	v_mov_b32_e32 v6, 1
	v_mov_b32_e32 v5, 0
	s_mov_b64 s[14:15], 0xbc8f
	s_mov_b64 s[10:11], 0
	v_mov_b32_e32 v7, 0
	s_brev_b32 s19, -2
	s_mov_b32 s20, 0x7ffffffe
	v_mov_b32_e32 v3, 0xfffff800
	s_movk_i32 s21, 0x401
	s_branch .LBB29_269
.LBB29_268:                             ;   in Loop: Header=BB29_269 Depth=1
	s_or_b64 exec, exec, s[16:17]
	s_mul_i32 s4, s14, s15
	s_mul_hi_u32 s5, s14, s14
	s_add_i32 s5, s5, s4
	s_add_i32 s4, s5, s4
	s_mul_i32 s5, s14, s14
	s_add_u32 s14, 0x402, s21
	s_addc_u32 s15, 0, 0
	v_add_co_u32_e32 v16, vcc, s14, v3
	s_cmp_lg_u64 vcc, 0
	v_readfirstlane_b32 s16, v16
	s_addc_u32 s14, s15, 1
	s_mul_hi_u32 s17, s16, 0x80000001
	s_mul_i32 s15, s14, 0x80000001
	s_sub_i32 s17, s17, s16
	s_add_i32 s17, s17, s15
	s_mul_i32 s23, s16, 0x80000001
	s_mul_hi_u32 s15, s16, s17
	s_mul_i32 s22, s16, s17
	s_mul_hi_u32 s16, s16, s23
	s_add_u32 s16, s16, s22
	s_addc_u32 s15, 0, s15
	s_mul_hi_u32 s24, s14, s23
	s_mul_i32 s23, s14, s23
	s_add_u32 s16, s16, s23
	s_mul_hi_u32 s22, s14, s17
	s_addc_u32 s15, s15, s24
	s_addc_u32 s16, s22, 0
	s_mul_i32 s17, s14, s17
	s_add_u32 s15, s15, s17
	s_addc_u32 s16, 0, s16
	v_add_co_u32_e32 v16, vcc, s15, v16
	s_cmp_lg_u64 vcc, 0
	s_addc_u32 s14, s14, s16
	v_readfirstlane_b32 s17, v16
	s_mul_i32 s16, s5, s14
	s_mul_hi_u32 s22, s5, s17
	s_mul_hi_u32 s15, s5, s14
	s_add_u32 s16, s22, s16
	s_addc_u32 s15, 0, s15
	s_mul_hi_u32 s23, s4, s17
	s_mul_i32 s17, s4, s17
	s_add_u32 s16, s16, s17
	s_mul_hi_u32 s22, s4, s14
	s_addc_u32 s15, s15, s23
	s_addc_u32 s16, s22, 0
	s_mul_i32 s14, s4, s14
	s_add_u32 s14, s15, s14
	s_addc_u32 s15, 0, s16
	s_mul_hi_u32 s16, s14, 0x7fffffff
	s_mul_i32 s14, s14, 0x7fffffff
	s_mul_i32 s15, s15, 0x7fffffff
	v_mov_b32_e32 v16, s14
	s_add_i32 s16, s16, s15
	v_sub_co_u32_e32 v16, vcc, s5, v16
	s_cmp_lg_u64 vcc, 0
	s_subb_u32 s4, s4, s16
	v_subrev_co_u32_e32 v17, vcc, s19, v16
	s_cmp_lg_u64 vcc, 0
	s_subb_u32 s5, s4, 0
	v_subrev_co_u32_e32 v22, vcc, s19, v17
	s_cmp_lg_u64 vcc, 0
	s_subb_u32 s14, s5, 0
	v_readfirstlane_b32 s15, v17
	s_cmp_gt_u32 s15, 0x7ffffffe
	s_cselect_b32 s16, -1, 0
	s_cmp_eq_u32 s5, 0
	s_cselect_b32 s16, s16, -1
	s_cmp_lg_u32 s16, 0
	s_cselect_b32 s5, s14, s5
	v_readfirstlane_b32 s14, v22
	v_readfirstlane_b32 s16, v16
	s_cselect_b32 s14, s14, s15
	s_cmp_gt_u32 s16, 0x7ffffffe
	s_cselect_b32 s15, -1, 0
	s_cmp_eq_u32 s4, 0
	s_cselect_b32 s15, s15, -1
	v_lshrrev_b64 v[14:15], 1, v[4:5]
	s_cmp_lg_u32 s15, 0
	v_cmp_gt_u64_e32 vcc, 2, v[4:5]
	s_cselect_b32 s15, s5, s4
	s_cselect_b32 s14, s14, s16
	s_or_b64 s[10:11], vcc, s[10:11]
	v_pk_mov_b32 v[4:5], v[14:15], v[14:15] op_sel:[0,1]
	s_andn2_b64 exec, exec, s[10:11]
	s_cbranch_execz .LBB29_287
.LBB29_269:                             ; =>This Inner Loop Header: Depth=1
	v_and_b32_e32 v14, 1, v4
	v_cmp_eq_u32_e32 vcc, 1, v14
	s_and_saveexec_b64 s[16:17], vcc
	s_cbranch_execz .LBB29_268
; %bb.270:                              ;   in Loop: Header=BB29_269 Depth=1
	v_mul_lo_u32 v14, s15, v6
	v_mul_lo_u32 v15, s14, v7
	v_mad_u64_u32 v[6:7], s[4:5], s14, v6, 0
	s_add_u32 s4, 0x402, s21
	v_add3_u32 v7, v7, v15, v14
	s_addc_u32 s5, 0, 0
	v_add_co_u32_e32 v14, vcc, s4, v3
	s_cmp_lg_u64 vcc, 0
	v_readfirstlane_b32 s22, v14
	s_addc_u32 s4, s5, 1
	s_mul_hi_u32 s23, s22, 0x80000001
	s_mul_i32 s5, s4, 0x80000001
	s_sub_i32 s23, s23, s22
	s_add_i32 s23, s23, s5
	s_mul_i32 s25, s22, 0x80000001
	s_mul_hi_u32 s5, s22, s23
	s_mul_i32 s24, s22, s23
	s_mul_hi_u32 s22, s22, s25
	s_add_u32 s22, s22, s24
	s_addc_u32 s5, 0, s5
	s_mul_hi_u32 s26, s4, s25
	s_mul_i32 s25, s4, s25
	s_add_u32 s22, s22, s25
	s_mul_hi_u32 s24, s4, s23
	s_addc_u32 s5, s5, s26
	s_addc_u32 s22, s24, 0
	s_mul_i32 s23, s4, s23
	s_add_u32 s5, s5, s23
	s_addc_u32 s22, 0, s22
	v_add_co_u32_e32 v16, vcc, s5, v14
	s_cmp_lg_u64 vcc, 0
	s_addc_u32 s22, s4, s22
	v_mad_u64_u32 v[14:15], s[4:5], v6, s22, 0
	v_mul_hi_u32 v17, v6, v16
	v_add_co_u32_e32 v22, vcc, v17, v14
	v_addc_co_u32_e32 v23, vcc, 0, v15, vcc
	v_mad_u64_u32 v[16:17], s[4:5], v7, v16, 0
	v_add_co_u32_e32 v16, vcc, v22, v16
	v_mad_u64_u32 v[14:15], s[4:5], v7, s22, 0
	v_addc_co_u32_e32 v16, vcc, v23, v17, vcc
	v_addc_co_u32_e32 v15, vcc, 0, v15, vcc
	v_add_co_u32_e32 v14, vcc, v16, v14
	v_addc_co_u32_e32 v17, vcc, 0, v15, vcc
	v_mad_u64_u32 v[14:15], s[4:5], v14, s19, 0
	v_mov_b32_e32 v16, v15
	v_mad_u64_u32 v[16:17], s[4:5], v17, s19, v[16:17]
	v_sub_co_u32_e32 v6, vcc, v6, v14
	v_subb_co_u32_e32 v7, vcc, v7, v16, vcc
	v_subrev_co_u32_e32 v14, vcc, s19, v6
	v_subbrev_co_u32_e32 v15, vcc, 0, v7, vcc
	v_subrev_co_u32_e32 v16, vcc, s19, v14
	v_subbrev_co_u32_e32 v17, vcc, 0, v15, vcc
	v_cmp_lt_u32_e32 vcc, s20, v14
	v_cndmask_b32_e64 v22, 0, -1, vcc
	v_cmp_eq_u32_e32 vcc, 0, v15
	v_cndmask_b32_e32 v22, -1, v22, vcc
	v_cmp_ne_u32_e32 vcc, 0, v22
	v_cmp_lt_u32_e64 s[4:5], s20, v6
	v_cndmask_b32_e32 v15, v15, v17, vcc
	v_cndmask_b32_e64 v17, 0, -1, s[4:5]
	v_cmp_eq_u32_e64 s[4:5], 0, v7
	v_cndmask_b32_e64 v17, -1, v17, s[4:5]
	v_cmp_ne_u32_e64 s[4:5], 0, v17
	v_cndmask_b32_e32 v14, v14, v16, vcc
	v_cndmask_b32_e64 v7, v7, v15, s[4:5]
	v_cndmask_b32_e64 v6, v6, v14, s[4:5]
	s_branch .LBB29_268
.LBB29_271:
	s_or_b64 exec, exec, s[10:11]
	s_movk_i32 s4, 0x401
	s_add_u32 s4, 0x402, s4
	v_mov_b32_e32 v5, 0xfffff800
	s_addc_u32 s5, 0, 0
	v_add_co_u32_e32 v5, vcc, s4, v5
	s_cmp_lg_u64 vcc, 0
	v_readfirstlane_b32 s10, v5
	s_addc_u32 s4, s5, 1
	s_mul_hi_u32 s11, s10, 0x80000001
	s_mul_i32 s5, s4, 0x80000001
	s_sub_i32 s11, s11, s10
	s_add_i32 s11, s11, s5
	s_mul_i32 s15, s10, 0x80000001
	s_mul_hi_u32 s5, s10, s11
	s_mul_i32 s14, s10, s11
	s_mul_hi_u32 s10, s10, s15
	s_add_u32 s10, s10, s14
	s_addc_u32 s5, 0, s5
	s_mul_hi_u32 s16, s4, s15
	s_mul_i32 s15, s4, s15
	s_add_u32 s10, s10, s15
	s_mul_hi_u32 s14, s4, s11
	s_addc_u32 s5, s5, s16
	s_addc_u32 s10, s14, 0
	s_mul_i32 s11, s4, s11
	s_add_u32 s5, s5, s11
	s_addc_u32 s10, 0, s10
	v_add_co_u32_e32 v5, vcc, s5, v5
	s_cmp_lg_u64 vcc, 0
	s_addc_u32 s10, s4, s10
	v_mad_u64_u32 v[6:7], s[4:5], v8, s10, 0
	v_mul_hi_u32 v17, v8, v5
	v_add_co_u32_e32 v17, vcc, v17, v6
	v_addc_co_u32_e32 v20, vcc, 0, v7, vcc
	v_mad_u64_u32 v[18:19], s[4:5], v9, v5, 0
	v_add_co_u32_e32 v5, vcc, v17, v18
	v_mad_u64_u32 v[6:7], s[4:5], v9, s10, 0
	v_addc_co_u32_e32 v5, vcc, v20, v19, vcc
	v_addc_co_u32_e32 v7, vcc, 0, v7, vcc
	v_add_co_u32_e32 v5, vcc, v5, v6
	s_brev_b32 s10, -2
	v_addc_co_u32_e32 v17, vcc, 0, v7, vcc
	v_mad_u64_u32 v[6:7], s[4:5], v5, s10, 0
	v_mov_b32_e32 v18, v7
	v_mad_u64_u32 v[18:19], s[4:5], v17, s10, v[18:19]
	v_sub_co_u32_e32 v5, vcc, v8, v6
	v_subb_co_u32_e32 v6, vcc, v9, v18, vcc
	v_subrev_co_u32_e32 v7, vcc, 0x7fffffff, v5
	v_subbrev_co_u32_e32 v8, vcc, 0, v6, vcc
	s_mov_b32 s4, 0x7ffffffe
	v_cmp_lt_u32_e32 vcc, s4, v7
	v_cndmask_b32_e64 v9, 0, -1, vcc
	v_cmp_eq_u32_e32 vcc, 0, v8
	v_cndmask_b32_e32 v8, -1, v9, vcc
	v_add_u32_e32 v9, 0x80000001, v7
	v_cmp_ne_u32_e32 vcc, 0, v8
	v_cndmask_b32_e32 v7, v7, v9, vcc
	v_cmp_lt_u32_e32 vcc, s4, v5
	v_cndmask_b32_e64 v8, 0, -1, vcc
	v_cmp_eq_u32_e32 vcc, 0, v6
	v_cndmask_b32_e32 v6, -1, v8, vcc
	v_cmp_ne_u32_e32 vcc, 0, v6
	v_cndmask_b32_e32 v7, v5, v7, vcc
.LBB29_272:
	s_or_b64 exec, exec, s[8:9]
	s_movk_i32 s8, 0x1388
	v_mov_b32_e32 v17, 0
	s_mov_b32 s9, 0xbc8f1391
	s_mov_b32 s10, 0xbc8f
	s_brev_b32 s11, 12
	s_mov_b32 s14, 0xf800000
	v_mov_b32_e32 v5, 0x260
.LBB29_273:                             ; =>This Inner Loop Header: Depth=1
	v_mul_hi_u32 v6, v7, s9
	v_lshrrev_b32_e32 v6, 15, v6
	v_mul_u32_u24_e32 v9, 0xadc8, v6
	v_sub_u32_e32 v7, v7, v9
	v_mul_u32_u24_e32 v6, 0xd47, v6
	v_mul_lo_u32 v7, v7, s10
	v_xor_b32_e32 v9, 0x7fffffff, v6
	v_sub_u32_e32 v18, 0, v6
	v_cmp_lt_u32_e32 vcc, v7, v6
	v_cndmask_b32_e32 v6, v18, v9, vcc
	v_add_u32_e32 v6, v6, v7
	v_mul_hi_u32 v9, v6, s9
	v_lshrrev_b32_e32 v9, 15, v9
	v_mul_u32_u24_e32 v18, 0xadc8, v9
	v_add_u32_e32 v7, -1, v6
	v_sub_u32_e32 v6, v6, v18
	v_mul_u32_u24_e32 v9, 0xd47, v9
	v_mul_lo_u32 v6, v6, s10
	v_xor_b32_e32 v18, 0x7fffffff, v9
	v_sub_u32_e32 v19, 0, v9
	v_cmp_lt_u32_e32 vcc, v6, v9
	v_cndmask_b32_e32 v9, v19, v18, vcc
	v_add_u32_e32 v6, v9, v6
	v_mul_hi_u32 v18, v6, s9
	v_add_u32_e32 v9, -1, v6
	v_lshrrev_b32_e32 v18, 15, v18
	v_cvt_f32_u32_e32 v9, v9
	v_mul_u32_u24_e32 v19, 0xadc8, v18
	v_cvt_f32_u32_e32 v7, v7
	v_sub_u32_e32 v6, v6, v19
	v_mul_u32_u24_e32 v18, 0xd47, v18
	v_mul_lo_u32 v6, v6, s10
	v_xor_b32_e32 v19, 0x7fffffff, v18
	v_sub_u32_e32 v20, 0, v18
	v_cmp_lt_u32_e32 vcc, v6, v18
	v_fma_f32 v9, v9, s11, 0
	v_cndmask_b32_e32 v18, v20, v19, vcc
	v_fma_f32 v7, v7, s11, 0
	v_mul_f32_e32 v9, v9, v9
	v_add_u32_e32 v6, v18, v6
	v_fmac_f32_e32 v9, v7, v7
	v_mul_hi_u32 v18, v6, s9
	v_add_u32_e32 v7, -1, v6
	v_mul_f32_e32 v19, 0x4f800000, v9
	v_lshrrev_b32_e32 v18, 15, v18
	v_cmp_gt_f32_e32 vcc, s14, v9
	v_cvt_f32_u32_e32 v7, v7
	v_cndmask_b32_e32 v9, v9, v19, vcc
	v_mul_u32_u24_e32 v19, 0xadc8, v18
	v_sqrt_f32_e32 v20, v9
	v_sub_u32_e32 v6, v6, v19
	v_mul_u32_u24_e32 v18, 0xd47, v18
	v_mul_lo_u32 v6, v6, s10
	v_xor_b32_e32 v19, 0x7fffffff, v18
	v_sub_u32_e32 v21, 0, v18
	v_cmp_lt_u32_e64 s[4:5], v6, v18
	v_fma_f32 v22, v7, s11, 0
	v_cndmask_b32_e64 v7, v21, v19, s[4:5]
	v_add_u32_e32 v7, v7, v6
	v_add_u32_e32 v6, -1, v20
	v_add_u32_e32 v18, 1, v20
	v_add_u32_e32 v19, -1, v7
	v_fma_f32 v21, -v6, v20, v9
	v_fma_f32 v23, -v18, v20, v9
	v_cvt_f32_u32_e32 v19, v19
	v_cmp_ge_f32_e64 s[4:5], 0, v21
	v_cndmask_b32_e64 v6, v20, v6, s[4:5]
	v_cmp_lt_f32_e64 s[4:5], 0, v23
	v_cndmask_b32_e64 v6, v6, v18, s[4:5]
	v_mul_f32_e32 v18, 0x37800000, v6
	v_cndmask_b32_e32 v6, v6, v18, vcc
	v_fma_f32 v18, v19, s11, 0
	v_cmp_class_f32_e32 vcc, v9, v5
	v_cndmask_b32_e32 v6, v6, v9, vcc
	v_mul_f32_e32 v9, v18, v18
	v_add_f32_e32 v8, 1.0, v17
	v_cmp_nge_f32_e32 vcc, 1.0, v6
	v_fmac_f32_e32 v9, v22, v22
	v_cndmask_b32_e32 v6, v8, v17, vcc
	v_mul_f32_e32 v8, 0x4f800000, v9
	v_cmp_gt_f32_e32 vcc, s14, v9
	v_cndmask_b32_e32 v8, v9, v8, vcc
	v_sqrt_f32_e32 v9, v8
	s_add_i32 s8, s8, -2
	v_add_f32_e32 v17, 1.0, v6
	s_cmp_lg_u32 s8, 0
	v_add_u32_e32 v18, -1, v9
	v_add_u32_e32 v19, 1, v9
	v_fma_f32 v20, -v18, v9, v8
	v_fma_f32 v21, -v19, v9, v8
	v_cmp_ge_f32_e64 s[4:5], 0, v20
	v_cndmask_b32_e64 v9, v9, v18, s[4:5]
	v_cmp_lt_f32_e64 s[4:5], 0, v21
	v_cndmask_b32_e64 v9, v9, v19, s[4:5]
	v_mul_f32_e32 v18, 0x37800000, v9
	v_cndmask_b32_e32 v9, v9, v18, vcc
	v_cmp_class_f32_e32 vcc, v8, v5
	v_cndmask_b32_e32 v8, v9, v8, vcc
	v_cmp_nge_f32_e32 vcc, 1.0, v8
	v_cndmask_b32_e32 v17, v17, v6, vcc
	s_cbranch_scc1 .LBB29_273
; %bb.274:
	v_add_u32_e32 v6, 0x3a9800, v4
	v_cmp_ne_u32_e32 vcc, 0, v6
	v_mov_b32_e32 v7, 1
	s_and_saveexec_b64 s[8:9], vcc
	s_cbranch_execz .LBB29_296
; %bb.275:
	v_mov_b32_e32 v8, 1
	v_mov_b32_e32 v7, 0
	s_mov_b64 s[14:15], 0xbc8f
	s_mov_b64 s[10:11], 0
	v_mov_b32_e32 v9, 0
	s_brev_b32 s19, -2
	s_mov_b32 s20, 0x7ffffffe
	v_mov_b32_e32 v5, 0xfffff800
	s_movk_i32 s21, 0x401
	s_branch .LBB29_277
.LBB29_276:                             ;   in Loop: Header=BB29_277 Depth=1
	s_or_b64 exec, exec, s[16:17]
	s_mul_i32 s4, s14, s15
	s_mul_hi_u32 s5, s14, s14
	s_add_i32 s5, s5, s4
	s_add_i32 s4, s5, s4
	s_mul_i32 s5, s14, s14
	s_add_u32 s14, 0x402, s21
	s_addc_u32 s15, 0, 0
	v_add_co_u32_e32 v20, vcc, s14, v5
	s_cmp_lg_u64 vcc, 0
	v_readfirstlane_b32 s16, v20
	s_addc_u32 s14, s15, 1
	s_mul_hi_u32 s17, s16, 0x80000001
	s_mul_i32 s15, s14, 0x80000001
	s_sub_i32 s17, s17, s16
	s_add_i32 s17, s17, s15
	s_mul_i32 s23, s16, 0x80000001
	s_mul_hi_u32 s15, s16, s17
	s_mul_i32 s22, s16, s17
	s_mul_hi_u32 s16, s16, s23
	s_add_u32 s16, s16, s22
	s_addc_u32 s15, 0, s15
	s_mul_hi_u32 s24, s14, s23
	s_mul_i32 s23, s14, s23
	s_add_u32 s16, s16, s23
	s_mul_hi_u32 s22, s14, s17
	s_addc_u32 s15, s15, s24
	s_addc_u32 s16, s22, 0
	s_mul_i32 s17, s14, s17
	s_add_u32 s15, s15, s17
	s_addc_u32 s16, 0, s16
	v_add_co_u32_e32 v20, vcc, s15, v20
	s_cmp_lg_u64 vcc, 0
	s_addc_u32 s14, s14, s16
	v_readfirstlane_b32 s17, v20
	s_mul_i32 s16, s5, s14
	s_mul_hi_u32 s22, s5, s17
	s_mul_hi_u32 s15, s5, s14
	s_add_u32 s16, s22, s16
	s_addc_u32 s15, 0, s15
	s_mul_hi_u32 s23, s4, s17
	s_mul_i32 s17, s4, s17
	s_add_u32 s16, s16, s17
	s_mul_hi_u32 s22, s4, s14
	s_addc_u32 s15, s15, s23
	s_addc_u32 s16, s22, 0
	s_mul_i32 s14, s4, s14
	s_add_u32 s14, s15, s14
	s_addc_u32 s15, 0, s16
	s_mul_hi_u32 s16, s14, 0x7fffffff
	s_mul_i32 s14, s14, 0x7fffffff
	s_mul_i32 s15, s15, 0x7fffffff
	v_mov_b32_e32 v20, s14
	s_add_i32 s16, s16, s15
	v_sub_co_u32_e32 v20, vcc, s5, v20
	s_cmp_lg_u64 vcc, 0
	s_subb_u32 s4, s4, s16
	v_subrev_co_u32_e32 v21, vcc, s19, v20
	s_cmp_lg_u64 vcc, 0
	s_subb_u32 s5, s4, 0
	v_subrev_co_u32_e32 v22, vcc, s19, v21
	s_cmp_lg_u64 vcc, 0
	s_subb_u32 s14, s5, 0
	v_readfirstlane_b32 s15, v21
	s_cmp_gt_u32 s15, 0x7ffffffe
	s_cselect_b32 s16, -1, 0
	s_cmp_eq_u32 s5, 0
	s_cselect_b32 s16, s16, -1
	s_cmp_lg_u32 s16, 0
	s_cselect_b32 s5, s14, s5
	v_readfirstlane_b32 s14, v22
	v_readfirstlane_b32 s16, v20
	s_cselect_b32 s14, s14, s15
	s_cmp_gt_u32 s16, 0x7ffffffe
	s_cselect_b32 s15, -1, 0
	s_cmp_eq_u32 s4, 0
	s_cselect_b32 s15, s15, -1
	v_lshrrev_b64 v[18:19], 1, v[6:7]
	s_cmp_lg_u32 s15, 0
	v_cmp_gt_u64_e32 vcc, 2, v[6:7]
	s_cselect_b32 s15, s5, s4
	s_cselect_b32 s14, s14, s16
	s_or_b64 s[10:11], vcc, s[10:11]
	v_pk_mov_b32 v[6:7], v[18:19], v[18:19] op_sel:[0,1]
	s_andn2_b64 exec, exec, s[10:11]
	s_cbranch_execz .LBB29_295
.LBB29_277:                             ; =>This Inner Loop Header: Depth=1
	v_and_b32_e32 v18, 1, v6
	v_cmp_eq_u32_e32 vcc, 1, v18
	s_and_saveexec_b64 s[16:17], vcc
	s_cbranch_execz .LBB29_276
; %bb.278:                              ;   in Loop: Header=BB29_277 Depth=1
	v_mul_lo_u32 v18, s15, v8
	v_mul_lo_u32 v19, s14, v9
	v_mad_u64_u32 v[8:9], s[4:5], s14, v8, 0
	s_add_u32 s4, 0x402, s21
	v_add3_u32 v9, v9, v19, v18
	s_addc_u32 s5, 0, 0
	v_add_co_u32_e32 v18, vcc, s4, v5
	s_cmp_lg_u64 vcc, 0
	v_readfirstlane_b32 s22, v18
	s_addc_u32 s4, s5, 1
	s_mul_hi_u32 s23, s22, 0x80000001
	s_mul_i32 s5, s4, 0x80000001
	s_sub_i32 s23, s23, s22
	s_add_i32 s23, s23, s5
	s_mul_i32 s25, s22, 0x80000001
	s_mul_hi_u32 s5, s22, s23
	s_mul_i32 s24, s22, s23
	s_mul_hi_u32 s22, s22, s25
	s_add_u32 s22, s22, s24
	s_addc_u32 s5, 0, s5
	s_mul_hi_u32 s26, s4, s25
	s_mul_i32 s25, s4, s25
	s_add_u32 s22, s22, s25
	s_mul_hi_u32 s24, s4, s23
	s_addc_u32 s5, s5, s26
	s_addc_u32 s22, s24, 0
	s_mul_i32 s23, s4, s23
	s_add_u32 s5, s5, s23
	s_addc_u32 s22, 0, s22
	v_add_co_u32_e32 v20, vcc, s5, v18
	s_cmp_lg_u64 vcc, 0
	s_addc_u32 s22, s4, s22
	v_mad_u64_u32 v[18:19], s[4:5], v8, s22, 0
	v_mul_hi_u32 v21, v8, v20
	v_add_co_u32_e32 v22, vcc, v21, v18
	v_addc_co_u32_e32 v23, vcc, 0, v19, vcc
	v_mad_u64_u32 v[20:21], s[4:5], v9, v20, 0
	v_add_co_u32_e32 v20, vcc, v22, v20
	v_mad_u64_u32 v[18:19], s[4:5], v9, s22, 0
	v_addc_co_u32_e32 v20, vcc, v23, v21, vcc
	v_addc_co_u32_e32 v19, vcc, 0, v19, vcc
	v_add_co_u32_e32 v18, vcc, v20, v18
	v_addc_co_u32_e32 v21, vcc, 0, v19, vcc
	v_mad_u64_u32 v[18:19], s[4:5], v18, s19, 0
	v_mov_b32_e32 v20, v19
	v_mad_u64_u32 v[20:21], s[4:5], v21, s19, v[20:21]
	v_sub_co_u32_e32 v8, vcc, v8, v18
	v_subb_co_u32_e32 v9, vcc, v9, v20, vcc
	v_subrev_co_u32_e32 v18, vcc, s19, v8
	v_subbrev_co_u32_e32 v19, vcc, 0, v9, vcc
	v_subrev_co_u32_e32 v20, vcc, s19, v18
	v_subbrev_co_u32_e32 v21, vcc, 0, v19, vcc
	v_cmp_lt_u32_e32 vcc, s20, v18
	v_cndmask_b32_e64 v22, 0, -1, vcc
	v_cmp_eq_u32_e32 vcc, 0, v19
	v_cndmask_b32_e32 v22, -1, v22, vcc
	v_cmp_ne_u32_e32 vcc, 0, v22
	v_cmp_lt_u32_e64 s[4:5], s20, v8
	v_cndmask_b32_e32 v19, v19, v21, vcc
	v_cndmask_b32_e64 v21, 0, -1, s[4:5]
	v_cmp_eq_u32_e64 s[4:5], 0, v9
	v_cndmask_b32_e64 v21, -1, v21, s[4:5]
	v_cmp_ne_u32_e64 s[4:5], 0, v21
	v_cndmask_b32_e32 v18, v18, v20, vcc
	v_cndmask_b32_e64 v9, v9, v19, s[4:5]
	v_cndmask_b32_e64 v8, v8, v18, s[4:5]
	s_branch .LBB29_276
.LBB29_279:
	s_or_b64 exec, exec, s[10:11]
	s_movk_i32 s4, 0x401
	s_add_u32 s4, 0x402, s4
	v_mov_b32_e32 v3, 0xfffff800
	s_addc_u32 s5, 0, 0
	v_add_co_u32_e32 v3, vcc, s4, v3
	s_cmp_lg_u64 vcc, 0
	v_readfirstlane_b32 s10, v3
	s_addc_u32 s4, s5, 1
	s_mul_hi_u32 s11, s10, 0x80000001
	s_mul_i32 s5, s4, 0x80000001
	s_sub_i32 s11, s11, s10
	s_add_i32 s11, s11, s5
	s_mul_i32 s15, s10, 0x80000001
	s_mul_hi_u32 s5, s10, s11
	s_mul_i32 s14, s10, s11
	s_mul_hi_u32 s10, s10, s15
	s_add_u32 s10, s10, s14
	s_addc_u32 s5, 0, s5
	s_mul_hi_u32 s16, s4, s15
	s_mul_i32 s15, s4, s15
	s_add_u32 s10, s10, s15
	s_mul_hi_u32 s14, s4, s11
	s_addc_u32 s5, s5, s16
	s_addc_u32 s10, s14, 0
	s_mul_i32 s11, s4, s11
	s_add_u32 s5, s5, s11
	s_addc_u32 s10, 0, s10
	v_add_co_u32_e32 v3, vcc, s5, v3
	s_cmp_lg_u64 vcc, 0
	s_addc_u32 s10, s4, s10
	v_mad_u64_u32 v[4:5], s[4:5], v6, s10, 0
	v_mul_hi_u32 v20, v6, v3
	v_add_co_u32_e32 v22, vcc, v20, v4
	v_addc_co_u32_e32 v23, vcc, 0, v5, vcc
	v_mad_u64_u32 v[20:21], s[4:5], v7, v3, 0
	v_add_co_u32_e32 v3, vcc, v22, v20
	v_mad_u64_u32 v[4:5], s[4:5], v7, s10, 0
	v_addc_co_u32_e32 v3, vcc, v23, v21, vcc
	v_addc_co_u32_e32 v5, vcc, 0, v5, vcc
	v_add_co_u32_e32 v3, vcc, v3, v4
	s_brev_b32 s10, -2
	v_addc_co_u32_e32 v21, vcc, 0, v5, vcc
	v_mad_u64_u32 v[4:5], s[4:5], v3, s10, 0
	v_mov_b32_e32 v20, v5
	v_mad_u64_u32 v[20:21], s[4:5], v21, s10, v[20:21]
	v_sub_co_u32_e32 v3, vcc, v6, v4
	v_subb_co_u32_e32 v4, vcc, v7, v20, vcc
	v_subrev_co_u32_e32 v5, vcc, 0x7fffffff, v3
	v_subbrev_co_u32_e32 v6, vcc, 0, v4, vcc
	s_mov_b32 s4, 0x7ffffffe
	v_cmp_lt_u32_e32 vcc, s4, v5
	v_cndmask_b32_e64 v7, 0, -1, vcc
	v_cmp_eq_u32_e32 vcc, 0, v6
	v_cndmask_b32_e32 v6, -1, v7, vcc
	v_add_u32_e32 v7, 0x80000001, v5
	v_cmp_ne_u32_e32 vcc, 0, v6
	v_cndmask_b32_e32 v5, v5, v7, vcc
	v_cmp_lt_u32_e32 vcc, s4, v3
	v_cndmask_b32_e64 v6, 0, -1, vcc
	v_cmp_eq_u32_e32 vcc, 0, v4
	v_cndmask_b32_e32 v4, -1, v6, vcc
	v_cmp_ne_u32_e32 vcc, 0, v4
	v_cndmask_b32_e32 v5, v3, v5, vcc
.LBB29_280:
	s_or_b64 exec, exec, s[8:9]
	s_movk_i32 s8, 0x1388
	v_mov_b32_e32 v6, 0
	s_mov_b32 s9, 0xbc8f1391
	s_mov_b32 s10, 0xbc8f
	s_brev_b32 s11, 12
	s_mov_b32 s14, 0xf800000
	v_mov_b32_e32 v3, 0x260
.LBB29_281:                             ; =>This Inner Loop Header: Depth=1
	v_mul_hi_u32 v4, v5, s9
	v_lshrrev_b32_e32 v4, 15, v4
	v_mul_u32_u24_e32 v20, 0xadc8, v4
	v_sub_u32_e32 v5, v5, v20
	v_mul_u32_u24_e32 v4, 0xd47, v4
	v_mul_lo_u32 v5, v5, s10
	v_xor_b32_e32 v20, 0x7fffffff, v4
	v_sub_u32_e32 v21, 0, v4
	v_cmp_lt_u32_e32 vcc, v5, v4
	v_cndmask_b32_e32 v4, v21, v20, vcc
	v_add_u32_e32 v4, v4, v5
	v_mul_hi_u32 v20, v4, s9
	v_lshrrev_b32_e32 v20, 15, v20
	v_mul_u32_u24_e32 v21, 0xadc8, v20
	v_add_u32_e32 v5, -1, v4
	v_sub_u32_e32 v4, v4, v21
	v_mul_u32_u24_e32 v20, 0xd47, v20
	v_mul_lo_u32 v4, v4, s10
	v_xor_b32_e32 v21, 0x7fffffff, v20
	v_sub_u32_e32 v22, 0, v20
	v_cmp_lt_u32_e32 vcc, v4, v20
	v_cndmask_b32_e32 v20, v22, v21, vcc
	v_add_u32_e32 v4, v20, v4
	v_mul_hi_u32 v21, v4, s9
	v_add_u32_e32 v20, -1, v4
	v_lshrrev_b32_e32 v21, 15, v21
	v_cvt_f32_u32_e32 v20, v20
	v_mul_u32_u24_e32 v22, 0xadc8, v21
	v_cvt_f32_u32_e32 v5, v5
	v_sub_u32_e32 v4, v4, v22
	v_mul_u32_u24_e32 v21, 0xd47, v21
	v_mul_lo_u32 v4, v4, s10
	v_xor_b32_e32 v22, 0x7fffffff, v21
	v_sub_u32_e32 v23, 0, v21
	v_cmp_lt_u32_e32 vcc, v4, v21
	v_fma_f32 v20, v20, s11, 0
	v_cndmask_b32_e32 v21, v23, v22, vcc
	v_fma_f32 v5, v5, s11, 0
	v_mul_f32_e32 v20, v20, v20
	v_add_u32_e32 v4, v21, v4
	v_fmac_f32_e32 v20, v5, v5
	v_mul_hi_u32 v21, v4, s9
	v_add_u32_e32 v5, -1, v4
	v_mul_f32_e32 v22, 0x4f800000, v20
	v_lshrrev_b32_e32 v21, 15, v21
	v_cmp_gt_f32_e32 vcc, s14, v20
	v_cvt_f32_u32_e32 v5, v5
	v_cndmask_b32_e32 v20, v20, v22, vcc
	v_mul_u32_u24_e32 v22, 0xadc8, v21
	v_sqrt_f32_e32 v23, v20
	v_sub_u32_e32 v4, v4, v22
	v_mul_u32_u24_e32 v21, 0xd47, v21
	v_mul_lo_u32 v4, v4, s10
	v_xor_b32_e32 v22, 0x7fffffff, v21
	v_sub_u32_e32 v24, 0, v21
	v_cmp_lt_u32_e64 s[4:5], v4, v21
	v_fma_f32 v25, v5, s11, 0
	v_cndmask_b32_e64 v5, v24, v22, s[4:5]
	v_add_u32_e32 v5, v5, v4
	v_add_u32_e32 v4, -1, v23
	v_add_u32_e32 v21, 1, v23
	v_add_u32_e32 v22, -1, v5
	v_fma_f32 v24, -v4, v23, v20
	v_fma_f32 v26, -v21, v23, v20
	v_cvt_f32_u32_e32 v22, v22
	v_cmp_ge_f32_e64 s[4:5], 0, v24
	v_cndmask_b32_e64 v4, v23, v4, s[4:5]
	v_cmp_lt_f32_e64 s[4:5], 0, v26
	v_cndmask_b32_e64 v4, v4, v21, s[4:5]
	v_mul_f32_e32 v21, 0x37800000, v4
	v_cndmask_b32_e32 v4, v4, v21, vcc
	v_fma_f32 v21, v22, s11, 0
	v_cmp_class_f32_e32 vcc, v20, v3
	v_cndmask_b32_e32 v4, v4, v20, vcc
	v_mul_f32_e32 v20, v21, v21
	v_add_f32_e32 v7, 1.0, v6
	v_cmp_nge_f32_e32 vcc, 1.0, v4
	v_fmac_f32_e32 v20, v25, v25
	v_cndmask_b32_e32 v4, v7, v6, vcc
	v_mul_f32_e32 v6, 0x4f800000, v20
	v_cmp_gt_f32_e32 vcc, s14, v20
	v_cndmask_b32_e32 v6, v20, v6, vcc
	v_sqrt_f32_e32 v20, v6
	s_add_i32 s8, s8, -2
	v_add_f32_e32 v7, 1.0, v4
	s_cmp_lg_u32 s8, 0
	v_add_u32_e32 v21, -1, v20
	v_add_u32_e32 v22, 1, v20
	v_fma_f32 v23, -v21, v20, v6
	v_fma_f32 v24, -v22, v20, v6
	v_cmp_ge_f32_e64 s[4:5], 0, v23
	v_cndmask_b32_e64 v20, v20, v21, s[4:5]
	v_cmp_lt_f32_e64 s[4:5], 0, v24
	v_cndmask_b32_e64 v20, v20, v22, s[4:5]
	v_mul_f32_e32 v21, 0x37800000, v20
	v_cndmask_b32_e32 v20, v20, v21, vcc
	v_cmp_class_f32_e32 vcc, v6, v3
	v_cndmask_b32_e32 v6, v20, v6, vcc
	v_cmp_nge_f32_e32 vcc, 1.0, v6
	v_cndmask_b32_e32 v6, v7, v4, vcc
	s_cbranch_scc1 .LBB29_281
; %bb.282:
	v_add_u32_e32 v2, 0x445c00, v2
	v_cmp_ne_u32_e32 vcc, 0, v2
	v_mov_b32_e32 v4, 1
	s_and_saveexec_b64 s[8:9], vcc
	s_cbranch_execz .LBB29_304
; %bb.283:
	v_mov_b32_e32 v4, 1
	v_mov_b32_e32 v3, 0
	s_mov_b64 s[14:15], 0xbc8f
	s_mov_b64 s[10:11], 0
	v_mov_b32_e32 v5, 0
	s_brev_b32 s19, -2
	s_mov_b32 s20, 0x7ffffffe
	v_mov_b32_e32 v7, 0xfffff800
	s_movk_i32 s21, 0x401
	s_branch .LBB29_285
.LBB29_284:                             ;   in Loop: Header=BB29_285 Depth=1
	s_or_b64 exec, exec, s[16:17]
	s_mul_i32 s4, s14, s15
	s_mul_hi_u32 s5, s14, s14
	s_add_i32 s5, s5, s4
	s_add_i32 s4, s5, s4
	s_mul_i32 s5, s14, s14
	s_add_u32 s14, 0x402, s21
	s_addc_u32 s15, 0, 0
	v_add_co_u32_e32 v22, vcc, s14, v7
	s_cmp_lg_u64 vcc, 0
	v_readfirstlane_b32 s16, v22
	s_addc_u32 s14, s15, 1
	s_mul_hi_u32 s17, s16, 0x80000001
	s_mul_i32 s15, s14, 0x80000001
	s_sub_i32 s17, s17, s16
	s_add_i32 s17, s17, s15
	s_mul_i32 s25, s16, 0x80000001
	s_mul_hi_u32 s15, s16, s17
	s_mul_i32 s24, s16, s17
	s_mul_hi_u32 s16, s16, s25
	s_add_u32 s16, s16, s24
	s_addc_u32 s15, 0, s15
	s_mul_hi_u32 s26, s14, s25
	s_mul_i32 s25, s14, s25
	s_add_u32 s16, s16, s25
	s_mul_hi_u32 s24, s14, s17
	s_addc_u32 s15, s15, s26
	s_addc_u32 s16, s24, 0
	s_mul_i32 s17, s14, s17
	s_add_u32 s15, s15, s17
	s_addc_u32 s16, 0, s16
	v_add_co_u32_e32 v22, vcc, s15, v22
	s_cmp_lg_u64 vcc, 0
	s_addc_u32 s14, s14, s16
	v_readfirstlane_b32 s17, v22
	s_mul_i32 s16, s5, s14
	s_mul_hi_u32 s24, s5, s17
	s_mul_hi_u32 s15, s5, s14
	s_add_u32 s16, s24, s16
	s_addc_u32 s15, 0, s15
	s_mul_hi_u32 s25, s4, s17
	s_mul_i32 s17, s4, s17
	s_add_u32 s16, s16, s17
	s_mul_hi_u32 s24, s4, s14
	s_addc_u32 s15, s15, s25
	s_addc_u32 s16, s24, 0
	s_mul_i32 s14, s4, s14
	s_add_u32 s14, s15, s14
	s_addc_u32 s15, 0, s16
	s_mul_hi_u32 s16, s14, 0x7fffffff
	s_mul_i32 s14, s14, 0x7fffffff
	s_mul_i32 s15, s15, 0x7fffffff
	v_mov_b32_e32 v22, s14
	s_add_i32 s16, s16, s15
	v_sub_co_u32_e32 v22, vcc, s5, v22
	s_cmp_lg_u64 vcc, 0
	s_subb_u32 s4, s4, s16
	v_subrev_co_u32_e32 v23, vcc, s19, v22
	s_cmp_lg_u64 vcc, 0
	s_subb_u32 s5, s4, 0
	v_subrev_co_u32_e32 v24, vcc, s19, v23
	s_cmp_lg_u64 vcc, 0
	s_subb_u32 s14, s5, 0
	v_readfirstlane_b32 s15, v23
	s_cmp_gt_u32 s15, 0x7ffffffe
	s_cselect_b32 s16, -1, 0
	s_cmp_eq_u32 s5, 0
	s_cselect_b32 s16, s16, -1
	s_cmp_lg_u32 s16, 0
	s_cselect_b32 s5, s14, s5
	v_readfirstlane_b32 s14, v24
	v_readfirstlane_b32 s16, v22
	s_cselect_b32 s14, s14, s15
	s_cmp_gt_u32 s16, 0x7ffffffe
	s_cselect_b32 s15, -1, 0
	s_cmp_eq_u32 s4, 0
	s_cselect_b32 s15, s15, -1
	v_lshrrev_b64 v[20:21], 1, v[2:3]
	s_cmp_lg_u32 s15, 0
	v_cmp_gt_u64_e32 vcc, 2, v[2:3]
	s_cselect_b32 s15, s5, s4
	s_cselect_b32 s14, s14, s16
	s_or_b64 s[10:11], vcc, s[10:11]
	v_pk_mov_b32 v[2:3], v[20:21], v[20:21] op_sel:[0,1]
	s_andn2_b64 exec, exec, s[10:11]
	s_cbranch_execz .LBB29_303
.LBB29_285:                             ; =>This Inner Loop Header: Depth=1
	v_and_b32_e32 v20, 1, v2
	v_cmp_eq_u32_e32 vcc, 1, v20
	s_and_saveexec_b64 s[16:17], vcc
	s_cbranch_execz .LBB29_284
; %bb.286:                              ;   in Loop: Header=BB29_285 Depth=1
	v_mul_lo_u32 v20, s15, v4
	v_mul_lo_u32 v21, s14, v5
	v_mad_u64_u32 v[4:5], s[4:5], s14, v4, 0
	s_add_u32 s4, 0x402, s21
	v_add3_u32 v5, v5, v21, v20
	s_addc_u32 s5, 0, 0
	v_add_co_u32_e32 v20, vcc, s4, v7
	s_cmp_lg_u64 vcc, 0
	v_readfirstlane_b32 s24, v20
	s_addc_u32 s4, s5, 1
	s_mul_hi_u32 s25, s24, 0x80000001
	s_mul_i32 s5, s4, 0x80000001
	s_sub_i32 s25, s25, s24
	s_add_i32 s25, s25, s5
	s_mul_i32 s27, s24, 0x80000001
	s_mul_hi_u32 s5, s24, s25
	s_mul_i32 s26, s24, s25
	s_mul_hi_u32 s24, s24, s27
	s_add_u32 s24, s24, s26
	s_addc_u32 s5, 0, s5
	s_mul_hi_u32 s28, s4, s27
	s_mul_i32 s27, s4, s27
	s_add_u32 s24, s24, s27
	s_mul_hi_u32 s26, s4, s25
	s_addc_u32 s5, s5, s28
	s_addc_u32 s24, s26, 0
	s_mul_i32 s25, s4, s25
	s_add_u32 s5, s5, s25
	s_addc_u32 s24, 0, s24
	v_add_co_u32_e32 v22, vcc, s5, v20
	s_cmp_lg_u64 vcc, 0
	s_addc_u32 s24, s4, s24
	v_mad_u64_u32 v[20:21], s[4:5], v4, s24, 0
	v_mul_hi_u32 v23, v4, v22
	v_add_co_u32_e32 v24, vcc, v23, v20
	v_addc_co_u32_e32 v25, vcc, 0, v21, vcc
	v_mad_u64_u32 v[22:23], s[4:5], v5, v22, 0
	v_add_co_u32_e32 v22, vcc, v24, v22
	v_mad_u64_u32 v[20:21], s[4:5], v5, s24, 0
	v_addc_co_u32_e32 v22, vcc, v25, v23, vcc
	v_addc_co_u32_e32 v21, vcc, 0, v21, vcc
	v_add_co_u32_e32 v20, vcc, v22, v20
	v_addc_co_u32_e32 v23, vcc, 0, v21, vcc
	v_mad_u64_u32 v[20:21], s[4:5], v20, s19, 0
	v_mov_b32_e32 v22, v21
	v_mad_u64_u32 v[22:23], s[4:5], v23, s19, v[22:23]
	v_sub_co_u32_e32 v4, vcc, v4, v20
	v_subb_co_u32_e32 v5, vcc, v5, v22, vcc
	v_subrev_co_u32_e32 v20, vcc, s19, v4
	v_subbrev_co_u32_e32 v21, vcc, 0, v5, vcc
	v_subrev_co_u32_e32 v22, vcc, s19, v20
	v_subbrev_co_u32_e32 v23, vcc, 0, v21, vcc
	v_cmp_lt_u32_e32 vcc, s20, v20
	v_cndmask_b32_e64 v24, 0, -1, vcc
	v_cmp_eq_u32_e32 vcc, 0, v21
	v_cndmask_b32_e32 v24, -1, v24, vcc
	v_cmp_ne_u32_e32 vcc, 0, v24
	v_cmp_lt_u32_e64 s[4:5], s20, v4
	v_cndmask_b32_e32 v21, v21, v23, vcc
	v_cndmask_b32_e64 v23, 0, -1, s[4:5]
	v_cmp_eq_u32_e64 s[4:5], 0, v5
	v_cndmask_b32_e64 v23, -1, v23, s[4:5]
	v_cmp_ne_u32_e64 s[4:5], 0, v23
	v_cndmask_b32_e32 v20, v20, v22, vcc
	v_cndmask_b32_e64 v5, v5, v21, s[4:5]
	v_cndmask_b32_e64 v4, v4, v20, s[4:5]
	s_branch .LBB29_284
.LBB29_287:
	s_or_b64 exec, exec, s[10:11]
	s_movk_i32 s4, 0x401
	s_add_u32 s4, 0x402, s4
	v_mov_b32_e32 v3, 0xfffff800
	s_addc_u32 s5, 0, 0
	v_add_co_u32_e32 v3, vcc, s4, v3
	s_cmp_lg_u64 vcc, 0
	v_readfirstlane_b32 s10, v3
	s_addc_u32 s4, s5, 1
	s_mul_hi_u32 s11, s10, 0x80000001
	s_mul_i32 s5, s4, 0x80000001
	s_sub_i32 s11, s11, s10
	s_add_i32 s11, s11, s5
	s_mul_i32 s15, s10, 0x80000001
	s_mul_hi_u32 s5, s10, s11
	s_mul_i32 s14, s10, s11
	s_mul_hi_u32 s10, s10, s15
	s_add_u32 s10, s10, s14
	s_addc_u32 s5, 0, s5
	s_mul_hi_u32 s16, s4, s15
	s_mul_i32 s15, s4, s15
	s_add_u32 s10, s10, s15
	s_mul_hi_u32 s14, s4, s11
	s_addc_u32 s5, s5, s16
	s_addc_u32 s10, s14, 0
	s_mul_i32 s11, s4, s11
	s_add_u32 s5, s5, s11
	s_addc_u32 s10, 0, s10
	v_add_co_u32_e32 v3, vcc, s5, v3
	s_cmp_lg_u64 vcc, 0
	s_addc_u32 s10, s4, s10
	v_mad_u64_u32 v[4:5], s[4:5], v6, s10, 0
	v_mul_hi_u32 v14, v6, v3
	v_add_co_u32_e32 v16, vcc, v14, v4
	v_addc_co_u32_e32 v17, vcc, 0, v5, vcc
	v_mad_u64_u32 v[14:15], s[4:5], v7, v3, 0
	v_add_co_u32_e32 v3, vcc, v16, v14
	v_mad_u64_u32 v[4:5], s[4:5], v7, s10, 0
	v_addc_co_u32_e32 v3, vcc, v17, v15, vcc
	v_addc_co_u32_e32 v5, vcc, 0, v5, vcc
	v_add_co_u32_e32 v3, vcc, v3, v4
	s_brev_b32 s10, -2
	v_addc_co_u32_e32 v15, vcc, 0, v5, vcc
	v_mad_u64_u32 v[4:5], s[4:5], v3, s10, 0
	v_mov_b32_e32 v14, v5
	v_mad_u64_u32 v[14:15], s[4:5], v15, s10, v[14:15]
	v_sub_co_u32_e32 v3, vcc, v6, v4
	v_subb_co_u32_e32 v4, vcc, v7, v14, vcc
	v_subrev_co_u32_e32 v5, vcc, 0x7fffffff, v3
	v_subbrev_co_u32_e32 v6, vcc, 0, v4, vcc
	s_mov_b32 s4, 0x7ffffffe
	v_cmp_lt_u32_e32 vcc, s4, v5
	v_cndmask_b32_e64 v7, 0, -1, vcc
	v_cmp_eq_u32_e32 vcc, 0, v6
	v_cndmask_b32_e32 v6, -1, v7, vcc
	v_add_u32_e32 v7, 0x80000001, v5
	v_cmp_ne_u32_e32 vcc, 0, v6
	v_cndmask_b32_e32 v5, v5, v7, vcc
	v_cmp_lt_u32_e32 vcc, s4, v3
	v_cndmask_b32_e64 v6, 0, -1, vcc
	v_cmp_eq_u32_e32 vcc, 0, v4
	v_cndmask_b32_e32 v4, -1, v6, vcc
	v_cmp_ne_u32_e32 vcc, 0, v4
	v_cndmask_b32_e32 v5, v3, v5, vcc
.LBB29_288:
	s_or_b64 exec, exec, s[8:9]
	s_movk_i32 s8, 0x1388
	v_mov_b32_e32 v14, 0
	s_mov_b32 s9, 0xbc8f1391
	s_mov_b32 s10, 0xbc8f
	s_brev_b32 s11, 12
	s_mov_b32 s14, 0xf800000
	v_mov_b32_e32 v3, 0x260
.LBB29_289:                             ; =>This Inner Loop Header: Depth=1
	v_mul_hi_u32 v4, v5, s9
	v_lshrrev_b32_e32 v4, 15, v4
	v_mul_u32_u24_e32 v7, 0xadc8, v4
	v_sub_u32_e32 v5, v5, v7
	v_mul_u32_u24_e32 v4, 0xd47, v4
	v_mul_lo_u32 v5, v5, s10
	v_xor_b32_e32 v7, 0x7fffffff, v4
	v_sub_u32_e32 v15, 0, v4
	v_cmp_lt_u32_e32 vcc, v5, v4
	v_cndmask_b32_e32 v4, v15, v7, vcc
	v_add_u32_e32 v4, v4, v5
	v_mul_hi_u32 v7, v4, s9
	v_lshrrev_b32_e32 v7, 15, v7
	v_mul_u32_u24_e32 v15, 0xadc8, v7
	v_add_u32_e32 v5, -1, v4
	v_sub_u32_e32 v4, v4, v15
	v_mul_u32_u24_e32 v7, 0xd47, v7
	v_mul_lo_u32 v4, v4, s10
	v_xor_b32_e32 v15, 0x7fffffff, v7
	v_sub_u32_e32 v16, 0, v7
	v_cmp_lt_u32_e32 vcc, v4, v7
	v_cndmask_b32_e32 v7, v16, v15, vcc
	v_add_u32_e32 v4, v7, v4
	v_mul_hi_u32 v15, v4, s9
	v_add_u32_e32 v7, -1, v4
	v_lshrrev_b32_e32 v15, 15, v15
	v_cvt_f32_u32_e32 v7, v7
	v_mul_u32_u24_e32 v16, 0xadc8, v15
	v_cvt_f32_u32_e32 v5, v5
	v_sub_u32_e32 v4, v4, v16
	v_mul_u32_u24_e32 v15, 0xd47, v15
	v_mul_lo_u32 v4, v4, s10
	v_xor_b32_e32 v16, 0x7fffffff, v15
	v_sub_u32_e32 v17, 0, v15
	v_cmp_lt_u32_e32 vcc, v4, v15
	v_fma_f32 v7, v7, s11, 0
	v_cndmask_b32_e32 v15, v17, v16, vcc
	v_fma_f32 v5, v5, s11, 0
	v_mul_f32_e32 v7, v7, v7
	v_add_u32_e32 v4, v15, v4
	v_fmac_f32_e32 v7, v5, v5
	v_mul_hi_u32 v15, v4, s9
	v_add_u32_e32 v5, -1, v4
	v_mul_f32_e32 v16, 0x4f800000, v7
	v_lshrrev_b32_e32 v15, 15, v15
	v_cmp_gt_f32_e32 vcc, s14, v7
	v_cvt_f32_u32_e32 v5, v5
	v_cndmask_b32_e32 v7, v7, v16, vcc
	v_mul_u32_u24_e32 v16, 0xadc8, v15
	v_sqrt_f32_e32 v17, v7
	v_sub_u32_e32 v4, v4, v16
	v_mul_u32_u24_e32 v15, 0xd47, v15
	v_mul_lo_u32 v4, v4, s10
	v_xor_b32_e32 v16, 0x7fffffff, v15
	v_sub_u32_e32 v22, 0, v15
	v_cmp_lt_u32_e64 s[4:5], v4, v15
	v_fma_f32 v23, v5, s11, 0
	v_cndmask_b32_e64 v5, v22, v16, s[4:5]
	v_add_u32_e32 v5, v5, v4
	v_add_u32_e32 v4, -1, v17
	v_add_u32_e32 v15, 1, v17
	v_add_u32_e32 v16, -1, v5
	v_fma_f32 v22, -v4, v17, v7
	v_fma_f32 v24, -v15, v17, v7
	v_cvt_f32_u32_e32 v16, v16
	v_cmp_ge_f32_e64 s[4:5], 0, v22
	v_cndmask_b32_e64 v4, v17, v4, s[4:5]
	v_cmp_lt_f32_e64 s[4:5], 0, v24
	v_cndmask_b32_e64 v4, v4, v15, s[4:5]
	v_mul_f32_e32 v15, 0x37800000, v4
	v_cndmask_b32_e32 v4, v4, v15, vcc
	v_fma_f32 v15, v16, s11, 0
	v_cmp_class_f32_e32 vcc, v7, v3
	v_cndmask_b32_e32 v4, v4, v7, vcc
	v_mul_f32_e32 v7, v15, v15
	v_add_f32_e32 v6, 1.0, v14
	v_cmp_nge_f32_e32 vcc, 1.0, v4
	v_fmac_f32_e32 v7, v23, v23
	v_cndmask_b32_e32 v4, v6, v14, vcc
	v_mul_f32_e32 v6, 0x4f800000, v7
	v_cmp_gt_f32_e32 vcc, s14, v7
	v_cndmask_b32_e32 v6, v7, v6, vcc
	v_sqrt_f32_e32 v7, v6
	s_add_i32 s8, s8, -2
	v_add_f32_e32 v14, 1.0, v4
	s_cmp_lg_u32 s8, 0
	v_add_u32_e32 v15, -1, v7
	v_add_u32_e32 v16, 1, v7
	v_fma_f32 v17, -v15, v7, v6
	v_fma_f32 v22, -v16, v7, v6
	v_cmp_ge_f32_e64 s[4:5], 0, v17
	v_cndmask_b32_e64 v7, v7, v15, s[4:5]
	v_cmp_lt_f32_e64 s[4:5], 0, v22
	v_cndmask_b32_e64 v7, v7, v16, s[4:5]
	v_mul_f32_e32 v15, 0x37800000, v7
	v_cndmask_b32_e32 v7, v7, v15, vcc
	v_cmp_class_f32_e32 vcc, v6, v3
	v_cndmask_b32_e32 v6, v7, v6, vcc
	v_cmp_nge_f32_e32 vcc, 1.0, v6
	v_cndmask_b32_e32 v14, v14, v4, vcc
	s_cbranch_scc1 .LBB29_289
; %bb.290:
	v_add_u32_e32 v4, 0x445c00, v2
	v_cmp_ne_u32_e32 vcc, 0, v4
	v_mov_b32_e32 v5, 1
	s_and_saveexec_b64 s[8:9], vcc
	s_cbranch_execz .LBB29_318
; %bb.291:
	v_mov_b32_e32 v6, 1
	v_mov_b32_e32 v5, 0
	s_mov_b64 s[14:15], 0xbc8f
	s_mov_b64 s[10:11], 0
	v_mov_b32_e32 v7, 0
	s_brev_b32 s19, -2
	s_mov_b32 s20, 0x7ffffffe
	v_mov_b32_e32 v3, 0xfffff800
	s_movk_i32 s21, 0x401
	s_branch .LBB29_293
.LBB29_292:                             ;   in Loop: Header=BB29_293 Depth=1
	s_or_b64 exec, exec, s[16:17]
	s_mul_i32 s4, s14, s15
	s_mul_hi_u32 s5, s14, s14
	s_add_i32 s5, s5, s4
	s_add_i32 s4, s5, s4
	s_mul_i32 s5, s14, s14
	s_add_u32 s14, 0x402, s21
	s_addc_u32 s15, 0, 0
	v_add_co_u32_e32 v15, vcc, s14, v3
	s_cmp_lg_u64 vcc, 0
	v_readfirstlane_b32 s16, v15
	s_addc_u32 s14, s15, 1
	s_mul_hi_u32 s17, s16, 0x80000001
	s_mul_i32 s15, s14, 0x80000001
	s_sub_i32 s17, s17, s16
	s_add_i32 s17, s17, s15
	s_mul_i32 s23, s16, 0x80000001
	s_mul_hi_u32 s15, s16, s17
	s_mul_i32 s22, s16, s17
	s_mul_hi_u32 s16, s16, s23
	s_add_u32 s16, s16, s22
	s_addc_u32 s15, 0, s15
	s_mul_hi_u32 s24, s14, s23
	s_mul_i32 s23, s14, s23
	s_add_u32 s16, s16, s23
	s_mul_hi_u32 s22, s14, s17
	s_addc_u32 s15, s15, s24
	s_addc_u32 s16, s22, 0
	s_mul_i32 s17, s14, s17
	s_add_u32 s15, s15, s17
	s_addc_u32 s16, 0, s16
	v_add_co_u32_e32 v15, vcc, s15, v15
	s_cmp_lg_u64 vcc, 0
	s_addc_u32 s14, s14, s16
	v_readfirstlane_b32 s17, v15
	s_mul_i32 s16, s5, s14
	s_mul_hi_u32 s22, s5, s17
	s_mul_hi_u32 s15, s5, s14
	s_add_u32 s16, s22, s16
	s_addc_u32 s15, 0, s15
	s_mul_hi_u32 s23, s4, s17
	s_mul_i32 s17, s4, s17
	s_add_u32 s16, s16, s17
	s_mul_hi_u32 s22, s4, s14
	s_addc_u32 s15, s15, s23
	s_addc_u32 s16, s22, 0
	s_mul_i32 s14, s4, s14
	s_add_u32 s14, s15, s14
	s_addc_u32 s15, 0, s16
	s_mul_hi_u32 s16, s14, 0x7fffffff
	s_mul_i32 s14, s14, 0x7fffffff
	s_mul_i32 s15, s15, 0x7fffffff
	v_mov_b32_e32 v15, s14
	s_add_i32 s16, s16, s15
	v_sub_co_u32_e32 v15, vcc, s5, v15
	s_cmp_lg_u64 vcc, 0
	s_subb_u32 s4, s4, s16
	v_subrev_co_u32_e32 v22, vcc, s19, v15
	s_cmp_lg_u64 vcc, 0
	s_subb_u32 s5, s4, 0
	v_subrev_co_u32_e32 v23, vcc, s19, v22
	s_cmp_lg_u64 vcc, 0
	s_subb_u32 s14, s5, 0
	v_readfirstlane_b32 s15, v22
	s_cmp_gt_u32 s15, 0x7ffffffe
	s_cselect_b32 s16, -1, 0
	s_cmp_eq_u32 s5, 0
	s_cselect_b32 s16, s16, -1
	s_cmp_lg_u32 s16, 0
	s_cselect_b32 s5, s14, s5
	v_readfirstlane_b32 s14, v23
	v_readfirstlane_b32 s16, v15
	s_cselect_b32 s14, s14, s15
	s_cmp_gt_u32 s16, 0x7ffffffe
	s_cselect_b32 s15, -1, 0
	s_cmp_eq_u32 s4, 0
	s_cselect_b32 s15, s15, -1
	v_lshrrev_b64 v[16:17], 1, v[4:5]
	s_cmp_lg_u32 s15, 0
	v_cmp_gt_u64_e32 vcc, 2, v[4:5]
	s_cselect_b32 s15, s5, s4
	s_cselect_b32 s14, s14, s16
	s_or_b64 s[10:11], vcc, s[10:11]
	v_pk_mov_b32 v[4:5], v[16:17], v[16:17] op_sel:[0,1]
	s_andn2_b64 exec, exec, s[10:11]
	s_cbranch_execz .LBB29_317
.LBB29_293:                             ; =>This Inner Loop Header: Depth=1
	v_and_b32_e32 v15, 1, v4
	v_cmp_eq_u32_e32 vcc, 1, v15
	s_and_saveexec_b64 s[16:17], vcc
	s_cbranch_execz .LBB29_292
; %bb.294:                              ;   in Loop: Header=BB29_293 Depth=1
	v_mul_lo_u32 v15, s15, v6
	v_mul_lo_u32 v16, s14, v7
	v_mad_u64_u32 v[6:7], s[4:5], s14, v6, 0
	s_add_u32 s4, 0x402, s21
	v_add3_u32 v7, v7, v16, v15
	s_addc_u32 s5, 0, 0
	v_add_co_u32_e32 v15, vcc, s4, v3
	s_cmp_lg_u64 vcc, 0
	v_readfirstlane_b32 s22, v15
	s_addc_u32 s4, s5, 1
	s_mul_hi_u32 s23, s22, 0x80000001
	s_mul_i32 s5, s4, 0x80000001
	s_sub_i32 s23, s23, s22
	s_add_i32 s23, s23, s5
	s_mul_i32 s25, s22, 0x80000001
	s_mul_hi_u32 s5, s22, s23
	s_mul_i32 s24, s22, s23
	s_mul_hi_u32 s22, s22, s25
	s_add_u32 s22, s22, s24
	s_addc_u32 s5, 0, s5
	s_mul_hi_u32 s26, s4, s25
	s_mul_i32 s25, s4, s25
	s_add_u32 s22, s22, s25
	s_mul_hi_u32 s24, s4, s23
	s_addc_u32 s5, s5, s26
	s_addc_u32 s22, s24, 0
	s_mul_i32 s23, s4, s23
	s_add_u32 s5, s5, s23
	s_addc_u32 s22, 0, s22
	v_add_co_u32_e32 v15, vcc, s5, v15
	s_cmp_lg_u64 vcc, 0
	s_addc_u32 s22, s4, s22
	v_mad_u64_u32 v[16:17], s[4:5], v6, s22, 0
	v_mul_hi_u32 v22, v6, v15
	v_add_co_u32_e32 v24, vcc, v22, v16
	v_addc_co_u32_e32 v25, vcc, 0, v17, vcc
	v_mad_u64_u32 v[22:23], s[4:5], v7, v15, 0
	v_add_co_u32_e32 v15, vcc, v24, v22
	v_mad_u64_u32 v[16:17], s[4:5], v7, s22, 0
	v_addc_co_u32_e32 v15, vcc, v25, v23, vcc
	v_addc_co_u32_e32 v17, vcc, 0, v17, vcc
	v_add_co_u32_e32 v15, vcc, v15, v16
	v_addc_co_u32_e32 v23, vcc, 0, v17, vcc
	v_mad_u64_u32 v[16:17], s[4:5], v15, s19, 0
	v_mov_b32_e32 v22, v17
	v_mad_u64_u32 v[22:23], s[4:5], v23, s19, v[22:23]
	v_sub_co_u32_e32 v6, vcc, v6, v16
	v_subb_co_u32_e32 v7, vcc, v7, v22, vcc
	v_subrev_co_u32_e32 v15, vcc, s19, v6
	v_subbrev_co_u32_e32 v16, vcc, 0, v7, vcc
	v_subrev_co_u32_e32 v17, vcc, s19, v15
	v_subbrev_co_u32_e32 v22, vcc, 0, v16, vcc
	v_cmp_lt_u32_e32 vcc, s20, v15
	v_cndmask_b32_e64 v23, 0, -1, vcc
	v_cmp_eq_u32_e32 vcc, 0, v16
	v_cndmask_b32_e32 v23, -1, v23, vcc
	v_cmp_ne_u32_e32 vcc, 0, v23
	v_cmp_lt_u32_e64 s[4:5], s20, v6
	v_cndmask_b32_e32 v16, v16, v22, vcc
	v_cndmask_b32_e64 v22, 0, -1, s[4:5]
	v_cmp_eq_u32_e64 s[4:5], 0, v7
	v_cndmask_b32_e64 v22, -1, v22, s[4:5]
	v_cmp_ne_u32_e64 s[4:5], 0, v22
	v_cndmask_b32_e32 v15, v15, v17, vcc
	v_cndmask_b32_e64 v7, v7, v16, s[4:5]
	v_cndmask_b32_e64 v6, v6, v15, s[4:5]
	s_branch .LBB29_292
.LBB29_295:
	s_or_b64 exec, exec, s[10:11]
	s_movk_i32 s4, 0x401
	s_add_u32 s4, 0x402, s4
	v_mov_b32_e32 v5, 0xfffff800
	s_addc_u32 s5, 0, 0
	v_add_co_u32_e32 v5, vcc, s4, v5
	s_cmp_lg_u64 vcc, 0
	v_readfirstlane_b32 s10, v5
	s_addc_u32 s4, s5, 1
	s_mul_hi_u32 s11, s10, 0x80000001
	s_mul_i32 s5, s4, 0x80000001
	s_sub_i32 s11, s11, s10
	s_add_i32 s11, s11, s5
	s_mul_i32 s15, s10, 0x80000001
	s_mul_hi_u32 s5, s10, s11
	s_mul_i32 s14, s10, s11
	s_mul_hi_u32 s10, s10, s15
	s_add_u32 s10, s10, s14
	s_addc_u32 s5, 0, s5
	s_mul_hi_u32 s16, s4, s15
	s_mul_i32 s15, s4, s15
	s_add_u32 s10, s10, s15
	s_mul_hi_u32 s14, s4, s11
	s_addc_u32 s5, s5, s16
	s_addc_u32 s10, s14, 0
	s_mul_i32 s11, s4, s11
	s_add_u32 s5, s5, s11
	s_addc_u32 s10, 0, s10
	v_add_co_u32_e32 v5, vcc, s5, v5
	s_cmp_lg_u64 vcc, 0
	s_addc_u32 s10, s4, s10
	v_mad_u64_u32 v[6:7], s[4:5], v8, s10, 0
	v_mul_hi_u32 v18, v8, v5
	v_add_co_u32_e32 v20, vcc, v18, v6
	v_addc_co_u32_e32 v21, vcc, 0, v7, vcc
	v_mad_u64_u32 v[18:19], s[4:5], v9, v5, 0
	v_add_co_u32_e32 v5, vcc, v20, v18
	v_mad_u64_u32 v[6:7], s[4:5], v9, s10, 0
	v_addc_co_u32_e32 v5, vcc, v21, v19, vcc
	v_addc_co_u32_e32 v7, vcc, 0, v7, vcc
	v_add_co_u32_e32 v5, vcc, v5, v6
	s_brev_b32 s10, -2
	v_addc_co_u32_e32 v19, vcc, 0, v7, vcc
	v_mad_u64_u32 v[6:7], s[4:5], v5, s10, 0
	v_mov_b32_e32 v18, v7
	v_mad_u64_u32 v[18:19], s[4:5], v19, s10, v[18:19]
	v_sub_co_u32_e32 v5, vcc, v8, v6
	v_subb_co_u32_e32 v6, vcc, v9, v18, vcc
	v_subrev_co_u32_e32 v7, vcc, 0x7fffffff, v5
	v_subbrev_co_u32_e32 v8, vcc, 0, v6, vcc
	s_mov_b32 s4, 0x7ffffffe
	v_cmp_lt_u32_e32 vcc, s4, v7
	v_cndmask_b32_e64 v9, 0, -1, vcc
	v_cmp_eq_u32_e32 vcc, 0, v8
	v_cndmask_b32_e32 v8, -1, v9, vcc
	v_add_u32_e32 v9, 0x80000001, v7
	v_cmp_ne_u32_e32 vcc, 0, v8
	v_cndmask_b32_e32 v7, v7, v9, vcc
	v_cmp_lt_u32_e32 vcc, s4, v5
	v_cndmask_b32_e64 v8, 0, -1, vcc
	v_cmp_eq_u32_e32 vcc, 0, v6
	v_cndmask_b32_e32 v6, -1, v8, vcc
	v_cmp_ne_u32_e32 vcc, 0, v6
	v_cndmask_b32_e32 v7, v5, v7, vcc
.LBB29_296:
	s_or_b64 exec, exec, s[8:9]
	s_movk_i32 s8, 0x1388
	v_mov_b32_e32 v18, 0
	s_mov_b32 s9, 0xbc8f1391
	s_mov_b32 s10, 0xbc8f
	s_brev_b32 s11, 12
	s_mov_b32 s14, 0xf800000
	v_mov_b32_e32 v5, 0x260
.LBB29_297:                             ; =>This Inner Loop Header: Depth=1
	v_mul_hi_u32 v6, v7, s9
	v_lshrrev_b32_e32 v6, 15, v6
	v_mul_u32_u24_e32 v9, 0xadc8, v6
	v_sub_u32_e32 v7, v7, v9
	v_mul_u32_u24_e32 v6, 0xd47, v6
	v_mul_lo_u32 v7, v7, s10
	v_xor_b32_e32 v9, 0x7fffffff, v6
	v_sub_u32_e32 v19, 0, v6
	v_cmp_lt_u32_e32 vcc, v7, v6
	v_cndmask_b32_e32 v6, v19, v9, vcc
	v_add_u32_e32 v6, v6, v7
	v_mul_hi_u32 v9, v6, s9
	v_lshrrev_b32_e32 v9, 15, v9
	v_mul_u32_u24_e32 v19, 0xadc8, v9
	v_add_u32_e32 v7, -1, v6
	v_sub_u32_e32 v6, v6, v19
	v_mul_u32_u24_e32 v9, 0xd47, v9
	v_mul_lo_u32 v6, v6, s10
	v_xor_b32_e32 v19, 0x7fffffff, v9
	v_sub_u32_e32 v20, 0, v9
	v_cmp_lt_u32_e32 vcc, v6, v9
	v_cndmask_b32_e32 v9, v20, v19, vcc
	v_add_u32_e32 v6, v9, v6
	v_mul_hi_u32 v19, v6, s9
	v_add_u32_e32 v9, -1, v6
	v_lshrrev_b32_e32 v19, 15, v19
	v_cvt_f32_u32_e32 v9, v9
	v_mul_u32_u24_e32 v20, 0xadc8, v19
	v_cvt_f32_u32_e32 v7, v7
	v_sub_u32_e32 v6, v6, v20
	v_mul_u32_u24_e32 v19, 0xd47, v19
	v_mul_lo_u32 v6, v6, s10
	v_xor_b32_e32 v20, 0x7fffffff, v19
	v_sub_u32_e32 v21, 0, v19
	v_cmp_lt_u32_e32 vcc, v6, v19
	v_fma_f32 v9, v9, s11, 0
	v_cndmask_b32_e32 v19, v21, v20, vcc
	v_fma_f32 v7, v7, s11, 0
	v_mul_f32_e32 v9, v9, v9
	v_add_u32_e32 v6, v19, v6
	v_fmac_f32_e32 v9, v7, v7
	v_mul_hi_u32 v19, v6, s9
	v_add_u32_e32 v7, -1, v6
	v_mul_f32_e32 v20, 0x4f800000, v9
	v_lshrrev_b32_e32 v19, 15, v19
	v_cmp_gt_f32_e32 vcc, s14, v9
	v_cvt_f32_u32_e32 v7, v7
	v_cndmask_b32_e32 v9, v9, v20, vcc
	v_mul_u32_u24_e32 v20, 0xadc8, v19
	v_sqrt_f32_e32 v21, v9
	v_sub_u32_e32 v6, v6, v20
	v_mul_u32_u24_e32 v19, 0xd47, v19
	v_mul_lo_u32 v6, v6, s10
	v_xor_b32_e32 v20, 0x7fffffff, v19
	v_sub_u32_e32 v22, 0, v19
	v_cmp_lt_u32_e64 s[4:5], v6, v19
	v_fma_f32 v23, v7, s11, 0
	v_cndmask_b32_e64 v7, v22, v20, s[4:5]
	v_add_u32_e32 v7, v7, v6
	v_add_u32_e32 v6, -1, v21
	v_add_u32_e32 v19, 1, v21
	v_add_u32_e32 v20, -1, v7
	v_fma_f32 v22, -v6, v21, v9
	v_fma_f32 v24, -v19, v21, v9
	v_cvt_f32_u32_e32 v20, v20
	v_cmp_ge_f32_e64 s[4:5], 0, v22
	v_cndmask_b32_e64 v6, v21, v6, s[4:5]
	v_cmp_lt_f32_e64 s[4:5], 0, v24
	v_cndmask_b32_e64 v6, v6, v19, s[4:5]
	v_mul_f32_e32 v19, 0x37800000, v6
	v_cndmask_b32_e32 v6, v6, v19, vcc
	v_fma_f32 v19, v20, s11, 0
	v_cmp_class_f32_e32 vcc, v9, v5
	v_cndmask_b32_e32 v6, v6, v9, vcc
	v_mul_f32_e32 v9, v19, v19
	v_add_f32_e32 v8, 1.0, v18
	v_cmp_nge_f32_e32 vcc, 1.0, v6
	v_fmac_f32_e32 v9, v23, v23
	v_cndmask_b32_e32 v6, v8, v18, vcc
	v_mul_f32_e32 v8, 0x4f800000, v9
	v_cmp_gt_f32_e32 vcc, s14, v9
	v_cndmask_b32_e32 v8, v9, v8, vcc
	v_sqrt_f32_e32 v9, v8
	s_add_i32 s8, s8, -2
	v_add_f32_e32 v18, 1.0, v6
	s_cmp_lg_u32 s8, 0
	v_add_u32_e32 v19, -1, v9
	v_add_u32_e32 v20, 1, v9
	v_fma_f32 v21, -v19, v9, v8
	v_fma_f32 v22, -v20, v9, v8
	v_cmp_ge_f32_e64 s[4:5], 0, v21
	v_cndmask_b32_e64 v9, v9, v19, s[4:5]
	v_cmp_lt_f32_e64 s[4:5], 0, v22
	v_cndmask_b32_e64 v9, v9, v20, s[4:5]
	v_mul_f32_e32 v19, 0x37800000, v9
	v_cndmask_b32_e32 v9, v9, v19, vcc
	v_cmp_class_f32_e32 vcc, v8, v5
	v_cndmask_b32_e32 v8, v9, v8, vcc
	v_cmp_nge_f32_e32 vcc, 1.0, v8
	v_cndmask_b32_e32 v18, v18, v6, vcc
	s_cbranch_scc1 .LBB29_297
; %bb.298:
	v_add_u32_e32 v6, 0x445c00, v4
	v_cmp_ne_u32_e32 vcc, 0, v6
	v_mov_b32_e32 v7, 1
	s_and_saveexec_b64 s[8:9], vcc
	s_cbranch_execz .LBB29_326
; %bb.299:
	v_mov_b32_e32 v8, 1
	v_mov_b32_e32 v7, 0
	s_mov_b64 s[14:15], 0xbc8f
	s_mov_b64 s[10:11], 0
	v_mov_b32_e32 v9, 0
	s_brev_b32 s19, -2
	s_mov_b32 s20, 0x7ffffffe
	v_mov_b32_e32 v5, 0xfffff800
	s_movk_i32 s21, 0x401
	s_branch .LBB29_301
.LBB29_300:                             ;   in Loop: Header=BB29_301 Depth=1
	s_or_b64 exec, exec, s[16:17]
	s_mul_i32 s4, s14, s15
	s_mul_hi_u32 s5, s14, s14
	s_add_i32 s5, s5, s4
	s_add_i32 s4, s5, s4
	s_mul_i32 s5, s14, s14
	s_add_u32 s14, 0x402, s21
	s_addc_u32 s15, 0, 0
	v_add_co_u32_e32 v19, vcc, s14, v5
	s_cmp_lg_u64 vcc, 0
	v_readfirstlane_b32 s16, v19
	s_addc_u32 s14, s15, 1
	s_mul_hi_u32 s17, s16, 0x80000001
	s_mul_i32 s15, s14, 0x80000001
	s_sub_i32 s17, s17, s16
	s_add_i32 s17, s17, s15
	s_mul_i32 s23, s16, 0x80000001
	s_mul_hi_u32 s15, s16, s17
	s_mul_i32 s22, s16, s17
	s_mul_hi_u32 s16, s16, s23
	s_add_u32 s16, s16, s22
	s_addc_u32 s15, 0, s15
	s_mul_hi_u32 s24, s14, s23
	s_mul_i32 s23, s14, s23
	s_add_u32 s16, s16, s23
	s_mul_hi_u32 s22, s14, s17
	s_addc_u32 s15, s15, s24
	s_addc_u32 s16, s22, 0
	s_mul_i32 s17, s14, s17
	s_add_u32 s15, s15, s17
	s_addc_u32 s16, 0, s16
	v_add_co_u32_e32 v19, vcc, s15, v19
	s_cmp_lg_u64 vcc, 0
	s_addc_u32 s14, s14, s16
	v_readfirstlane_b32 s17, v19
	s_mul_i32 s16, s5, s14
	s_mul_hi_u32 s22, s5, s17
	s_mul_hi_u32 s15, s5, s14
	s_add_u32 s16, s22, s16
	s_addc_u32 s15, 0, s15
	s_mul_hi_u32 s23, s4, s17
	s_mul_i32 s17, s4, s17
	s_add_u32 s16, s16, s17
	s_mul_hi_u32 s22, s4, s14
	s_addc_u32 s15, s15, s23
	s_addc_u32 s16, s22, 0
	s_mul_i32 s14, s4, s14
	s_add_u32 s14, s15, s14
	s_addc_u32 s15, 0, s16
	s_mul_hi_u32 s16, s14, 0x7fffffff
	s_mul_i32 s14, s14, 0x7fffffff
	s_mul_i32 s15, s15, 0x7fffffff
	v_mov_b32_e32 v19, s14
	s_add_i32 s16, s16, s15
	v_sub_co_u32_e32 v19, vcc, s5, v19
	s_cmp_lg_u64 vcc, 0
	s_subb_u32 s4, s4, s16
	v_subrev_co_u32_e32 v22, vcc, s19, v19
	s_cmp_lg_u64 vcc, 0
	s_subb_u32 s5, s4, 0
	v_subrev_co_u32_e32 v23, vcc, s19, v22
	s_cmp_lg_u64 vcc, 0
	s_subb_u32 s14, s5, 0
	v_readfirstlane_b32 s15, v22
	s_cmp_gt_u32 s15, 0x7ffffffe
	s_cselect_b32 s16, -1, 0
	s_cmp_eq_u32 s5, 0
	s_cselect_b32 s16, s16, -1
	s_cmp_lg_u32 s16, 0
	s_cselect_b32 s5, s14, s5
	v_readfirstlane_b32 s14, v23
	v_readfirstlane_b32 s16, v19
	s_cselect_b32 s14, s14, s15
	s_cmp_gt_u32 s16, 0x7ffffffe
	s_cselect_b32 s15, -1, 0
	s_cmp_eq_u32 s4, 0
	s_cselect_b32 s15, s15, -1
	v_lshrrev_b64 v[20:21], 1, v[6:7]
	s_cmp_lg_u32 s15, 0
	v_cmp_gt_u64_e32 vcc, 2, v[6:7]
	s_cselect_b32 s15, s5, s4
	s_cselect_b32 s14, s14, s16
	s_or_b64 s[10:11], vcc, s[10:11]
	v_pk_mov_b32 v[6:7], v[20:21], v[20:21] op_sel:[0,1]
	s_andn2_b64 exec, exec, s[10:11]
	s_cbranch_execz .LBB29_325
.LBB29_301:                             ; =>This Inner Loop Header: Depth=1
	v_and_b32_e32 v19, 1, v6
	v_cmp_eq_u32_e32 vcc, 1, v19
	s_and_saveexec_b64 s[16:17], vcc
	s_cbranch_execz .LBB29_300
; %bb.302:                              ;   in Loop: Header=BB29_301 Depth=1
	v_mul_lo_u32 v19, s15, v8
	v_mul_lo_u32 v20, s14, v9
	v_mad_u64_u32 v[8:9], s[4:5], s14, v8, 0
	s_add_u32 s4, 0x402, s21
	v_add3_u32 v9, v9, v20, v19
	s_addc_u32 s5, 0, 0
	v_add_co_u32_e32 v19, vcc, s4, v5
	s_cmp_lg_u64 vcc, 0
	v_readfirstlane_b32 s22, v19
	s_addc_u32 s4, s5, 1
	s_mul_hi_u32 s23, s22, 0x80000001
	s_mul_i32 s5, s4, 0x80000001
	s_sub_i32 s23, s23, s22
	s_add_i32 s23, s23, s5
	s_mul_i32 s25, s22, 0x80000001
	s_mul_hi_u32 s5, s22, s23
	s_mul_i32 s24, s22, s23
	s_mul_hi_u32 s22, s22, s25
	s_add_u32 s22, s22, s24
	s_addc_u32 s5, 0, s5
	s_mul_hi_u32 s26, s4, s25
	s_mul_i32 s25, s4, s25
	s_add_u32 s22, s22, s25
	s_mul_hi_u32 s24, s4, s23
	s_addc_u32 s5, s5, s26
	s_addc_u32 s22, s24, 0
	s_mul_i32 s23, s4, s23
	s_add_u32 s5, s5, s23
	s_addc_u32 s22, 0, s22
	v_add_co_u32_e32 v19, vcc, s5, v19
	s_cmp_lg_u64 vcc, 0
	s_addc_u32 s22, s4, s22
	v_mad_u64_u32 v[20:21], s[4:5], v8, s22, 0
	v_mul_hi_u32 v22, v8, v19
	v_add_co_u32_e32 v24, vcc, v22, v20
	v_addc_co_u32_e32 v25, vcc, 0, v21, vcc
	v_mad_u64_u32 v[22:23], s[4:5], v9, v19, 0
	v_add_co_u32_e32 v19, vcc, v24, v22
	v_mad_u64_u32 v[20:21], s[4:5], v9, s22, 0
	v_addc_co_u32_e32 v19, vcc, v25, v23, vcc
	v_addc_co_u32_e32 v21, vcc, 0, v21, vcc
	v_add_co_u32_e32 v19, vcc, v19, v20
	v_addc_co_u32_e32 v23, vcc, 0, v21, vcc
	v_mad_u64_u32 v[20:21], s[4:5], v19, s19, 0
	v_mov_b32_e32 v22, v21
	v_mad_u64_u32 v[22:23], s[4:5], v23, s19, v[22:23]
	v_sub_co_u32_e32 v8, vcc, v8, v20
	v_subb_co_u32_e32 v9, vcc, v9, v22, vcc
	v_subrev_co_u32_e32 v19, vcc, s19, v8
	v_subbrev_co_u32_e32 v20, vcc, 0, v9, vcc
	v_subrev_co_u32_e32 v21, vcc, s19, v19
	v_subbrev_co_u32_e32 v22, vcc, 0, v20, vcc
	v_cmp_lt_u32_e32 vcc, s20, v19
	v_cndmask_b32_e64 v23, 0, -1, vcc
	v_cmp_eq_u32_e32 vcc, 0, v20
	v_cndmask_b32_e32 v23, -1, v23, vcc
	v_cmp_ne_u32_e32 vcc, 0, v23
	v_cmp_lt_u32_e64 s[4:5], s20, v8
	v_cndmask_b32_e32 v20, v20, v22, vcc
	v_cndmask_b32_e64 v22, 0, -1, s[4:5]
	v_cmp_eq_u32_e64 s[4:5], 0, v9
	v_cndmask_b32_e64 v22, -1, v22, s[4:5]
	v_cmp_ne_u32_e64 s[4:5], 0, v22
	v_cndmask_b32_e32 v19, v19, v21, vcc
	v_cndmask_b32_e64 v9, v9, v20, s[4:5]
	v_cndmask_b32_e64 v8, v8, v19, s[4:5]
	s_branch .LBB29_300
.LBB29_303:
	s_or_b64 exec, exec, s[10:11]
	s_movk_i32 s4, 0x401
	s_add_u32 s4, 0x402, s4
	v_mov_b32_e32 v2, 0xfffff800
	s_addc_u32 s5, 0, 0
	v_add_co_u32_e32 v2, vcc, s4, v2
	s_cmp_lg_u64 vcc, 0
	v_readfirstlane_b32 s10, v2
	s_addc_u32 s4, s5, 1
	s_mul_hi_u32 s11, s10, 0x80000001
	s_mul_i32 s5, s4, 0x80000001
	s_sub_i32 s11, s11, s10
	s_add_i32 s11, s11, s5
	s_mul_i32 s15, s10, 0x80000001
	s_mul_hi_u32 s5, s10, s11
	s_mul_i32 s14, s10, s11
	s_mul_hi_u32 s10, s10, s15
	s_add_u32 s10, s10, s14
	s_addc_u32 s5, 0, s5
	s_mul_hi_u32 s16, s4, s15
	s_mul_i32 s15, s4, s15
	s_add_u32 s10, s10, s15
	s_mul_hi_u32 s14, s4, s11
	s_addc_u32 s5, s5, s16
	s_addc_u32 s10, s14, 0
	s_mul_i32 s11, s4, s11
	s_add_u32 s5, s5, s11
	s_addc_u32 s10, 0, s10
	v_add_co_u32_e32 v7, vcc, s5, v2
	s_cmp_lg_u64 vcc, 0
	s_addc_u32 s10, s4, s10
	v_mad_u64_u32 v[2:3], s[4:5], v4, s10, 0
	v_mul_hi_u32 v20, v4, v7
	v_add_co_u32_e32 v22, vcc, v20, v2
	v_addc_co_u32_e32 v23, vcc, 0, v3, vcc
	v_mad_u64_u32 v[20:21], s[4:5], v5, v7, 0
	v_add_co_u32_e32 v7, vcc, v22, v20
	v_mad_u64_u32 v[2:3], s[4:5], v5, s10, 0
	v_addc_co_u32_e32 v7, vcc, v23, v21, vcc
	v_addc_co_u32_e32 v3, vcc, 0, v3, vcc
	v_add_co_u32_e32 v2, vcc, v7, v2
	s_brev_b32 s10, -2
	v_addc_co_u32_e32 v7, vcc, 0, v3, vcc
	v_mad_u64_u32 v[2:3], s[4:5], v2, s10, 0
	v_mov_b32_e32 v20, v3
	v_mad_u64_u32 v[20:21], s[4:5], v7, s10, v[20:21]
	v_sub_co_u32_e32 v2, vcc, v4, v2
	v_subb_co_u32_e32 v3, vcc, v5, v20, vcc
	v_subrev_co_u32_e32 v4, vcc, 0x7fffffff, v2
	v_subbrev_co_u32_e32 v5, vcc, 0, v3, vcc
	s_mov_b32 s4, 0x7ffffffe
	v_cmp_lt_u32_e32 vcc, s4, v4
	v_cndmask_b32_e64 v7, 0, -1, vcc
	v_cmp_eq_u32_e32 vcc, 0, v5
	v_cndmask_b32_e32 v5, -1, v7, vcc
	v_add_u32_e32 v7, 0x80000001, v4
	v_cmp_ne_u32_e32 vcc, 0, v5
	v_cndmask_b32_e32 v4, v4, v7, vcc
	v_cmp_lt_u32_e32 vcc, s4, v2
	v_cndmask_b32_e64 v5, 0, -1, vcc
	v_cmp_eq_u32_e32 vcc, 0, v3
	v_cndmask_b32_e32 v3, -1, v5, vcc
	v_cmp_ne_u32_e32 vcc, 0, v3
	v_cndmask_b32_e32 v4, v2, v4, vcc
.LBB29_304:
	s_or_b64 exec, exec, s[8:9]
	s_movk_i32 s8, 0x1388
	v_mov_b32_e32 v2, 0
	s_mov_b32 s9, 0xbc8f1391
	s_mov_b32 s10, 0xbc8f
	s_brev_b32 s11, 12
	s_mov_b32 s14, 0xf800000
	v_mov_b32_e32 v3, 0x260
.LBB29_305:                             ; =>This Inner Loop Header: Depth=1
	v_mul_hi_u32 v5, v4, s9
	v_lshrrev_b32_e32 v5, 15, v5
	v_mul_u32_u24_e32 v20, 0xadc8, v5
	v_sub_u32_e32 v4, v4, v20
	v_mul_u32_u24_e32 v5, 0xd47, v5
	v_mul_lo_u32 v4, v4, s10
	v_xor_b32_e32 v20, 0x7fffffff, v5
	v_sub_u32_e32 v21, 0, v5
	v_cmp_lt_u32_e32 vcc, v4, v5
	v_cndmask_b32_e32 v5, v21, v20, vcc
	v_add_u32_e32 v4, v5, v4
	v_mul_hi_u32 v20, v4, s9
	v_lshrrev_b32_e32 v20, 15, v20
	v_mul_u32_u24_e32 v21, 0xadc8, v20
	v_add_u32_e32 v5, -1, v4
	v_sub_u32_e32 v4, v4, v21
	v_mul_u32_u24_e32 v20, 0xd47, v20
	v_mul_lo_u32 v4, v4, s10
	v_xor_b32_e32 v21, 0x7fffffff, v20
	v_sub_u32_e32 v22, 0, v20
	v_cmp_lt_u32_e32 vcc, v4, v20
	v_cndmask_b32_e32 v20, v22, v21, vcc
	v_add_u32_e32 v4, v20, v4
	v_mul_hi_u32 v21, v4, s9
	v_add_u32_e32 v20, -1, v4
	v_lshrrev_b32_e32 v21, 15, v21
	v_cvt_f32_u32_e32 v20, v20
	v_mul_u32_u24_e32 v22, 0xadc8, v21
	v_cvt_f32_u32_e32 v5, v5
	v_sub_u32_e32 v4, v4, v22
	v_mul_u32_u24_e32 v21, 0xd47, v21
	v_mul_lo_u32 v4, v4, s10
	v_xor_b32_e32 v22, 0x7fffffff, v21
	v_sub_u32_e32 v23, 0, v21
	v_cmp_lt_u32_e32 vcc, v4, v21
	v_fma_f32 v20, v20, s11, 0
	v_cndmask_b32_e32 v21, v23, v22, vcc
	v_fma_f32 v5, v5, s11, 0
	v_mul_f32_e32 v20, v20, v20
	v_add_u32_e32 v4, v21, v4
	v_fmac_f32_e32 v20, v5, v5
	v_mul_hi_u32 v21, v4, s9
	v_mul_f32_e32 v22, 0x4f800000, v20
	v_lshrrev_b32_e32 v21, 15, v21
	v_cmp_gt_f32_e32 vcc, s14, v20
	v_cndmask_b32_e32 v20, v20, v22, vcc
	v_mul_u32_u24_e32 v22, 0xadc8, v21
	v_add_u32_e32 v5, -1, v4
	v_sqrt_f32_e32 v23, v20
	v_sub_u32_e32 v4, v4, v22
	v_mul_u32_u24_e32 v21, 0xd47, v21
	v_mul_lo_u32 v4, v4, s10
	v_xor_b32_e32 v22, 0x7fffffff, v21
	v_sub_u32_e32 v24, 0, v21
	v_cmp_lt_u32_e64 s[4:5], v4, v21
	v_cndmask_b32_e64 v21, v24, v22, s[4:5]
	v_add_u32_e32 v4, v21, v4
	v_add_u32_e32 v21, -1, v23
	v_add_u32_e32 v22, 1, v23
	v_add_u32_e32 v24, -1, v4
	v_fma_f32 v25, -v21, v23, v20
	v_fma_f32 v26, -v22, v23, v20
	v_cvt_f32_u32_e32 v24, v24
	v_cmp_ge_f32_e64 s[4:5], 0, v25
	v_cvt_f32_u32_e32 v5, v5
	v_cndmask_b32_e64 v21, v23, v21, s[4:5]
	v_cmp_lt_f32_e64 s[4:5], 0, v26
	v_cndmask_b32_e64 v21, v21, v22, s[4:5]
	v_mul_f32_e32 v22, 0x37800000, v21
	v_cndmask_b32_e32 v21, v21, v22, vcc
	v_fma_f32 v22, v24, s11, 0
	v_cmp_class_f32_e32 vcc, v20, v3
	v_fma_f32 v5, v5, s11, 0
	v_cndmask_b32_e32 v20, v21, v20, vcc
	v_mul_f32_e32 v21, v22, v22
	v_add_f32_e32 v7, 1.0, v2
	v_cmp_nge_f32_e32 vcc, 1.0, v20
	v_fmac_f32_e32 v21, v5, v5
	v_cndmask_b32_e32 v2, v7, v2, vcc
	v_mul_f32_e32 v5, 0x4f800000, v21
	v_cmp_gt_f32_e32 vcc, s14, v21
	v_cndmask_b32_e32 v5, v21, v5, vcc
	v_sqrt_f32_e32 v20, v5
	s_add_i32 s8, s8, -2
	v_add_f32_e32 v7, 1.0, v2
	s_cmp_lg_u32 s8, 0
	v_add_u32_e32 v21, -1, v20
	v_add_u32_e32 v22, 1, v20
	v_fma_f32 v23, -v21, v20, v5
	v_fma_f32 v24, -v22, v20, v5
	v_cmp_ge_f32_e64 s[4:5], 0, v23
	v_cndmask_b32_e64 v20, v20, v21, s[4:5]
	v_cmp_lt_f32_e64 s[4:5], 0, v24
	v_cndmask_b32_e64 v20, v20, v22, s[4:5]
	v_mul_f32_e32 v21, 0x37800000, v20
	v_cndmask_b32_e32 v20, v20, v21, vcc
	v_cmp_class_f32_e32 vcc, v5, v3
	v_cndmask_b32_e32 v5, v20, v5, vcc
	v_cmp_nge_f32_e32 vcc, 1.0, v5
	v_cndmask_b32_e32 v2, v7, v2, vcc
	s_cbranch_scc1 .LBB29_305
; %bb.306:
	v_mul_f32_e32 v3, 4.0, v6
	s_mov_b32 s8, 0x459c4000
	v_div_scale_f32 v4, s[4:5], s8, s8, v3
	v_rcp_f32_e32 v5, v4
	v_mul_f32_e32 v15, 4.0, v15
	v_mul_f32_e32 v14, 4.0, v14
	v_mul_f32_e32 v9, 4.0, v9
	v_fma_f32 v6, -v4, v5, 1.0
	v_fmac_f32_e32 v5, v6, v5
	v_div_scale_f32 v6, vcc, v3, s8, v3
	v_mul_f32_e32 v7, v6, v5
	v_fma_f32 v20, -v4, v7, v6
	v_fmac_f32_e32 v7, v20, v5
	v_fma_f32 v4, -v4, v7, v6
	v_mul_f32_e32 v6, 4.0, v17
	v_div_scale_f32 v17, s[4:5], s8, s8, v6
	v_rcp_f32_e32 v20, v17
	v_div_fmas_f32 v4, v4, v5, v7
	v_div_fixup_f32 v3, v4, s8, v3
	v_mul_f32_e32 v8, 4.0, v8
	v_fma_f32 v4, -v17, v20, 1.0
	v_fmac_f32_e32 v20, v4, v20
	v_div_scale_f32 v4, vcc, v6, s8, v6
	v_mul_f32_e32 v5, v4, v20
	v_fma_f32 v7, -v17, v5, v4
	v_fmac_f32_e32 v5, v7, v20
	v_mul_f32_e32 v7, 4.0, v16
	v_div_scale_f32 v16, s[4:5], s8, s8, v7
	v_fma_f32 v4, -v17, v5, v4
	v_rcp_f32_e32 v17, v16
	v_div_fmas_f32 v4, v4, v20, v5
	v_div_fixup_f32 v4, v4, s8, v6
	v_mul_f32_e32 v2, 4.0, v2
	v_fma_f32 v5, -v16, v17, 1.0
	v_fmac_f32_e32 v17, v5, v17
	v_div_scale_f32 v5, vcc, v7, s8, v7
	v_mul_f32_e32 v6, v5, v17
	v_fma_f32 v20, -v16, v6, v5
	v_fmac_f32_e32 v6, v20, v17
	v_fma_f32 v5, -v16, v6, v5
	v_div_scale_f32 v16, s[4:5], s8, s8, v15
	v_rcp_f32_e32 v20, v16
	v_div_fmas_f32 v5, v5, v17, v6
	v_div_fixup_f32 v5, v5, s8, v7
	v_fma_f32 v6, -v16, v20, 1.0
	v_fmac_f32_e32 v20, v6, v20
	v_div_scale_f32 v6, vcc, v15, s8, v15
	v_mul_f32_e32 v7, v6, v20
	v_fma_f32 v17, -v16, v7, v6
	v_fmac_f32_e32 v7, v17, v20
	v_fma_f32 v6, -v16, v7, v6
	v_div_scale_f32 v16, s[4:5], s8, s8, v14
	v_rcp_f32_e32 v17, v16
	v_div_fmas_f32 v6, v6, v20, v7
	v_div_fixup_f32 v6, v6, s8, v15
	;; [unrolled: 11-line block ×5, first 2 shown]
	v_add_f32_e32 v8, v8, v9
	v_fma_f32 v14, -v16, v20, 1.0
	v_fmac_f32_e32 v20, v14, v20
	v_div_scale_f32 v14, vcc, v2, s8, v2
	v_mul_f32_e32 v15, v14, v20
	v_fma_f32 v17, -v16, v15, v14
	v_add_f32_e32 v7, v8, v7
	v_fmac_f32_e32 v15, v17, v20
	v_add_f32_e32 v6, v7, v6
	v_fma_f32 v14, -v16, v15, v14
	v_add_f32_e32 v5, v6, v5
	v_div_fmas_f32 v14, v14, v20, v15
	v_add_f32_e32 v4, v5, v4
	v_div_fixup_f32 v2, v14, s8, v2
	v_add_f32_e32 v3, v4, v3
	v_add_f32_e32 v3, v3, v2
	v_mbcnt_lo_u32_b32 v2, -1, 0
	v_mbcnt_hi_u32_b32 v2, -1, v2
	v_add_f32_dpp v3, v3, v3 quad_perm:[1,0,3,2] row_mask:0xf bank_mask:0xf bound_ctrl:1
	v_cmp_eq_u32_e32 vcc, 0, v2
	s_nop 0
	v_add_f32_dpp v3, v3, v3 quad_perm:[2,3,0,1] row_mask:0xf bank_mask:0xf bound_ctrl:1
	s_nop 1
	v_add_f32_dpp v3, v3, v3 row_ror:4 row_mask:0xf bank_mask:0xf bound_ctrl:1
	s_nop 1
	v_add_f32_dpp v3, v3, v3 row_ror:8 row_mask:0xf bank_mask:0xf bound_ctrl:1
	s_nop 1
	v_add_f32_dpp v3, v3, v3 row_bcast:15 row_mask:0xf bank_mask:0xf bound_ctrl:1
	s_nop 1
	v_add_f32_dpp v4, v3, v3 row_bcast:31 row_mask:0xf bank_mask:0xf bound_ctrl:1
	v_lshlrev_b32_e32 v3, 2, v2
	v_or_b32_e32 v5, 0xfc, v3
	ds_bpermute_b32 v4, v5, v4
	s_and_saveexec_b64 s[4:5], vcc
	s_cbranch_execz .LBB29_308
; %bb.307:
	v_lshrrev_b32_e32 v5, 4, v19
	v_and_b32_e32 v5, 60, v5
	s_waitcnt lgkmcnt(0)
	ds_write_b32 v5, v4 offset:40
.LBB29_308:
	s_or_b64 exec, exec, s[4:5]
	v_cmp_gt_u32_e32 vcc, 64, v19
	s_waitcnt lgkmcnt(0)
	s_barrier
	s_and_saveexec_b64 s[4:5], vcc
	s_cbranch_execz .LBB29_310
; %bb.309:
	v_and_b32_e32 v2, 1, v2
	v_lshlrev_b32_e32 v2, 2, v2
	ds_read_b32 v2, v2 offset:40
	v_or_b32_e32 v3, 4, v3
	s_waitcnt lgkmcnt(0)
	ds_bpermute_b32 v3, v3, v2
	s_waitcnt lgkmcnt(0)
	v_add_f32_e32 v4, v2, v3
.LBB29_310:
	s_or_b64 exec, exec, s[4:5]
                                        ; implicit-def: $vgpr21
	s_andn2_saveexec_b64 s[24:25], s[6:7]
	s_cbranch_execz .LBB29_18
.LBB29_311:
	v_subrev_u32_e32 v20, s18, v10
	v_cmp_lt_u32_e32 vcc, v19, v20
                                        ; implicit-def: $vgpr2_vgpr3_vgpr4_vgpr5_vgpr6_vgpr7_vgpr8_vgpr9
	s_and_saveexec_b64 s[6:7], vcc
	s_cbranch_execz .LBB29_634
; %bb.312:
	v_add_u32_e32 v2, v21, v19
	s_movk_i32 s4, 0x1388
	v_mul_lo_u32 v2, v2, s4
	v_cmp_ne_u32_e32 vcc, 0, v2
	v_mov_b32_e32 v4, 1
	s_and_saveexec_b64 s[8:9], vcc
	s_cbranch_execz .LBB29_631
; %bb.313:
	v_mov_b32_e32 v4, 1
	v_mov_b32_e32 v3, 0
	s_mov_b64 s[14:15], 0xbc8f
	s_mov_b64 s[10:11], 0
	v_mov_b32_e32 v5, 0
	s_brev_b32 s18, -2
	s_mov_b32 s19, 0x7ffffffe
	v_mov_b32_e32 v6, 0xfffff800
	s_movk_i32 s20, 0x401
	s_branch .LBB29_315
.LBB29_314:                             ;   in Loop: Header=BB29_315 Depth=1
	s_or_b64 exec, exec, s[16:17]
	s_mul_i32 s4, s14, s15
	s_mul_hi_u32 s5, s14, s14
	s_add_i32 s5, s5, s4
	s_add_i32 s4, s5, s4
	s_mul_i32 s5, s14, s14
	s_add_u32 s14, 0x402, s20
	s_addc_u32 s15, 0, 0
	v_add_co_u32_e32 v7, vcc, s14, v6
	s_cmp_lg_u64 vcc, 0
	v_readfirstlane_b32 s16, v7
	s_addc_u32 s14, s15, 1
	s_mul_hi_u32 s17, s16, 0x80000001
	s_mul_i32 s15, s14, 0x80000001
	s_sub_i32 s17, s17, s16
	s_add_i32 s17, s17, s15
	s_mul_i32 s26, s16, 0x80000001
	s_mul_hi_u32 s15, s16, s17
	s_mul_i32 s21, s16, s17
	s_mul_hi_u32 s16, s16, s26
	s_add_u32 s16, s16, s21
	s_addc_u32 s15, 0, s15
	s_mul_hi_u32 s27, s14, s26
	s_mul_i32 s26, s14, s26
	s_add_u32 s16, s16, s26
	s_mul_hi_u32 s21, s14, s17
	s_addc_u32 s15, s15, s27
	s_addc_u32 s16, s21, 0
	s_mul_i32 s17, s14, s17
	s_add_u32 s15, s15, s17
	s_addc_u32 s16, 0, s16
	v_add_co_u32_e32 v7, vcc, s15, v7
	s_cmp_lg_u64 vcc, 0
	s_addc_u32 s14, s14, s16
	v_readfirstlane_b32 s17, v7
	s_mul_i32 s16, s5, s14
	s_mul_hi_u32 s21, s5, s17
	s_mul_hi_u32 s15, s5, s14
	s_add_u32 s16, s21, s16
	s_addc_u32 s15, 0, s15
	s_mul_hi_u32 s26, s4, s17
	s_mul_i32 s17, s4, s17
	s_add_u32 s16, s16, s17
	s_mul_hi_u32 s21, s4, s14
	s_addc_u32 s15, s15, s26
	s_addc_u32 s16, s21, 0
	s_mul_i32 s14, s4, s14
	s_add_u32 s14, s15, s14
	s_addc_u32 s15, 0, s16
	s_mul_hi_u32 s16, s14, 0x7fffffff
	s_mul_i32 s14, s14, 0x7fffffff
	s_mul_i32 s15, s15, 0x7fffffff
	v_mov_b32_e32 v7, s14
	s_add_i32 s16, s16, s15
	v_sub_co_u32_e32 v7, vcc, s5, v7
	s_cmp_lg_u64 vcc, 0
	s_subb_u32 s4, s4, s16
	v_subrev_co_u32_e32 v14, vcc, s18, v7
	s_cmp_lg_u64 vcc, 0
	s_subb_u32 s5, s4, 0
	v_subrev_co_u32_e32 v15, vcc, s18, v14
	s_cmp_lg_u64 vcc, 0
	s_subb_u32 s14, s5, 0
	v_readfirstlane_b32 s15, v14
	s_cmp_gt_u32 s15, 0x7ffffffe
	s_cselect_b32 s16, -1, 0
	s_cmp_eq_u32 s5, 0
	s_cselect_b32 s16, s16, -1
	s_cmp_lg_u32 s16, 0
	s_cselect_b32 s5, s14, s5
	v_readfirstlane_b32 s14, v15
	v_readfirstlane_b32 s16, v7
	s_cselect_b32 s14, s14, s15
	s_cmp_gt_u32 s16, 0x7ffffffe
	s_cselect_b32 s15, -1, 0
	s_cmp_eq_u32 s4, 0
	s_cselect_b32 s15, s15, -1
	v_lshrrev_b64 v[8:9], 1, v[2:3]
	s_cmp_lg_u32 s15, 0
	v_cmp_gt_u64_e32 vcc, 2, v[2:3]
	s_cselect_b32 s15, s5, s4
	s_cselect_b32 s14, s14, s16
	s_or_b64 s[10:11], vcc, s[10:11]
	v_pk_mov_b32 v[2:3], v[8:9], v[8:9] op_sel:[0,1]
	s_andn2_b64 exec, exec, s[10:11]
	s_cbranch_execz .LBB29_630
.LBB29_315:                             ; =>This Inner Loop Header: Depth=1
	v_and_b32_e32 v7, 1, v2
	v_cmp_eq_u32_e32 vcc, 1, v7
	s_and_saveexec_b64 s[16:17], vcc
	s_cbranch_execz .LBB29_314
; %bb.316:                              ;   in Loop: Header=BB29_315 Depth=1
	v_mul_lo_u32 v7, s15, v4
	v_mul_lo_u32 v8, s14, v5
	v_mad_u64_u32 v[4:5], s[4:5], s14, v4, 0
	s_add_u32 s4, 0x402, s20
	v_add3_u32 v5, v5, v8, v7
	s_addc_u32 s5, 0, 0
	v_add_co_u32_e32 v7, vcc, s4, v6
	s_cmp_lg_u64 vcc, 0
	v_readfirstlane_b32 s21, v7
	s_addc_u32 s4, s5, 1
	s_mul_hi_u32 s26, s21, 0x80000001
	s_mul_i32 s5, s4, 0x80000001
	s_sub_i32 s26, s26, s21
	s_add_i32 s26, s26, s5
	s_mul_i32 s28, s21, 0x80000001
	s_mul_hi_u32 s5, s21, s26
	s_mul_i32 s27, s21, s26
	s_mul_hi_u32 s21, s21, s28
	s_add_u32 s21, s21, s27
	s_addc_u32 s5, 0, s5
	s_mul_hi_u32 s29, s4, s28
	s_mul_i32 s28, s4, s28
	s_add_u32 s21, s21, s28
	s_mul_hi_u32 s27, s4, s26
	s_addc_u32 s5, s5, s29
	s_addc_u32 s21, s27, 0
	s_mul_i32 s26, s4, s26
	s_add_u32 s5, s5, s26
	s_addc_u32 s21, 0, s21
	v_add_co_u32_e32 v7, vcc, s5, v7
	s_cmp_lg_u64 vcc, 0
	s_addc_u32 s21, s4, s21
	v_mad_u64_u32 v[8:9], s[4:5], v4, s21, 0
	v_mul_hi_u32 v14, v4, v7
	v_add_co_u32_e32 v16, vcc, v14, v8
	v_addc_co_u32_e32 v17, vcc, 0, v9, vcc
	v_mad_u64_u32 v[14:15], s[4:5], v5, v7, 0
	v_add_co_u32_e32 v7, vcc, v16, v14
	v_mad_u64_u32 v[8:9], s[4:5], v5, s21, 0
	v_addc_co_u32_e32 v7, vcc, v17, v15, vcc
	v_addc_co_u32_e32 v9, vcc, 0, v9, vcc
	v_add_co_u32_e32 v7, vcc, v7, v8
	v_addc_co_u32_e32 v15, vcc, 0, v9, vcc
	v_mad_u64_u32 v[8:9], s[4:5], v7, s18, 0
	v_mov_b32_e32 v14, v9
	v_mad_u64_u32 v[14:15], s[4:5], v15, s18, v[14:15]
	v_sub_co_u32_e32 v4, vcc, v4, v8
	v_subb_co_u32_e32 v5, vcc, v5, v14, vcc
	v_subrev_co_u32_e32 v7, vcc, s18, v4
	v_subbrev_co_u32_e32 v8, vcc, 0, v5, vcc
	v_subrev_co_u32_e32 v9, vcc, s18, v7
	v_subbrev_co_u32_e32 v14, vcc, 0, v8, vcc
	v_cmp_lt_u32_e32 vcc, s19, v7
	v_cndmask_b32_e64 v15, 0, -1, vcc
	v_cmp_eq_u32_e32 vcc, 0, v8
	v_cndmask_b32_e32 v15, -1, v15, vcc
	v_cmp_ne_u32_e32 vcc, 0, v15
	v_cmp_lt_u32_e64 s[4:5], s19, v4
	v_cndmask_b32_e32 v8, v8, v14, vcc
	v_cndmask_b32_e64 v14, 0, -1, s[4:5]
	v_cmp_eq_u32_e64 s[4:5], 0, v5
	v_cndmask_b32_e64 v14, -1, v14, s[4:5]
	v_cmp_ne_u32_e64 s[4:5], 0, v14
	v_cndmask_b32_e32 v7, v7, v9, vcc
	v_cndmask_b32_e64 v5, v5, v8, s[4:5]
	v_cndmask_b32_e64 v4, v4, v7, s[4:5]
	s_branch .LBB29_314
.LBB29_317:
	s_or_b64 exec, exec, s[10:11]
	s_movk_i32 s4, 0x401
	s_add_u32 s4, 0x402, s4
	v_mov_b32_e32 v3, 0xfffff800
	s_addc_u32 s5, 0, 0
	v_add_co_u32_e32 v3, vcc, s4, v3
	s_cmp_lg_u64 vcc, 0
	v_readfirstlane_b32 s10, v3
	s_addc_u32 s4, s5, 1
	s_mul_hi_u32 s11, s10, 0x80000001
	s_mul_i32 s5, s4, 0x80000001
	s_sub_i32 s11, s11, s10
	s_add_i32 s11, s11, s5
	s_mul_i32 s15, s10, 0x80000001
	s_mul_hi_u32 s5, s10, s11
	s_mul_i32 s14, s10, s11
	s_mul_hi_u32 s10, s10, s15
	s_add_u32 s10, s10, s14
	s_addc_u32 s5, 0, s5
	s_mul_hi_u32 s16, s4, s15
	s_mul_i32 s15, s4, s15
	s_add_u32 s10, s10, s15
	s_mul_hi_u32 s14, s4, s11
	s_addc_u32 s5, s5, s16
	s_addc_u32 s10, s14, 0
	s_mul_i32 s11, s4, s11
	s_add_u32 s5, s5, s11
	s_addc_u32 s10, 0, s10
	v_add_co_u32_e32 v3, vcc, s5, v3
	s_cmp_lg_u64 vcc, 0
	s_addc_u32 s10, s4, s10
	v_mad_u64_u32 v[4:5], s[4:5], v6, s10, 0
	v_mul_hi_u32 v15, v6, v3
	v_add_co_u32_e32 v15, vcc, v15, v4
	v_addc_co_u32_e32 v22, vcc, 0, v5, vcc
	v_mad_u64_u32 v[16:17], s[4:5], v7, v3, 0
	v_add_co_u32_e32 v3, vcc, v15, v16
	v_mad_u64_u32 v[4:5], s[4:5], v7, s10, 0
	v_addc_co_u32_e32 v3, vcc, v22, v17, vcc
	v_addc_co_u32_e32 v5, vcc, 0, v5, vcc
	v_add_co_u32_e32 v3, vcc, v3, v4
	s_brev_b32 s10, -2
	v_addc_co_u32_e32 v15, vcc, 0, v5, vcc
	v_mad_u64_u32 v[4:5], s[4:5], v3, s10, 0
	v_mov_b32_e32 v16, v5
	v_mad_u64_u32 v[16:17], s[4:5], v15, s10, v[16:17]
	v_sub_co_u32_e32 v3, vcc, v6, v4
	v_subb_co_u32_e32 v4, vcc, v7, v16, vcc
	v_subrev_co_u32_e32 v5, vcc, 0x7fffffff, v3
	v_subbrev_co_u32_e32 v6, vcc, 0, v4, vcc
	s_mov_b32 s4, 0x7ffffffe
	v_cmp_lt_u32_e32 vcc, s4, v5
	v_cndmask_b32_e64 v7, 0, -1, vcc
	v_cmp_eq_u32_e32 vcc, 0, v6
	v_cndmask_b32_e32 v6, -1, v7, vcc
	v_add_u32_e32 v7, 0x80000001, v5
	v_cmp_ne_u32_e32 vcc, 0, v6
	v_cndmask_b32_e32 v5, v5, v7, vcc
	v_cmp_lt_u32_e32 vcc, s4, v3
	v_cndmask_b32_e64 v6, 0, -1, vcc
	v_cmp_eq_u32_e32 vcc, 0, v4
	v_cndmask_b32_e32 v4, -1, v6, vcc
	v_cmp_ne_u32_e32 vcc, 0, v4
	v_cndmask_b32_e32 v5, v3, v5, vcc
.LBB29_318:
	s_or_b64 exec, exec, s[8:9]
	s_movk_i32 s8, 0x1388
	v_mov_b32_e32 v15, 0
	s_mov_b32 s9, 0xbc8f1391
	s_mov_b32 s10, 0xbc8f
	s_brev_b32 s11, 12
	s_mov_b32 s14, 0xf800000
	v_mov_b32_e32 v3, 0x260
.LBB29_319:                             ; =>This Inner Loop Header: Depth=1
	v_mul_hi_u32 v4, v5, s9
	v_lshrrev_b32_e32 v4, 15, v4
	v_mul_u32_u24_e32 v7, 0xadc8, v4
	v_sub_u32_e32 v5, v5, v7
	v_mul_u32_u24_e32 v4, 0xd47, v4
	v_mul_lo_u32 v5, v5, s10
	v_xor_b32_e32 v7, 0x7fffffff, v4
	v_sub_u32_e32 v16, 0, v4
	v_cmp_lt_u32_e32 vcc, v5, v4
	v_cndmask_b32_e32 v4, v16, v7, vcc
	v_add_u32_e32 v4, v4, v5
	v_mul_hi_u32 v7, v4, s9
	v_lshrrev_b32_e32 v7, 15, v7
	v_mul_u32_u24_e32 v16, 0xadc8, v7
	v_add_u32_e32 v5, -1, v4
	v_sub_u32_e32 v4, v4, v16
	v_mul_u32_u24_e32 v7, 0xd47, v7
	v_mul_lo_u32 v4, v4, s10
	v_xor_b32_e32 v16, 0x7fffffff, v7
	v_sub_u32_e32 v17, 0, v7
	v_cmp_lt_u32_e32 vcc, v4, v7
	v_cndmask_b32_e32 v7, v17, v16, vcc
	v_add_u32_e32 v4, v7, v4
	v_mul_hi_u32 v16, v4, s9
	v_add_u32_e32 v7, -1, v4
	v_lshrrev_b32_e32 v16, 15, v16
	v_cvt_f32_u32_e32 v7, v7
	v_mul_u32_u24_e32 v17, 0xadc8, v16
	v_cvt_f32_u32_e32 v5, v5
	v_sub_u32_e32 v4, v4, v17
	v_mul_u32_u24_e32 v16, 0xd47, v16
	v_mul_lo_u32 v4, v4, s10
	v_xor_b32_e32 v17, 0x7fffffff, v16
	v_sub_u32_e32 v22, 0, v16
	v_cmp_lt_u32_e32 vcc, v4, v16
	v_fma_f32 v7, v7, s11, 0
	v_cndmask_b32_e32 v16, v22, v17, vcc
	v_fma_f32 v5, v5, s11, 0
	v_mul_f32_e32 v7, v7, v7
	v_add_u32_e32 v4, v16, v4
	v_fmac_f32_e32 v7, v5, v5
	v_mul_hi_u32 v16, v4, s9
	v_add_u32_e32 v5, -1, v4
	v_mul_f32_e32 v17, 0x4f800000, v7
	v_lshrrev_b32_e32 v16, 15, v16
	v_cmp_gt_f32_e32 vcc, s14, v7
	v_cvt_f32_u32_e32 v5, v5
	v_cndmask_b32_e32 v7, v7, v17, vcc
	v_mul_u32_u24_e32 v17, 0xadc8, v16
	v_sqrt_f32_e32 v22, v7
	v_sub_u32_e32 v4, v4, v17
	v_mul_u32_u24_e32 v16, 0xd47, v16
	v_mul_lo_u32 v4, v4, s10
	v_xor_b32_e32 v17, 0x7fffffff, v16
	v_sub_u32_e32 v23, 0, v16
	v_cmp_lt_u32_e64 s[4:5], v4, v16
	v_fma_f32 v24, v5, s11, 0
	v_cndmask_b32_e64 v5, v23, v17, s[4:5]
	v_add_u32_e32 v5, v5, v4
	v_add_u32_e32 v4, -1, v22
	v_add_u32_e32 v16, 1, v22
	v_add_u32_e32 v17, -1, v5
	v_fma_f32 v23, -v4, v22, v7
	v_fma_f32 v25, -v16, v22, v7
	v_cvt_f32_u32_e32 v17, v17
	v_cmp_ge_f32_e64 s[4:5], 0, v23
	v_cndmask_b32_e64 v4, v22, v4, s[4:5]
	v_cmp_lt_f32_e64 s[4:5], 0, v25
	v_cndmask_b32_e64 v4, v4, v16, s[4:5]
	v_mul_f32_e32 v16, 0x37800000, v4
	v_cndmask_b32_e32 v4, v4, v16, vcc
	v_fma_f32 v16, v17, s11, 0
	v_cmp_class_f32_e32 vcc, v7, v3
	v_cndmask_b32_e32 v4, v4, v7, vcc
	v_mul_f32_e32 v7, v16, v16
	v_add_f32_e32 v6, 1.0, v15
	v_cmp_nge_f32_e32 vcc, 1.0, v4
	v_fmac_f32_e32 v7, v24, v24
	v_cndmask_b32_e32 v4, v6, v15, vcc
	v_mul_f32_e32 v6, 0x4f800000, v7
	v_cmp_gt_f32_e32 vcc, s14, v7
	v_cndmask_b32_e32 v6, v7, v6, vcc
	v_sqrt_f32_e32 v7, v6
	s_add_i32 s8, s8, -2
	v_add_f32_e32 v15, 1.0, v4
	s_cmp_lg_u32 s8, 0
	v_add_u32_e32 v16, -1, v7
	v_add_u32_e32 v17, 1, v7
	v_fma_f32 v22, -v16, v7, v6
	v_fma_f32 v23, -v17, v7, v6
	v_cmp_ge_f32_e64 s[4:5], 0, v22
	v_cndmask_b32_e64 v7, v7, v16, s[4:5]
	v_cmp_lt_f32_e64 s[4:5], 0, v23
	v_cndmask_b32_e64 v7, v7, v17, s[4:5]
	v_mul_f32_e32 v16, 0x37800000, v7
	v_cndmask_b32_e32 v7, v7, v16, vcc
	v_cmp_class_f32_e32 vcc, v6, v3
	v_cndmask_b32_e32 v6, v7, v6, vcc
	v_cmp_nge_f32_e32 vcc, 1.0, v6
	v_cndmask_b32_e32 v15, v15, v4, vcc
	s_cbranch_scc1 .LBB29_319
; %bb.320:
	v_add_u32_e32 v4, 0x4e2000, v2
	v_cmp_ne_u32_e32 vcc, 0, v4
	v_mov_b32_e32 v5, 1
	s_and_saveexec_b64 s[8:9], vcc
	s_cbranch_execz .LBB29_334
; %bb.321:
	v_mov_b32_e32 v6, 1
	v_mov_b32_e32 v5, 0
	s_mov_b64 s[14:15], 0xbc8f
	s_mov_b64 s[10:11], 0
	v_mov_b32_e32 v7, 0
	s_brev_b32 s19, -2
	s_mov_b32 s20, 0x7ffffffe
	v_mov_b32_e32 v3, 0xfffff800
	s_movk_i32 s21, 0x401
	s_branch .LBB29_323
.LBB29_322:                             ;   in Loop: Header=BB29_323 Depth=1
	s_or_b64 exec, exec, s[16:17]
	s_mul_i32 s4, s14, s15
	s_mul_hi_u32 s5, s14, s14
	s_add_i32 s5, s5, s4
	s_add_i32 s4, s5, s4
	s_mul_i32 s5, s14, s14
	s_add_u32 s14, 0x402, s21
	s_addc_u32 s15, 0, 0
	v_add_co_u32_e32 v22, vcc, s14, v3
	s_cmp_lg_u64 vcc, 0
	v_readfirstlane_b32 s16, v22
	s_addc_u32 s14, s15, 1
	s_mul_hi_u32 s17, s16, 0x80000001
	s_mul_i32 s15, s14, 0x80000001
	s_sub_i32 s17, s17, s16
	s_add_i32 s17, s17, s15
	s_mul_i32 s23, s16, 0x80000001
	s_mul_hi_u32 s15, s16, s17
	s_mul_i32 s22, s16, s17
	s_mul_hi_u32 s16, s16, s23
	s_add_u32 s16, s16, s22
	s_addc_u32 s15, 0, s15
	s_mul_hi_u32 s24, s14, s23
	s_mul_i32 s23, s14, s23
	s_add_u32 s16, s16, s23
	s_mul_hi_u32 s22, s14, s17
	s_addc_u32 s15, s15, s24
	s_addc_u32 s16, s22, 0
	s_mul_i32 s17, s14, s17
	s_add_u32 s15, s15, s17
	s_addc_u32 s16, 0, s16
	v_add_co_u32_e32 v22, vcc, s15, v22
	s_cmp_lg_u64 vcc, 0
	s_addc_u32 s14, s14, s16
	v_readfirstlane_b32 s17, v22
	s_mul_i32 s16, s5, s14
	s_mul_hi_u32 s22, s5, s17
	s_mul_hi_u32 s15, s5, s14
	s_add_u32 s16, s22, s16
	s_addc_u32 s15, 0, s15
	s_mul_hi_u32 s23, s4, s17
	s_mul_i32 s17, s4, s17
	s_add_u32 s16, s16, s17
	s_mul_hi_u32 s22, s4, s14
	s_addc_u32 s15, s15, s23
	s_addc_u32 s16, s22, 0
	s_mul_i32 s14, s4, s14
	s_add_u32 s14, s15, s14
	s_addc_u32 s15, 0, s16
	s_mul_hi_u32 s16, s14, 0x7fffffff
	s_mul_i32 s14, s14, 0x7fffffff
	s_mul_i32 s15, s15, 0x7fffffff
	v_mov_b32_e32 v22, s14
	s_add_i32 s16, s16, s15
	v_sub_co_u32_e32 v22, vcc, s5, v22
	s_cmp_lg_u64 vcc, 0
	s_subb_u32 s4, s4, s16
	v_subrev_co_u32_e32 v23, vcc, s19, v22
	s_cmp_lg_u64 vcc, 0
	s_subb_u32 s5, s4, 0
	v_subrev_co_u32_e32 v24, vcc, s19, v23
	s_cmp_lg_u64 vcc, 0
	s_subb_u32 s14, s5, 0
	v_readfirstlane_b32 s15, v23
	s_cmp_gt_u32 s15, 0x7ffffffe
	s_cselect_b32 s16, -1, 0
	s_cmp_eq_u32 s5, 0
	s_cselect_b32 s16, s16, -1
	s_cmp_lg_u32 s16, 0
	s_cselect_b32 s5, s14, s5
	v_readfirstlane_b32 s14, v24
	v_readfirstlane_b32 s16, v22
	s_cselect_b32 s14, s14, s15
	s_cmp_gt_u32 s16, 0x7ffffffe
	s_cselect_b32 s15, -1, 0
	s_cmp_eq_u32 s4, 0
	s_cselect_b32 s15, s15, -1
	v_lshrrev_b64 v[16:17], 1, v[4:5]
	s_cmp_lg_u32 s15, 0
	v_cmp_gt_u64_e32 vcc, 2, v[4:5]
	s_cselect_b32 s15, s5, s4
	s_cselect_b32 s14, s14, s16
	s_or_b64 s[10:11], vcc, s[10:11]
	v_pk_mov_b32 v[4:5], v[16:17], v[16:17] op_sel:[0,1]
	s_andn2_b64 exec, exec, s[10:11]
	s_cbranch_execz .LBB29_333
.LBB29_323:                             ; =>This Inner Loop Header: Depth=1
	v_and_b32_e32 v16, 1, v4
	v_cmp_eq_u32_e32 vcc, 1, v16
	s_and_saveexec_b64 s[16:17], vcc
	s_cbranch_execz .LBB29_322
; %bb.324:                              ;   in Loop: Header=BB29_323 Depth=1
	v_mul_lo_u32 v16, s15, v6
	v_mul_lo_u32 v17, s14, v7
	v_mad_u64_u32 v[6:7], s[4:5], s14, v6, 0
	s_add_u32 s4, 0x402, s21
	v_add3_u32 v7, v7, v17, v16
	s_addc_u32 s5, 0, 0
	v_add_co_u32_e32 v16, vcc, s4, v3
	s_cmp_lg_u64 vcc, 0
	v_readfirstlane_b32 s22, v16
	s_addc_u32 s4, s5, 1
	s_mul_hi_u32 s23, s22, 0x80000001
	s_mul_i32 s5, s4, 0x80000001
	s_sub_i32 s23, s23, s22
	s_add_i32 s23, s23, s5
	s_mul_i32 s25, s22, 0x80000001
	s_mul_hi_u32 s5, s22, s23
	s_mul_i32 s24, s22, s23
	s_mul_hi_u32 s22, s22, s25
	s_add_u32 s22, s22, s24
	s_addc_u32 s5, 0, s5
	s_mul_hi_u32 s26, s4, s25
	s_mul_i32 s25, s4, s25
	s_add_u32 s22, s22, s25
	s_mul_hi_u32 s24, s4, s23
	s_addc_u32 s5, s5, s26
	s_addc_u32 s22, s24, 0
	s_mul_i32 s23, s4, s23
	s_add_u32 s5, s5, s23
	s_addc_u32 s22, 0, s22
	v_add_co_u32_e32 v22, vcc, s5, v16
	s_cmp_lg_u64 vcc, 0
	s_addc_u32 s22, s4, s22
	v_mad_u64_u32 v[16:17], s[4:5], v6, s22, 0
	v_mul_hi_u32 v23, v6, v22
	v_add_co_u32_e32 v24, vcc, v23, v16
	v_addc_co_u32_e32 v25, vcc, 0, v17, vcc
	v_mad_u64_u32 v[22:23], s[4:5], v7, v22, 0
	v_add_co_u32_e32 v22, vcc, v24, v22
	v_mad_u64_u32 v[16:17], s[4:5], v7, s22, 0
	v_addc_co_u32_e32 v22, vcc, v25, v23, vcc
	v_addc_co_u32_e32 v17, vcc, 0, v17, vcc
	v_add_co_u32_e32 v16, vcc, v22, v16
	v_addc_co_u32_e32 v23, vcc, 0, v17, vcc
	v_mad_u64_u32 v[16:17], s[4:5], v16, s19, 0
	v_mov_b32_e32 v22, v17
	v_mad_u64_u32 v[22:23], s[4:5], v23, s19, v[22:23]
	v_sub_co_u32_e32 v6, vcc, v6, v16
	v_subb_co_u32_e32 v7, vcc, v7, v22, vcc
	v_subrev_co_u32_e32 v16, vcc, s19, v6
	v_subbrev_co_u32_e32 v17, vcc, 0, v7, vcc
	v_subrev_co_u32_e32 v22, vcc, s19, v16
	v_subbrev_co_u32_e32 v23, vcc, 0, v17, vcc
	v_cmp_lt_u32_e32 vcc, s20, v16
	v_cndmask_b32_e64 v24, 0, -1, vcc
	v_cmp_eq_u32_e32 vcc, 0, v17
	v_cndmask_b32_e32 v24, -1, v24, vcc
	v_cmp_ne_u32_e32 vcc, 0, v24
	v_cmp_lt_u32_e64 s[4:5], s20, v6
	v_cndmask_b32_e32 v17, v17, v23, vcc
	v_cndmask_b32_e64 v23, 0, -1, s[4:5]
	v_cmp_eq_u32_e64 s[4:5], 0, v7
	v_cndmask_b32_e64 v23, -1, v23, s[4:5]
	v_cmp_ne_u32_e64 s[4:5], 0, v23
	v_cndmask_b32_e32 v16, v16, v22, vcc
	v_cndmask_b32_e64 v7, v7, v17, s[4:5]
	v_cndmask_b32_e64 v6, v6, v16, s[4:5]
	s_branch .LBB29_322
.LBB29_325:
	s_or_b64 exec, exec, s[10:11]
	s_movk_i32 s4, 0x401
	s_add_u32 s4, 0x402, s4
	v_mov_b32_e32 v5, 0xfffff800
	s_addc_u32 s5, 0, 0
	v_add_co_u32_e32 v5, vcc, s4, v5
	s_cmp_lg_u64 vcc, 0
	v_readfirstlane_b32 s10, v5
	s_addc_u32 s4, s5, 1
	s_mul_hi_u32 s11, s10, 0x80000001
	s_mul_i32 s5, s4, 0x80000001
	s_sub_i32 s11, s11, s10
	s_add_i32 s11, s11, s5
	s_mul_i32 s15, s10, 0x80000001
	s_mul_hi_u32 s5, s10, s11
	s_mul_i32 s14, s10, s11
	s_mul_hi_u32 s10, s10, s15
	s_add_u32 s10, s10, s14
	s_addc_u32 s5, 0, s5
	s_mul_hi_u32 s16, s4, s15
	s_mul_i32 s15, s4, s15
	s_add_u32 s10, s10, s15
	s_mul_hi_u32 s14, s4, s11
	s_addc_u32 s5, s5, s16
	s_addc_u32 s10, s14, 0
	s_mul_i32 s11, s4, s11
	s_add_u32 s5, s5, s11
	s_addc_u32 s10, 0, s10
	v_add_co_u32_e32 v5, vcc, s5, v5
	s_cmp_lg_u64 vcc, 0
	s_addc_u32 s10, s4, s10
	v_mad_u64_u32 v[6:7], s[4:5], v8, s10, 0
	v_mul_hi_u32 v19, v8, v5
	v_add_co_u32_e32 v19, vcc, v19, v6
	v_addc_co_u32_e32 v22, vcc, 0, v7, vcc
	v_mad_u64_u32 v[20:21], s[4:5], v9, v5, 0
	v_add_co_u32_e32 v5, vcc, v19, v20
	v_mad_u64_u32 v[6:7], s[4:5], v9, s10, 0
	v_addc_co_u32_e32 v5, vcc, v22, v21, vcc
	v_addc_co_u32_e32 v7, vcc, 0, v7, vcc
	v_add_co_u32_e32 v5, vcc, v5, v6
	s_brev_b32 s10, -2
	v_addc_co_u32_e32 v19, vcc, 0, v7, vcc
	v_mad_u64_u32 v[6:7], s[4:5], v5, s10, 0
	v_mov_b32_e32 v20, v7
	v_mad_u64_u32 v[20:21], s[4:5], v19, s10, v[20:21]
	v_sub_co_u32_e32 v5, vcc, v8, v6
	v_subb_co_u32_e32 v6, vcc, v9, v20, vcc
	v_subrev_co_u32_e32 v7, vcc, 0x7fffffff, v5
	v_subbrev_co_u32_e32 v8, vcc, 0, v6, vcc
	s_mov_b32 s4, 0x7ffffffe
	v_cmp_lt_u32_e32 vcc, s4, v7
	v_cndmask_b32_e64 v9, 0, -1, vcc
	v_cmp_eq_u32_e32 vcc, 0, v8
	v_cndmask_b32_e32 v8, -1, v9, vcc
	v_add_u32_e32 v9, 0x80000001, v7
	v_cmp_ne_u32_e32 vcc, 0, v8
	v_cndmask_b32_e32 v7, v7, v9, vcc
	v_cmp_lt_u32_e32 vcc, s4, v5
	v_cndmask_b32_e64 v8, 0, -1, vcc
	v_cmp_eq_u32_e32 vcc, 0, v6
	v_cndmask_b32_e32 v6, -1, v8, vcc
	v_cmp_ne_u32_e32 vcc, 0, v6
	v_cndmask_b32_e32 v7, v5, v7, vcc
.LBB29_326:
	s_or_b64 exec, exec, s[8:9]
	s_movk_i32 s8, 0x1388
	v_mov_b32_e32 v19, 0
	s_mov_b32 s9, 0xbc8f1391
	s_mov_b32 s10, 0xbc8f
	s_brev_b32 s11, 12
	s_mov_b32 s14, 0xf800000
	v_mov_b32_e32 v5, 0x260
.LBB29_327:                             ; =>This Inner Loop Header: Depth=1
	v_mul_hi_u32 v6, v7, s9
	v_lshrrev_b32_e32 v6, 15, v6
	v_mul_u32_u24_e32 v9, 0xadc8, v6
	v_sub_u32_e32 v7, v7, v9
	v_mul_u32_u24_e32 v6, 0xd47, v6
	v_mul_lo_u32 v7, v7, s10
	v_xor_b32_e32 v9, 0x7fffffff, v6
	v_sub_u32_e32 v20, 0, v6
	v_cmp_lt_u32_e32 vcc, v7, v6
	v_cndmask_b32_e32 v6, v20, v9, vcc
	v_add_u32_e32 v6, v6, v7
	v_mul_hi_u32 v9, v6, s9
	v_lshrrev_b32_e32 v9, 15, v9
	v_mul_u32_u24_e32 v20, 0xadc8, v9
	v_add_u32_e32 v7, -1, v6
	v_sub_u32_e32 v6, v6, v20
	v_mul_u32_u24_e32 v9, 0xd47, v9
	v_mul_lo_u32 v6, v6, s10
	v_xor_b32_e32 v20, 0x7fffffff, v9
	v_sub_u32_e32 v21, 0, v9
	v_cmp_lt_u32_e32 vcc, v6, v9
	v_cndmask_b32_e32 v9, v21, v20, vcc
	v_add_u32_e32 v6, v9, v6
	v_mul_hi_u32 v20, v6, s9
	v_add_u32_e32 v9, -1, v6
	v_lshrrev_b32_e32 v20, 15, v20
	v_cvt_f32_u32_e32 v9, v9
	v_mul_u32_u24_e32 v21, 0xadc8, v20
	v_cvt_f32_u32_e32 v7, v7
	v_sub_u32_e32 v6, v6, v21
	v_mul_u32_u24_e32 v20, 0xd47, v20
	v_mul_lo_u32 v6, v6, s10
	v_xor_b32_e32 v21, 0x7fffffff, v20
	v_sub_u32_e32 v22, 0, v20
	v_cmp_lt_u32_e32 vcc, v6, v20
	v_fma_f32 v9, v9, s11, 0
	v_cndmask_b32_e32 v20, v22, v21, vcc
	v_fma_f32 v7, v7, s11, 0
	v_mul_f32_e32 v9, v9, v9
	v_add_u32_e32 v6, v20, v6
	v_fmac_f32_e32 v9, v7, v7
	v_mul_hi_u32 v20, v6, s9
	v_add_u32_e32 v7, -1, v6
	v_mul_f32_e32 v21, 0x4f800000, v9
	v_lshrrev_b32_e32 v20, 15, v20
	v_cmp_gt_f32_e32 vcc, s14, v9
	v_cvt_f32_u32_e32 v7, v7
	v_cndmask_b32_e32 v9, v9, v21, vcc
	v_mul_u32_u24_e32 v21, 0xadc8, v20
	v_sqrt_f32_e32 v22, v9
	v_sub_u32_e32 v6, v6, v21
	v_mul_u32_u24_e32 v20, 0xd47, v20
	v_mul_lo_u32 v6, v6, s10
	v_xor_b32_e32 v21, 0x7fffffff, v20
	v_sub_u32_e32 v23, 0, v20
	v_cmp_lt_u32_e64 s[4:5], v6, v20
	v_fma_f32 v24, v7, s11, 0
	v_cndmask_b32_e64 v7, v23, v21, s[4:5]
	v_add_u32_e32 v7, v7, v6
	v_add_u32_e32 v6, -1, v22
	v_add_u32_e32 v20, 1, v22
	v_add_u32_e32 v21, -1, v7
	v_fma_f32 v23, -v6, v22, v9
	v_fma_f32 v25, -v20, v22, v9
	v_cvt_f32_u32_e32 v21, v21
	v_cmp_ge_f32_e64 s[4:5], 0, v23
	v_cndmask_b32_e64 v6, v22, v6, s[4:5]
	v_cmp_lt_f32_e64 s[4:5], 0, v25
	v_cndmask_b32_e64 v6, v6, v20, s[4:5]
	v_mul_f32_e32 v20, 0x37800000, v6
	v_cndmask_b32_e32 v6, v6, v20, vcc
	v_fma_f32 v20, v21, s11, 0
	v_cmp_class_f32_e32 vcc, v9, v5
	v_cndmask_b32_e32 v6, v6, v9, vcc
	v_mul_f32_e32 v9, v20, v20
	v_add_f32_e32 v8, 1.0, v19
	v_cmp_nge_f32_e32 vcc, 1.0, v6
	v_fmac_f32_e32 v9, v24, v24
	v_cndmask_b32_e32 v6, v8, v19, vcc
	v_mul_f32_e32 v8, 0x4f800000, v9
	v_cmp_gt_f32_e32 vcc, s14, v9
	v_cndmask_b32_e32 v8, v9, v8, vcc
	v_sqrt_f32_e32 v9, v8
	s_add_i32 s8, s8, -2
	v_add_f32_e32 v19, 1.0, v6
	s_cmp_lg_u32 s8, 0
	v_add_u32_e32 v20, -1, v9
	v_add_u32_e32 v21, 1, v9
	v_fma_f32 v22, -v20, v9, v8
	v_fma_f32 v23, -v21, v9, v8
	v_cmp_ge_f32_e64 s[4:5], 0, v22
	v_cndmask_b32_e64 v9, v9, v20, s[4:5]
	v_cmp_lt_f32_e64 s[4:5], 0, v23
	v_cndmask_b32_e64 v9, v9, v21, s[4:5]
	v_mul_f32_e32 v20, 0x37800000, v9
	v_cndmask_b32_e32 v9, v9, v20, vcc
	v_cmp_class_f32_e32 vcc, v8, v5
	v_cndmask_b32_e32 v8, v9, v8, vcc
	v_cmp_nge_f32_e32 vcc, 1.0, v8
	v_cndmask_b32_e32 v19, v19, v6, vcc
	s_cbranch_scc1 .LBB29_327
; %bb.328:
	v_add_u32_e32 v6, 0x4e2000, v4
	v_cmp_ne_u32_e32 vcc, 0, v6
	v_mov_b32_e32 v7, 1
	s_and_saveexec_b64 s[8:9], vcc
	s_cbranch_execz .LBB29_342
; %bb.329:
	v_mov_b32_e32 v8, 1
	v_mov_b32_e32 v7, 0
	s_mov_b64 s[14:15], 0xbc8f
	s_mov_b64 s[10:11], 0
	v_mov_b32_e32 v9, 0
	s_brev_b32 s19, -2
	s_mov_b32 s20, 0x7ffffffe
	v_mov_b32_e32 v5, 0xfffff800
	s_movk_i32 s21, 0x401
	s_branch .LBB29_331
.LBB29_330:                             ;   in Loop: Header=BB29_331 Depth=1
	s_or_b64 exec, exec, s[16:17]
	s_mul_i32 s4, s14, s15
	s_mul_hi_u32 s5, s14, s14
	s_add_i32 s5, s5, s4
	s_add_i32 s4, s5, s4
	s_mul_i32 s5, s14, s14
	s_add_u32 s14, 0x402, s21
	s_addc_u32 s15, 0, 0
	v_add_co_u32_e32 v22, vcc, s14, v5
	s_cmp_lg_u64 vcc, 0
	v_readfirstlane_b32 s16, v22
	s_addc_u32 s14, s15, 1
	s_mul_hi_u32 s17, s16, 0x80000001
	s_mul_i32 s15, s14, 0x80000001
	s_sub_i32 s17, s17, s16
	s_add_i32 s17, s17, s15
	s_mul_i32 s23, s16, 0x80000001
	s_mul_hi_u32 s15, s16, s17
	s_mul_i32 s22, s16, s17
	s_mul_hi_u32 s16, s16, s23
	s_add_u32 s16, s16, s22
	s_addc_u32 s15, 0, s15
	s_mul_hi_u32 s24, s14, s23
	s_mul_i32 s23, s14, s23
	s_add_u32 s16, s16, s23
	s_mul_hi_u32 s22, s14, s17
	s_addc_u32 s15, s15, s24
	s_addc_u32 s16, s22, 0
	s_mul_i32 s17, s14, s17
	s_add_u32 s15, s15, s17
	s_addc_u32 s16, 0, s16
	v_add_co_u32_e32 v22, vcc, s15, v22
	s_cmp_lg_u64 vcc, 0
	s_addc_u32 s14, s14, s16
	v_readfirstlane_b32 s17, v22
	s_mul_i32 s16, s5, s14
	s_mul_hi_u32 s22, s5, s17
	s_mul_hi_u32 s15, s5, s14
	s_add_u32 s16, s22, s16
	s_addc_u32 s15, 0, s15
	s_mul_hi_u32 s23, s4, s17
	s_mul_i32 s17, s4, s17
	s_add_u32 s16, s16, s17
	s_mul_hi_u32 s22, s4, s14
	s_addc_u32 s15, s15, s23
	s_addc_u32 s16, s22, 0
	s_mul_i32 s14, s4, s14
	s_add_u32 s14, s15, s14
	s_addc_u32 s15, 0, s16
	s_mul_hi_u32 s16, s14, 0x7fffffff
	s_mul_i32 s14, s14, 0x7fffffff
	s_mul_i32 s15, s15, 0x7fffffff
	v_mov_b32_e32 v22, s14
	s_add_i32 s16, s16, s15
	v_sub_co_u32_e32 v22, vcc, s5, v22
	s_cmp_lg_u64 vcc, 0
	s_subb_u32 s4, s4, s16
	v_subrev_co_u32_e32 v23, vcc, s19, v22
	s_cmp_lg_u64 vcc, 0
	s_subb_u32 s5, s4, 0
	v_subrev_co_u32_e32 v24, vcc, s19, v23
	s_cmp_lg_u64 vcc, 0
	s_subb_u32 s14, s5, 0
	v_readfirstlane_b32 s15, v23
	s_cmp_gt_u32 s15, 0x7ffffffe
	s_cselect_b32 s16, -1, 0
	s_cmp_eq_u32 s5, 0
	s_cselect_b32 s16, s16, -1
	s_cmp_lg_u32 s16, 0
	s_cselect_b32 s5, s14, s5
	v_readfirstlane_b32 s14, v24
	v_readfirstlane_b32 s16, v22
	s_cselect_b32 s14, s14, s15
	s_cmp_gt_u32 s16, 0x7ffffffe
	s_cselect_b32 s15, -1, 0
	s_cmp_eq_u32 s4, 0
	s_cselect_b32 s15, s15, -1
	v_lshrrev_b64 v[20:21], 1, v[6:7]
	s_cmp_lg_u32 s15, 0
	v_cmp_gt_u64_e32 vcc, 2, v[6:7]
	s_cselect_b32 s15, s5, s4
	s_cselect_b32 s14, s14, s16
	s_or_b64 s[10:11], vcc, s[10:11]
	v_pk_mov_b32 v[6:7], v[20:21], v[20:21] op_sel:[0,1]
	s_andn2_b64 exec, exec, s[10:11]
	s_cbranch_execz .LBB29_341
.LBB29_331:                             ; =>This Inner Loop Header: Depth=1
	v_and_b32_e32 v20, 1, v6
	v_cmp_eq_u32_e32 vcc, 1, v20
	s_and_saveexec_b64 s[16:17], vcc
	s_cbranch_execz .LBB29_330
; %bb.332:                              ;   in Loop: Header=BB29_331 Depth=1
	v_mul_lo_u32 v20, s15, v8
	v_mul_lo_u32 v21, s14, v9
	v_mad_u64_u32 v[8:9], s[4:5], s14, v8, 0
	s_add_u32 s4, 0x402, s21
	v_add3_u32 v9, v9, v21, v20
	s_addc_u32 s5, 0, 0
	v_add_co_u32_e32 v20, vcc, s4, v5
	s_cmp_lg_u64 vcc, 0
	v_readfirstlane_b32 s22, v20
	s_addc_u32 s4, s5, 1
	s_mul_hi_u32 s23, s22, 0x80000001
	s_mul_i32 s5, s4, 0x80000001
	s_sub_i32 s23, s23, s22
	s_add_i32 s23, s23, s5
	s_mul_i32 s25, s22, 0x80000001
	s_mul_hi_u32 s5, s22, s23
	s_mul_i32 s24, s22, s23
	s_mul_hi_u32 s22, s22, s25
	s_add_u32 s22, s22, s24
	s_addc_u32 s5, 0, s5
	s_mul_hi_u32 s26, s4, s25
	s_mul_i32 s25, s4, s25
	s_add_u32 s22, s22, s25
	s_mul_hi_u32 s24, s4, s23
	s_addc_u32 s5, s5, s26
	s_addc_u32 s22, s24, 0
	s_mul_i32 s23, s4, s23
	s_add_u32 s5, s5, s23
	s_addc_u32 s22, 0, s22
	v_add_co_u32_e32 v22, vcc, s5, v20
	s_cmp_lg_u64 vcc, 0
	s_addc_u32 s22, s4, s22
	v_mad_u64_u32 v[20:21], s[4:5], v8, s22, 0
	v_mul_hi_u32 v23, v8, v22
	v_add_co_u32_e32 v24, vcc, v23, v20
	v_addc_co_u32_e32 v25, vcc, 0, v21, vcc
	v_mad_u64_u32 v[22:23], s[4:5], v9, v22, 0
	v_add_co_u32_e32 v22, vcc, v24, v22
	v_mad_u64_u32 v[20:21], s[4:5], v9, s22, 0
	v_addc_co_u32_e32 v22, vcc, v25, v23, vcc
	v_addc_co_u32_e32 v21, vcc, 0, v21, vcc
	v_add_co_u32_e32 v20, vcc, v22, v20
	v_addc_co_u32_e32 v23, vcc, 0, v21, vcc
	v_mad_u64_u32 v[20:21], s[4:5], v20, s19, 0
	v_mov_b32_e32 v22, v21
	v_mad_u64_u32 v[22:23], s[4:5], v23, s19, v[22:23]
	v_sub_co_u32_e32 v8, vcc, v8, v20
	v_subb_co_u32_e32 v9, vcc, v9, v22, vcc
	v_subrev_co_u32_e32 v20, vcc, s19, v8
	v_subbrev_co_u32_e32 v21, vcc, 0, v9, vcc
	v_subrev_co_u32_e32 v22, vcc, s19, v20
	v_subbrev_co_u32_e32 v23, vcc, 0, v21, vcc
	v_cmp_lt_u32_e32 vcc, s20, v20
	v_cndmask_b32_e64 v24, 0, -1, vcc
	v_cmp_eq_u32_e32 vcc, 0, v21
	v_cndmask_b32_e32 v24, -1, v24, vcc
	v_cmp_ne_u32_e32 vcc, 0, v24
	v_cmp_lt_u32_e64 s[4:5], s20, v8
	v_cndmask_b32_e32 v21, v21, v23, vcc
	v_cndmask_b32_e64 v23, 0, -1, s[4:5]
	v_cmp_eq_u32_e64 s[4:5], 0, v9
	v_cndmask_b32_e64 v23, -1, v23, s[4:5]
	v_cmp_ne_u32_e64 s[4:5], 0, v23
	v_cndmask_b32_e32 v20, v20, v22, vcc
	v_cndmask_b32_e64 v9, v9, v21, s[4:5]
	v_cndmask_b32_e64 v8, v8, v20, s[4:5]
	s_branch .LBB29_330
.LBB29_333:
	s_or_b64 exec, exec, s[10:11]
	s_movk_i32 s4, 0x401
	s_add_u32 s4, 0x402, s4
	v_mov_b32_e32 v3, 0xfffff800
	s_addc_u32 s5, 0, 0
	v_add_co_u32_e32 v3, vcc, s4, v3
	s_cmp_lg_u64 vcc, 0
	v_readfirstlane_b32 s10, v3
	s_addc_u32 s4, s5, 1
	s_mul_hi_u32 s11, s10, 0x80000001
	s_mul_i32 s5, s4, 0x80000001
	s_sub_i32 s11, s11, s10
	s_add_i32 s11, s11, s5
	s_mul_i32 s15, s10, 0x80000001
	s_mul_hi_u32 s5, s10, s11
	s_mul_i32 s14, s10, s11
	s_mul_hi_u32 s10, s10, s15
	s_add_u32 s10, s10, s14
	s_addc_u32 s5, 0, s5
	s_mul_hi_u32 s16, s4, s15
	s_mul_i32 s15, s4, s15
	s_add_u32 s10, s10, s15
	s_mul_hi_u32 s14, s4, s11
	s_addc_u32 s5, s5, s16
	s_addc_u32 s10, s14, 0
	s_mul_i32 s11, s4, s11
	s_add_u32 s5, s5, s11
	s_addc_u32 s10, 0, s10
	v_add_co_u32_e32 v3, vcc, s5, v3
	s_cmp_lg_u64 vcc, 0
	s_addc_u32 s10, s4, s10
	v_mad_u64_u32 v[4:5], s[4:5], v6, s10, 0
	v_mul_hi_u32 v16, v6, v3
	v_add_co_u32_e32 v22, vcc, v16, v4
	v_addc_co_u32_e32 v23, vcc, 0, v5, vcc
	v_mad_u64_u32 v[16:17], s[4:5], v7, v3, 0
	v_add_co_u32_e32 v3, vcc, v22, v16
	v_mad_u64_u32 v[4:5], s[4:5], v7, s10, 0
	v_addc_co_u32_e32 v3, vcc, v23, v17, vcc
	v_addc_co_u32_e32 v5, vcc, 0, v5, vcc
	v_add_co_u32_e32 v3, vcc, v3, v4
	s_brev_b32 s10, -2
	v_addc_co_u32_e32 v17, vcc, 0, v5, vcc
	v_mad_u64_u32 v[4:5], s[4:5], v3, s10, 0
	v_mov_b32_e32 v16, v5
	v_mad_u64_u32 v[16:17], s[4:5], v17, s10, v[16:17]
	v_sub_co_u32_e32 v3, vcc, v6, v4
	v_subb_co_u32_e32 v4, vcc, v7, v16, vcc
	v_subrev_co_u32_e32 v5, vcc, 0x7fffffff, v3
	v_subbrev_co_u32_e32 v6, vcc, 0, v4, vcc
	s_mov_b32 s4, 0x7ffffffe
	v_cmp_lt_u32_e32 vcc, s4, v5
	v_cndmask_b32_e64 v7, 0, -1, vcc
	v_cmp_eq_u32_e32 vcc, 0, v6
	v_cndmask_b32_e32 v6, -1, v7, vcc
	v_add_u32_e32 v7, 0x80000001, v5
	v_cmp_ne_u32_e32 vcc, 0, v6
	v_cndmask_b32_e32 v5, v5, v7, vcc
	v_cmp_lt_u32_e32 vcc, s4, v3
	v_cndmask_b32_e64 v6, 0, -1, vcc
	v_cmp_eq_u32_e32 vcc, 0, v4
	v_cndmask_b32_e32 v4, -1, v6, vcc
	v_cmp_ne_u32_e32 vcc, 0, v4
	v_cndmask_b32_e32 v5, v3, v5, vcc
.LBB29_334:
	s_or_b64 exec, exec, s[8:9]
	s_movk_i32 s8, 0x1388
	v_mov_b32_e32 v16, 0
	s_mov_b32 s9, 0xbc8f1391
	s_mov_b32 s10, 0xbc8f
	s_brev_b32 s11, 12
	s_mov_b32 s14, 0xf800000
	v_mov_b32_e32 v3, 0x260
.LBB29_335:                             ; =>This Inner Loop Header: Depth=1
	v_mul_hi_u32 v4, v5, s9
	v_lshrrev_b32_e32 v4, 15, v4
	v_mul_u32_u24_e32 v7, 0xadc8, v4
	v_sub_u32_e32 v5, v5, v7
	v_mul_u32_u24_e32 v4, 0xd47, v4
	v_mul_lo_u32 v5, v5, s10
	v_xor_b32_e32 v7, 0x7fffffff, v4
	v_sub_u32_e32 v17, 0, v4
	v_cmp_lt_u32_e32 vcc, v5, v4
	v_cndmask_b32_e32 v4, v17, v7, vcc
	v_add_u32_e32 v4, v4, v5
	v_mul_hi_u32 v7, v4, s9
	v_lshrrev_b32_e32 v7, 15, v7
	v_mul_u32_u24_e32 v17, 0xadc8, v7
	v_add_u32_e32 v5, -1, v4
	v_sub_u32_e32 v4, v4, v17
	v_mul_u32_u24_e32 v7, 0xd47, v7
	v_mul_lo_u32 v4, v4, s10
	v_xor_b32_e32 v17, 0x7fffffff, v7
	v_sub_u32_e32 v22, 0, v7
	v_cmp_lt_u32_e32 vcc, v4, v7
	v_cndmask_b32_e32 v7, v22, v17, vcc
	v_add_u32_e32 v4, v7, v4
	v_mul_hi_u32 v17, v4, s9
	v_add_u32_e32 v7, -1, v4
	v_lshrrev_b32_e32 v17, 15, v17
	v_cvt_f32_u32_e32 v7, v7
	v_mul_u32_u24_e32 v22, 0xadc8, v17
	v_cvt_f32_u32_e32 v5, v5
	v_sub_u32_e32 v4, v4, v22
	v_mul_u32_u24_e32 v17, 0xd47, v17
	v_mul_lo_u32 v4, v4, s10
	v_xor_b32_e32 v22, 0x7fffffff, v17
	v_sub_u32_e32 v23, 0, v17
	v_cmp_lt_u32_e32 vcc, v4, v17
	v_fma_f32 v7, v7, s11, 0
	v_cndmask_b32_e32 v17, v23, v22, vcc
	v_fma_f32 v5, v5, s11, 0
	v_mul_f32_e32 v7, v7, v7
	v_add_u32_e32 v4, v17, v4
	v_fmac_f32_e32 v7, v5, v5
	v_mul_hi_u32 v17, v4, s9
	v_add_u32_e32 v5, -1, v4
	v_mul_f32_e32 v22, 0x4f800000, v7
	v_lshrrev_b32_e32 v17, 15, v17
	v_cmp_gt_f32_e32 vcc, s14, v7
	v_cvt_f32_u32_e32 v5, v5
	v_cndmask_b32_e32 v7, v7, v22, vcc
	v_mul_u32_u24_e32 v22, 0xadc8, v17
	v_sqrt_f32_e32 v23, v7
	v_sub_u32_e32 v4, v4, v22
	v_mul_u32_u24_e32 v17, 0xd47, v17
	v_mul_lo_u32 v4, v4, s10
	v_xor_b32_e32 v22, 0x7fffffff, v17
	v_sub_u32_e32 v24, 0, v17
	v_cmp_lt_u32_e64 s[4:5], v4, v17
	v_fma_f32 v25, v5, s11, 0
	v_cndmask_b32_e64 v5, v24, v22, s[4:5]
	v_add_u32_e32 v5, v5, v4
	v_add_u32_e32 v4, -1, v23
	v_add_u32_e32 v17, 1, v23
	v_add_u32_e32 v22, -1, v5
	v_fma_f32 v24, -v4, v23, v7
	v_fma_f32 v28, -v17, v23, v7
	v_cvt_f32_u32_e32 v22, v22
	v_cmp_ge_f32_e64 s[4:5], 0, v24
	v_cndmask_b32_e64 v4, v23, v4, s[4:5]
	v_cmp_lt_f32_e64 s[4:5], 0, v28
	v_cndmask_b32_e64 v4, v4, v17, s[4:5]
	v_mul_f32_e32 v17, 0x37800000, v4
	v_cndmask_b32_e32 v4, v4, v17, vcc
	v_fma_f32 v17, v22, s11, 0
	v_cmp_class_f32_e32 vcc, v7, v3
	v_cndmask_b32_e32 v4, v4, v7, vcc
	v_mul_f32_e32 v7, v17, v17
	v_add_f32_e32 v6, 1.0, v16
	v_cmp_nge_f32_e32 vcc, 1.0, v4
	v_fmac_f32_e32 v7, v25, v25
	v_cndmask_b32_e32 v4, v6, v16, vcc
	v_mul_f32_e32 v6, 0x4f800000, v7
	v_cmp_gt_f32_e32 vcc, s14, v7
	v_cndmask_b32_e32 v6, v7, v6, vcc
	v_sqrt_f32_e32 v7, v6
	s_add_i32 s8, s8, -2
	v_add_f32_e32 v16, 1.0, v4
	s_cmp_lg_u32 s8, 0
	v_add_u32_e32 v17, -1, v7
	v_add_u32_e32 v22, 1, v7
	v_fma_f32 v23, -v17, v7, v6
	v_fma_f32 v24, -v22, v7, v6
	v_cmp_ge_f32_e64 s[4:5], 0, v23
	v_cndmask_b32_e64 v7, v7, v17, s[4:5]
	v_cmp_lt_f32_e64 s[4:5], 0, v24
	v_cndmask_b32_e64 v7, v7, v22, s[4:5]
	v_mul_f32_e32 v17, 0x37800000, v7
	v_cndmask_b32_e32 v7, v7, v17, vcc
	v_cmp_class_f32_e32 vcc, v6, v3
	v_cndmask_b32_e32 v6, v7, v6, vcc
	v_cmp_nge_f32_e32 vcc, 1.0, v6
	v_cndmask_b32_e32 v16, v16, v4, vcc
	s_cbranch_scc1 .LBB29_335
; %bb.336:
	v_add_u32_e32 v4, 0x57e400, v2
	v_cmp_ne_u32_e32 vcc, 0, v4
	v_mov_b32_e32 v5, 1
	s_and_saveexec_b64 s[8:9], vcc
	s_cbranch_execz .LBB29_350
; %bb.337:
	v_mov_b32_e32 v6, 1
	v_mov_b32_e32 v5, 0
	s_mov_b64 s[14:15], 0xbc8f
	s_mov_b64 s[10:11], 0
	v_mov_b32_e32 v7, 0
	s_brev_b32 s19, -2
	s_mov_b32 s20, 0x7ffffffe
	v_mov_b32_e32 v3, 0xfffff800
	s_movk_i32 s21, 0x401
	s_branch .LBB29_339
.LBB29_338:                             ;   in Loop: Header=BB29_339 Depth=1
	s_or_b64 exec, exec, s[16:17]
	s_mul_i32 s4, s14, s15
	s_mul_hi_u32 s5, s14, s14
	s_add_i32 s5, s5, s4
	s_add_i32 s4, s5, s4
	s_mul_i32 s5, s14, s14
	s_add_u32 s14, 0x402, s21
	s_addc_u32 s15, 0, 0
	v_add_co_u32_e32 v17, vcc, s14, v3
	s_cmp_lg_u64 vcc, 0
	v_readfirstlane_b32 s16, v17
	s_addc_u32 s14, s15, 1
	s_mul_hi_u32 s17, s16, 0x80000001
	s_mul_i32 s15, s14, 0x80000001
	s_sub_i32 s17, s17, s16
	s_add_i32 s17, s17, s15
	s_mul_i32 s23, s16, 0x80000001
	s_mul_hi_u32 s15, s16, s17
	s_mul_i32 s22, s16, s17
	s_mul_hi_u32 s16, s16, s23
	s_add_u32 s16, s16, s22
	s_addc_u32 s15, 0, s15
	s_mul_hi_u32 s24, s14, s23
	s_mul_i32 s23, s14, s23
	s_add_u32 s16, s16, s23
	s_mul_hi_u32 s22, s14, s17
	s_addc_u32 s15, s15, s24
	s_addc_u32 s16, s22, 0
	s_mul_i32 s17, s14, s17
	s_add_u32 s15, s15, s17
	s_addc_u32 s16, 0, s16
	v_add_co_u32_e32 v17, vcc, s15, v17
	s_cmp_lg_u64 vcc, 0
	s_addc_u32 s14, s14, s16
	v_readfirstlane_b32 s17, v17
	s_mul_i32 s16, s5, s14
	s_mul_hi_u32 s22, s5, s17
	s_mul_hi_u32 s15, s5, s14
	s_add_u32 s16, s22, s16
	s_addc_u32 s15, 0, s15
	s_mul_hi_u32 s23, s4, s17
	s_mul_i32 s17, s4, s17
	s_add_u32 s16, s16, s17
	s_mul_hi_u32 s22, s4, s14
	s_addc_u32 s15, s15, s23
	s_addc_u32 s16, s22, 0
	s_mul_i32 s14, s4, s14
	s_add_u32 s14, s15, s14
	s_addc_u32 s15, 0, s16
	s_mul_hi_u32 s16, s14, 0x7fffffff
	s_mul_i32 s14, s14, 0x7fffffff
	s_mul_i32 s15, s15, 0x7fffffff
	v_mov_b32_e32 v17, s14
	s_add_i32 s16, s16, s15
	v_sub_co_u32_e32 v17, vcc, s5, v17
	s_cmp_lg_u64 vcc, 0
	s_subb_u32 s4, s4, s16
	v_subrev_co_u32_e32 v24, vcc, s19, v17
	s_cmp_lg_u64 vcc, 0
	s_subb_u32 s5, s4, 0
	v_subrev_co_u32_e32 v25, vcc, s19, v24
	s_cmp_lg_u64 vcc, 0
	s_subb_u32 s14, s5, 0
	v_readfirstlane_b32 s15, v24
	s_cmp_gt_u32 s15, 0x7ffffffe
	s_cselect_b32 s16, -1, 0
	s_cmp_eq_u32 s5, 0
	s_cselect_b32 s16, s16, -1
	s_cmp_lg_u32 s16, 0
	s_cselect_b32 s5, s14, s5
	v_readfirstlane_b32 s14, v25
	v_readfirstlane_b32 s16, v17
	s_cselect_b32 s14, s14, s15
	s_cmp_gt_u32 s16, 0x7ffffffe
	s_cselect_b32 s15, -1, 0
	s_cmp_eq_u32 s4, 0
	s_cselect_b32 s15, s15, -1
	v_lshrrev_b64 v[22:23], 1, v[4:5]
	s_cmp_lg_u32 s15, 0
	v_cmp_gt_u64_e32 vcc, 2, v[4:5]
	s_cselect_b32 s15, s5, s4
	s_cselect_b32 s14, s14, s16
	s_or_b64 s[10:11], vcc, s[10:11]
	v_pk_mov_b32 v[4:5], v[22:23], v[22:23] op_sel:[0,1]
	s_andn2_b64 exec, exec, s[10:11]
	s_cbranch_execz .LBB29_349
.LBB29_339:                             ; =>This Inner Loop Header: Depth=1
	v_and_b32_e32 v17, 1, v4
	v_cmp_eq_u32_e32 vcc, 1, v17
	s_and_saveexec_b64 s[16:17], vcc
	s_cbranch_execz .LBB29_338
; %bb.340:                              ;   in Loop: Header=BB29_339 Depth=1
	v_mul_lo_u32 v17, s15, v6
	v_mul_lo_u32 v22, s14, v7
	v_mad_u64_u32 v[6:7], s[4:5], s14, v6, 0
	s_add_u32 s4, 0x402, s21
	v_add3_u32 v7, v7, v22, v17
	s_addc_u32 s5, 0, 0
	v_add_co_u32_e32 v17, vcc, s4, v3
	s_cmp_lg_u64 vcc, 0
	v_readfirstlane_b32 s22, v17
	s_addc_u32 s4, s5, 1
	s_mul_hi_u32 s23, s22, 0x80000001
	s_mul_i32 s5, s4, 0x80000001
	s_sub_i32 s23, s23, s22
	s_add_i32 s23, s23, s5
	s_mul_i32 s25, s22, 0x80000001
	s_mul_hi_u32 s5, s22, s23
	s_mul_i32 s24, s22, s23
	s_mul_hi_u32 s22, s22, s25
	s_add_u32 s22, s22, s24
	s_addc_u32 s5, 0, s5
	s_mul_hi_u32 s26, s4, s25
	s_mul_i32 s25, s4, s25
	s_add_u32 s22, s22, s25
	s_mul_hi_u32 s24, s4, s23
	s_addc_u32 s5, s5, s26
	s_addc_u32 s22, s24, 0
	s_mul_i32 s23, s4, s23
	s_add_u32 s5, s5, s23
	s_addc_u32 s22, 0, s22
	v_add_co_u32_e32 v17, vcc, s5, v17
	s_cmp_lg_u64 vcc, 0
	s_addc_u32 s22, s4, s22
	v_mad_u64_u32 v[22:23], s[4:5], v6, s22, 0
	v_mul_hi_u32 v24, v6, v17
	v_add_co_u32_e32 v28, vcc, v24, v22
	v_addc_co_u32_e32 v29, vcc, 0, v23, vcc
	v_mad_u64_u32 v[24:25], s[4:5], v7, v17, 0
	v_add_co_u32_e32 v17, vcc, v28, v24
	v_mad_u64_u32 v[22:23], s[4:5], v7, s22, 0
	v_addc_co_u32_e32 v17, vcc, v29, v25, vcc
	v_addc_co_u32_e32 v23, vcc, 0, v23, vcc
	v_add_co_u32_e32 v17, vcc, v17, v22
	v_addc_co_u32_e32 v25, vcc, 0, v23, vcc
	v_mad_u64_u32 v[22:23], s[4:5], v17, s19, 0
	v_mov_b32_e32 v24, v23
	v_mad_u64_u32 v[24:25], s[4:5], v25, s19, v[24:25]
	v_sub_co_u32_e32 v6, vcc, v6, v22
	v_subb_co_u32_e32 v7, vcc, v7, v24, vcc
	v_subrev_co_u32_e32 v17, vcc, s19, v6
	v_subbrev_co_u32_e32 v22, vcc, 0, v7, vcc
	v_subrev_co_u32_e32 v23, vcc, s19, v17
	v_subbrev_co_u32_e32 v24, vcc, 0, v22, vcc
	v_cmp_lt_u32_e32 vcc, s20, v17
	v_cndmask_b32_e64 v25, 0, -1, vcc
	v_cmp_eq_u32_e32 vcc, 0, v22
	v_cndmask_b32_e32 v25, -1, v25, vcc
	v_cmp_ne_u32_e32 vcc, 0, v25
	v_cmp_lt_u32_e64 s[4:5], s20, v6
	v_cndmask_b32_e32 v22, v22, v24, vcc
	v_cndmask_b32_e64 v24, 0, -1, s[4:5]
	v_cmp_eq_u32_e64 s[4:5], 0, v7
	v_cndmask_b32_e64 v24, -1, v24, s[4:5]
	v_cmp_ne_u32_e64 s[4:5], 0, v24
	v_cndmask_b32_e32 v17, v17, v23, vcc
	v_cndmask_b32_e64 v7, v7, v22, s[4:5]
	v_cndmask_b32_e64 v6, v6, v17, s[4:5]
	s_branch .LBB29_338
.LBB29_341:
	s_or_b64 exec, exec, s[10:11]
	s_movk_i32 s4, 0x401
	s_add_u32 s4, 0x402, s4
	v_mov_b32_e32 v5, 0xfffff800
	s_addc_u32 s5, 0, 0
	v_add_co_u32_e32 v5, vcc, s4, v5
	s_cmp_lg_u64 vcc, 0
	v_readfirstlane_b32 s10, v5
	s_addc_u32 s4, s5, 1
	s_mul_hi_u32 s11, s10, 0x80000001
	s_mul_i32 s5, s4, 0x80000001
	s_sub_i32 s11, s11, s10
	s_add_i32 s11, s11, s5
	s_mul_i32 s15, s10, 0x80000001
	s_mul_hi_u32 s5, s10, s11
	s_mul_i32 s14, s10, s11
	s_mul_hi_u32 s10, s10, s15
	s_add_u32 s10, s10, s14
	s_addc_u32 s5, 0, s5
	s_mul_hi_u32 s16, s4, s15
	s_mul_i32 s15, s4, s15
	s_add_u32 s10, s10, s15
	s_mul_hi_u32 s14, s4, s11
	s_addc_u32 s5, s5, s16
	s_addc_u32 s10, s14, 0
	s_mul_i32 s11, s4, s11
	s_add_u32 s5, s5, s11
	s_addc_u32 s10, 0, s10
	v_add_co_u32_e32 v5, vcc, s5, v5
	s_cmp_lg_u64 vcc, 0
	s_addc_u32 s10, s4, s10
	v_mad_u64_u32 v[6:7], s[4:5], v8, s10, 0
	v_mul_hi_u32 v20, v8, v5
	v_add_co_u32_e32 v22, vcc, v20, v6
	v_addc_co_u32_e32 v23, vcc, 0, v7, vcc
	v_mad_u64_u32 v[20:21], s[4:5], v9, v5, 0
	v_add_co_u32_e32 v5, vcc, v22, v20
	v_mad_u64_u32 v[6:7], s[4:5], v9, s10, 0
	v_addc_co_u32_e32 v5, vcc, v23, v21, vcc
	v_addc_co_u32_e32 v7, vcc, 0, v7, vcc
	v_add_co_u32_e32 v5, vcc, v5, v6
	s_brev_b32 s10, -2
	v_addc_co_u32_e32 v21, vcc, 0, v7, vcc
	v_mad_u64_u32 v[6:7], s[4:5], v5, s10, 0
	v_mov_b32_e32 v20, v7
	v_mad_u64_u32 v[20:21], s[4:5], v21, s10, v[20:21]
	v_sub_co_u32_e32 v5, vcc, v8, v6
	v_subb_co_u32_e32 v6, vcc, v9, v20, vcc
	v_subrev_co_u32_e32 v7, vcc, 0x7fffffff, v5
	v_subbrev_co_u32_e32 v8, vcc, 0, v6, vcc
	s_mov_b32 s4, 0x7ffffffe
	v_cmp_lt_u32_e32 vcc, s4, v7
	v_cndmask_b32_e64 v9, 0, -1, vcc
	v_cmp_eq_u32_e32 vcc, 0, v8
	v_cndmask_b32_e32 v8, -1, v9, vcc
	v_add_u32_e32 v9, 0x80000001, v7
	v_cmp_ne_u32_e32 vcc, 0, v8
	v_cndmask_b32_e32 v7, v7, v9, vcc
	v_cmp_lt_u32_e32 vcc, s4, v5
	v_cndmask_b32_e64 v8, 0, -1, vcc
	v_cmp_eq_u32_e32 vcc, 0, v6
	v_cndmask_b32_e32 v6, -1, v8, vcc
	v_cmp_ne_u32_e32 vcc, 0, v6
	v_cndmask_b32_e32 v7, v5, v7, vcc
.LBB29_342:
	s_or_b64 exec, exec, s[8:9]
	s_movk_i32 s8, 0x1388
	v_mov_b32_e32 v20, 0
	s_mov_b32 s9, 0xbc8f1391
	s_mov_b32 s10, 0xbc8f
	s_brev_b32 s11, 12
	s_mov_b32 s14, 0xf800000
	v_mov_b32_e32 v5, 0x260
.LBB29_343:                             ; =>This Inner Loop Header: Depth=1
	v_mul_hi_u32 v6, v7, s9
	v_lshrrev_b32_e32 v6, 15, v6
	v_mul_u32_u24_e32 v9, 0xadc8, v6
	v_sub_u32_e32 v7, v7, v9
	v_mul_u32_u24_e32 v6, 0xd47, v6
	v_mul_lo_u32 v7, v7, s10
	v_xor_b32_e32 v9, 0x7fffffff, v6
	v_sub_u32_e32 v21, 0, v6
	v_cmp_lt_u32_e32 vcc, v7, v6
	v_cndmask_b32_e32 v6, v21, v9, vcc
	v_add_u32_e32 v6, v6, v7
	v_mul_hi_u32 v9, v6, s9
	v_lshrrev_b32_e32 v9, 15, v9
	v_mul_u32_u24_e32 v21, 0xadc8, v9
	v_add_u32_e32 v7, -1, v6
	v_sub_u32_e32 v6, v6, v21
	v_mul_u32_u24_e32 v9, 0xd47, v9
	v_mul_lo_u32 v6, v6, s10
	v_xor_b32_e32 v21, 0x7fffffff, v9
	v_sub_u32_e32 v22, 0, v9
	v_cmp_lt_u32_e32 vcc, v6, v9
	v_cndmask_b32_e32 v9, v22, v21, vcc
	v_add_u32_e32 v6, v9, v6
	v_mul_hi_u32 v21, v6, s9
	v_add_u32_e32 v9, -1, v6
	v_lshrrev_b32_e32 v21, 15, v21
	v_cvt_f32_u32_e32 v9, v9
	v_mul_u32_u24_e32 v22, 0xadc8, v21
	v_cvt_f32_u32_e32 v7, v7
	v_sub_u32_e32 v6, v6, v22
	v_mul_u32_u24_e32 v21, 0xd47, v21
	v_mul_lo_u32 v6, v6, s10
	v_xor_b32_e32 v22, 0x7fffffff, v21
	v_sub_u32_e32 v23, 0, v21
	v_cmp_lt_u32_e32 vcc, v6, v21
	v_fma_f32 v9, v9, s11, 0
	v_cndmask_b32_e32 v21, v23, v22, vcc
	v_fma_f32 v7, v7, s11, 0
	v_mul_f32_e32 v9, v9, v9
	v_add_u32_e32 v6, v21, v6
	v_fmac_f32_e32 v9, v7, v7
	v_mul_hi_u32 v21, v6, s9
	v_add_u32_e32 v7, -1, v6
	v_mul_f32_e32 v22, 0x4f800000, v9
	v_lshrrev_b32_e32 v21, 15, v21
	v_cmp_gt_f32_e32 vcc, s14, v9
	v_cvt_f32_u32_e32 v7, v7
	v_cndmask_b32_e32 v9, v9, v22, vcc
	v_mul_u32_u24_e32 v22, 0xadc8, v21
	v_sqrt_f32_e32 v23, v9
	v_sub_u32_e32 v6, v6, v22
	v_mul_u32_u24_e32 v21, 0xd47, v21
	v_mul_lo_u32 v6, v6, s10
	v_xor_b32_e32 v22, 0x7fffffff, v21
	v_sub_u32_e32 v24, 0, v21
	v_cmp_lt_u32_e64 s[4:5], v6, v21
	v_fma_f32 v25, v7, s11, 0
	v_cndmask_b32_e64 v7, v24, v22, s[4:5]
	v_add_u32_e32 v7, v7, v6
	v_add_u32_e32 v6, -1, v23
	v_add_u32_e32 v21, 1, v23
	v_add_u32_e32 v22, -1, v7
	v_fma_f32 v24, -v6, v23, v9
	v_fma_f32 v26, -v21, v23, v9
	v_cvt_f32_u32_e32 v22, v22
	v_cmp_ge_f32_e64 s[4:5], 0, v24
	v_cndmask_b32_e64 v6, v23, v6, s[4:5]
	v_cmp_lt_f32_e64 s[4:5], 0, v26
	v_cndmask_b32_e64 v6, v6, v21, s[4:5]
	v_mul_f32_e32 v21, 0x37800000, v6
	v_cndmask_b32_e32 v6, v6, v21, vcc
	v_fma_f32 v21, v22, s11, 0
	v_cmp_class_f32_e32 vcc, v9, v5
	v_cndmask_b32_e32 v6, v6, v9, vcc
	v_mul_f32_e32 v9, v21, v21
	v_add_f32_e32 v8, 1.0, v20
	v_cmp_nge_f32_e32 vcc, 1.0, v6
	v_fmac_f32_e32 v9, v25, v25
	v_cndmask_b32_e32 v6, v8, v20, vcc
	v_mul_f32_e32 v8, 0x4f800000, v9
	v_cmp_gt_f32_e32 vcc, s14, v9
	v_cndmask_b32_e32 v8, v9, v8, vcc
	v_sqrt_f32_e32 v9, v8
	s_add_i32 s8, s8, -2
	v_add_f32_e32 v20, 1.0, v6
	s_cmp_lg_u32 s8, 0
	v_add_u32_e32 v21, -1, v9
	v_add_u32_e32 v22, 1, v9
	v_fma_f32 v23, -v21, v9, v8
	v_fma_f32 v24, -v22, v9, v8
	v_cmp_ge_f32_e64 s[4:5], 0, v23
	v_cndmask_b32_e64 v9, v9, v21, s[4:5]
	v_cmp_lt_f32_e64 s[4:5], 0, v24
	v_cndmask_b32_e64 v9, v9, v22, s[4:5]
	v_mul_f32_e32 v21, 0x37800000, v9
	v_cndmask_b32_e32 v9, v9, v21, vcc
	v_cmp_class_f32_e32 vcc, v8, v5
	v_cndmask_b32_e32 v8, v9, v8, vcc
	v_cmp_nge_f32_e32 vcc, 1.0, v8
	v_cndmask_b32_e32 v20, v20, v6, vcc
	s_cbranch_scc1 .LBB29_343
; %bb.344:
	v_add_u32_e32 v6, 0x57e400, v4
	v_cmp_ne_u32_e32 vcc, 0, v6
	v_mov_b32_e32 v7, 1
	s_and_saveexec_b64 s[8:9], vcc
	s_cbranch_execz .LBB29_358
; %bb.345:
	v_mov_b32_e32 v8, 1
	v_mov_b32_e32 v7, 0
	s_mov_b64 s[14:15], 0xbc8f
	s_mov_b64 s[10:11], 0
	v_mov_b32_e32 v9, 0
	s_brev_b32 s19, -2
	s_mov_b32 s20, 0x7ffffffe
	v_mov_b32_e32 v5, 0xfffff800
	s_movk_i32 s21, 0x401
	s_branch .LBB29_347
.LBB29_346:                             ;   in Loop: Header=BB29_347 Depth=1
	s_or_b64 exec, exec, s[16:17]
	s_mul_i32 s4, s14, s15
	s_mul_hi_u32 s5, s14, s14
	s_add_i32 s5, s5, s4
	s_add_i32 s4, s5, s4
	s_mul_i32 s5, s14, s14
	s_add_u32 s14, 0x402, s21
	s_addc_u32 s15, 0, 0
	v_add_co_u32_e32 v21, vcc, s14, v5
	s_cmp_lg_u64 vcc, 0
	v_readfirstlane_b32 s16, v21
	s_addc_u32 s14, s15, 1
	s_mul_hi_u32 s17, s16, 0x80000001
	s_mul_i32 s15, s14, 0x80000001
	s_sub_i32 s17, s17, s16
	s_add_i32 s17, s17, s15
	s_mul_i32 s23, s16, 0x80000001
	s_mul_hi_u32 s15, s16, s17
	s_mul_i32 s22, s16, s17
	s_mul_hi_u32 s16, s16, s23
	s_add_u32 s16, s16, s22
	s_addc_u32 s15, 0, s15
	s_mul_hi_u32 s24, s14, s23
	s_mul_i32 s23, s14, s23
	s_add_u32 s16, s16, s23
	s_mul_hi_u32 s22, s14, s17
	s_addc_u32 s15, s15, s24
	s_addc_u32 s16, s22, 0
	s_mul_i32 s17, s14, s17
	s_add_u32 s15, s15, s17
	s_addc_u32 s16, 0, s16
	v_add_co_u32_e32 v21, vcc, s15, v21
	s_cmp_lg_u64 vcc, 0
	s_addc_u32 s14, s14, s16
	v_readfirstlane_b32 s17, v21
	s_mul_i32 s16, s5, s14
	s_mul_hi_u32 s22, s5, s17
	s_mul_hi_u32 s15, s5, s14
	s_add_u32 s16, s22, s16
	s_addc_u32 s15, 0, s15
	s_mul_hi_u32 s23, s4, s17
	s_mul_i32 s17, s4, s17
	s_add_u32 s16, s16, s17
	s_mul_hi_u32 s22, s4, s14
	s_addc_u32 s15, s15, s23
	s_addc_u32 s16, s22, 0
	s_mul_i32 s14, s4, s14
	s_add_u32 s14, s15, s14
	s_addc_u32 s15, 0, s16
	s_mul_hi_u32 s16, s14, 0x7fffffff
	s_mul_i32 s14, s14, 0x7fffffff
	s_mul_i32 s15, s15, 0x7fffffff
	v_mov_b32_e32 v21, s14
	s_add_i32 s16, s16, s15
	v_sub_co_u32_e32 v21, vcc, s5, v21
	s_cmp_lg_u64 vcc, 0
	s_subb_u32 s4, s4, s16
	v_subrev_co_u32_e32 v24, vcc, s19, v21
	s_cmp_lg_u64 vcc, 0
	s_subb_u32 s5, s4, 0
	v_subrev_co_u32_e32 v25, vcc, s19, v24
	s_cmp_lg_u64 vcc, 0
	s_subb_u32 s14, s5, 0
	v_readfirstlane_b32 s15, v24
	s_cmp_gt_u32 s15, 0x7ffffffe
	s_cselect_b32 s16, -1, 0
	s_cmp_eq_u32 s5, 0
	s_cselect_b32 s16, s16, -1
	s_cmp_lg_u32 s16, 0
	s_cselect_b32 s5, s14, s5
	v_readfirstlane_b32 s14, v25
	v_readfirstlane_b32 s16, v21
	s_cselect_b32 s14, s14, s15
	s_cmp_gt_u32 s16, 0x7ffffffe
	s_cselect_b32 s15, -1, 0
	s_cmp_eq_u32 s4, 0
	s_cselect_b32 s15, s15, -1
	v_lshrrev_b64 v[22:23], 1, v[6:7]
	s_cmp_lg_u32 s15, 0
	v_cmp_gt_u64_e32 vcc, 2, v[6:7]
	s_cselect_b32 s15, s5, s4
	s_cselect_b32 s14, s14, s16
	s_or_b64 s[10:11], vcc, s[10:11]
	v_pk_mov_b32 v[6:7], v[22:23], v[22:23] op_sel:[0,1]
	s_andn2_b64 exec, exec, s[10:11]
	s_cbranch_execz .LBB29_357
.LBB29_347:                             ; =>This Inner Loop Header: Depth=1
	v_and_b32_e32 v21, 1, v6
	v_cmp_eq_u32_e32 vcc, 1, v21
	s_and_saveexec_b64 s[16:17], vcc
	s_cbranch_execz .LBB29_346
; %bb.348:                              ;   in Loop: Header=BB29_347 Depth=1
	v_mul_lo_u32 v21, s15, v8
	v_mul_lo_u32 v22, s14, v9
	v_mad_u64_u32 v[8:9], s[4:5], s14, v8, 0
	s_add_u32 s4, 0x402, s21
	v_add3_u32 v9, v9, v22, v21
	s_addc_u32 s5, 0, 0
	v_add_co_u32_e32 v21, vcc, s4, v5
	s_cmp_lg_u64 vcc, 0
	v_readfirstlane_b32 s22, v21
	s_addc_u32 s4, s5, 1
	s_mul_hi_u32 s23, s22, 0x80000001
	s_mul_i32 s5, s4, 0x80000001
	s_sub_i32 s23, s23, s22
	s_add_i32 s23, s23, s5
	s_mul_i32 s25, s22, 0x80000001
	s_mul_hi_u32 s5, s22, s23
	s_mul_i32 s24, s22, s23
	s_mul_hi_u32 s22, s22, s25
	s_add_u32 s22, s22, s24
	s_addc_u32 s5, 0, s5
	s_mul_hi_u32 s26, s4, s25
	s_mul_i32 s25, s4, s25
	s_add_u32 s22, s22, s25
	s_mul_hi_u32 s24, s4, s23
	s_addc_u32 s5, s5, s26
	s_addc_u32 s22, s24, 0
	s_mul_i32 s23, s4, s23
	s_add_u32 s5, s5, s23
	s_addc_u32 s22, 0, s22
	v_add_co_u32_e32 v21, vcc, s5, v21
	s_cmp_lg_u64 vcc, 0
	s_addc_u32 s22, s4, s22
	v_mad_u64_u32 v[22:23], s[4:5], v8, s22, 0
	v_mul_hi_u32 v24, v8, v21
	v_add_co_u32_e32 v26, vcc, v24, v22
	v_addc_co_u32_e32 v27, vcc, 0, v23, vcc
	v_mad_u64_u32 v[24:25], s[4:5], v9, v21, 0
	v_add_co_u32_e32 v21, vcc, v26, v24
	v_mad_u64_u32 v[22:23], s[4:5], v9, s22, 0
	v_addc_co_u32_e32 v21, vcc, v27, v25, vcc
	v_addc_co_u32_e32 v23, vcc, 0, v23, vcc
	v_add_co_u32_e32 v21, vcc, v21, v22
	v_addc_co_u32_e32 v25, vcc, 0, v23, vcc
	v_mad_u64_u32 v[22:23], s[4:5], v21, s19, 0
	v_mov_b32_e32 v24, v23
	v_mad_u64_u32 v[24:25], s[4:5], v25, s19, v[24:25]
	v_sub_co_u32_e32 v8, vcc, v8, v22
	v_subb_co_u32_e32 v9, vcc, v9, v24, vcc
	v_subrev_co_u32_e32 v21, vcc, s19, v8
	v_subbrev_co_u32_e32 v22, vcc, 0, v9, vcc
	v_subrev_co_u32_e32 v23, vcc, s19, v21
	v_subbrev_co_u32_e32 v24, vcc, 0, v22, vcc
	v_cmp_lt_u32_e32 vcc, s20, v21
	v_cndmask_b32_e64 v25, 0, -1, vcc
	v_cmp_eq_u32_e32 vcc, 0, v22
	v_cndmask_b32_e32 v25, -1, v25, vcc
	v_cmp_ne_u32_e32 vcc, 0, v25
	v_cmp_lt_u32_e64 s[4:5], s20, v8
	v_cndmask_b32_e32 v22, v22, v24, vcc
	v_cndmask_b32_e64 v24, 0, -1, s[4:5]
	v_cmp_eq_u32_e64 s[4:5], 0, v9
	v_cndmask_b32_e64 v24, -1, v24, s[4:5]
	v_cmp_ne_u32_e64 s[4:5], 0, v24
	v_cndmask_b32_e32 v21, v21, v23, vcc
	v_cndmask_b32_e64 v9, v9, v22, s[4:5]
	v_cndmask_b32_e64 v8, v8, v21, s[4:5]
	s_branch .LBB29_346
.LBB29_349:
	s_or_b64 exec, exec, s[10:11]
	s_movk_i32 s4, 0x401
	s_add_u32 s4, 0x402, s4
	v_mov_b32_e32 v3, 0xfffff800
	s_addc_u32 s5, 0, 0
	v_add_co_u32_e32 v3, vcc, s4, v3
	s_cmp_lg_u64 vcc, 0
	v_readfirstlane_b32 s10, v3
	s_addc_u32 s4, s5, 1
	s_mul_hi_u32 s11, s10, 0x80000001
	s_mul_i32 s5, s4, 0x80000001
	s_sub_i32 s11, s11, s10
	s_add_i32 s11, s11, s5
	s_mul_i32 s15, s10, 0x80000001
	s_mul_hi_u32 s5, s10, s11
	s_mul_i32 s14, s10, s11
	s_mul_hi_u32 s10, s10, s15
	s_add_u32 s10, s10, s14
	s_addc_u32 s5, 0, s5
	s_mul_hi_u32 s16, s4, s15
	s_mul_i32 s15, s4, s15
	s_add_u32 s10, s10, s15
	s_mul_hi_u32 s14, s4, s11
	s_addc_u32 s5, s5, s16
	s_addc_u32 s10, s14, 0
	s_mul_i32 s11, s4, s11
	s_add_u32 s5, s5, s11
	s_addc_u32 s10, 0, s10
	v_add_co_u32_e32 v3, vcc, s5, v3
	s_cmp_lg_u64 vcc, 0
	s_addc_u32 s10, s4, s10
	v_mad_u64_u32 v[4:5], s[4:5], v6, s10, 0
	v_mul_hi_u32 v17, v6, v3
	v_add_co_u32_e32 v17, vcc, v17, v4
	v_addc_co_u32_e32 v24, vcc, 0, v5, vcc
	v_mad_u64_u32 v[22:23], s[4:5], v7, v3, 0
	v_add_co_u32_e32 v3, vcc, v17, v22
	v_mad_u64_u32 v[4:5], s[4:5], v7, s10, 0
	v_addc_co_u32_e32 v3, vcc, v24, v23, vcc
	v_addc_co_u32_e32 v5, vcc, 0, v5, vcc
	v_add_co_u32_e32 v3, vcc, v3, v4
	s_brev_b32 s10, -2
	v_addc_co_u32_e32 v17, vcc, 0, v5, vcc
	v_mad_u64_u32 v[4:5], s[4:5], v3, s10, 0
	v_mov_b32_e32 v22, v5
	v_mad_u64_u32 v[22:23], s[4:5], v17, s10, v[22:23]
	v_sub_co_u32_e32 v3, vcc, v6, v4
	v_subb_co_u32_e32 v4, vcc, v7, v22, vcc
	v_subrev_co_u32_e32 v5, vcc, 0x7fffffff, v3
	v_subbrev_co_u32_e32 v6, vcc, 0, v4, vcc
	s_mov_b32 s4, 0x7ffffffe
	v_cmp_lt_u32_e32 vcc, s4, v5
	v_cndmask_b32_e64 v7, 0, -1, vcc
	v_cmp_eq_u32_e32 vcc, 0, v6
	v_cndmask_b32_e32 v6, -1, v7, vcc
	v_add_u32_e32 v7, 0x80000001, v5
	v_cmp_ne_u32_e32 vcc, 0, v6
	v_cndmask_b32_e32 v5, v5, v7, vcc
	v_cmp_lt_u32_e32 vcc, s4, v3
	v_cndmask_b32_e64 v6, 0, -1, vcc
	v_cmp_eq_u32_e32 vcc, 0, v4
	v_cndmask_b32_e32 v4, -1, v6, vcc
	v_cmp_ne_u32_e32 vcc, 0, v4
	v_cndmask_b32_e32 v5, v3, v5, vcc
.LBB29_350:
	s_or_b64 exec, exec, s[8:9]
	s_movk_i32 s8, 0x1388
	v_mov_b32_e32 v17, 0
	s_mov_b32 s9, 0xbc8f1391
	s_mov_b32 s10, 0xbc8f
	s_brev_b32 s11, 12
	s_mov_b32 s14, 0xf800000
	v_mov_b32_e32 v3, 0x260
.LBB29_351:                             ; =>This Inner Loop Header: Depth=1
	v_mul_hi_u32 v4, v5, s9
	v_lshrrev_b32_e32 v4, 15, v4
	v_mul_u32_u24_e32 v7, 0xadc8, v4
	v_sub_u32_e32 v5, v5, v7
	v_mul_u32_u24_e32 v4, 0xd47, v4
	v_mul_lo_u32 v5, v5, s10
	v_xor_b32_e32 v7, 0x7fffffff, v4
	v_sub_u32_e32 v22, 0, v4
	v_cmp_lt_u32_e32 vcc, v5, v4
	v_cndmask_b32_e32 v4, v22, v7, vcc
	v_add_u32_e32 v4, v4, v5
	v_mul_hi_u32 v7, v4, s9
	v_lshrrev_b32_e32 v7, 15, v7
	v_mul_u32_u24_e32 v22, 0xadc8, v7
	v_add_u32_e32 v5, -1, v4
	v_sub_u32_e32 v4, v4, v22
	v_mul_u32_u24_e32 v7, 0xd47, v7
	v_mul_lo_u32 v4, v4, s10
	v_xor_b32_e32 v22, 0x7fffffff, v7
	v_sub_u32_e32 v23, 0, v7
	v_cmp_lt_u32_e32 vcc, v4, v7
	v_cndmask_b32_e32 v7, v23, v22, vcc
	v_add_u32_e32 v4, v7, v4
	v_mul_hi_u32 v22, v4, s9
	v_add_u32_e32 v7, -1, v4
	v_lshrrev_b32_e32 v22, 15, v22
	v_cvt_f32_u32_e32 v7, v7
	v_mul_u32_u24_e32 v23, 0xadc8, v22
	v_cvt_f32_u32_e32 v5, v5
	v_sub_u32_e32 v4, v4, v23
	v_mul_u32_u24_e32 v22, 0xd47, v22
	v_mul_lo_u32 v4, v4, s10
	v_xor_b32_e32 v23, 0x7fffffff, v22
	v_sub_u32_e32 v24, 0, v22
	v_cmp_lt_u32_e32 vcc, v4, v22
	v_fma_f32 v7, v7, s11, 0
	v_cndmask_b32_e32 v22, v24, v23, vcc
	v_fma_f32 v5, v5, s11, 0
	v_mul_f32_e32 v7, v7, v7
	v_add_u32_e32 v4, v22, v4
	v_fmac_f32_e32 v7, v5, v5
	v_mul_hi_u32 v22, v4, s9
	v_add_u32_e32 v5, -1, v4
	v_mul_f32_e32 v23, 0x4f800000, v7
	v_lshrrev_b32_e32 v22, 15, v22
	v_cmp_gt_f32_e32 vcc, s14, v7
	v_cvt_f32_u32_e32 v5, v5
	v_cndmask_b32_e32 v7, v7, v23, vcc
	v_mul_u32_u24_e32 v23, 0xadc8, v22
	v_sqrt_f32_e32 v24, v7
	v_sub_u32_e32 v4, v4, v23
	v_mul_u32_u24_e32 v22, 0xd47, v22
	v_mul_lo_u32 v4, v4, s10
	v_xor_b32_e32 v23, 0x7fffffff, v22
	v_sub_u32_e32 v25, 0, v22
	v_cmp_lt_u32_e64 s[4:5], v4, v22
	v_fma_f32 v28, v5, s11, 0
	v_cndmask_b32_e64 v5, v25, v23, s[4:5]
	v_add_u32_e32 v5, v5, v4
	v_add_u32_e32 v4, -1, v24
	v_add_u32_e32 v22, 1, v24
	v_add_u32_e32 v23, -1, v5
	v_fma_f32 v25, -v4, v24, v7
	v_fma_f32 v29, -v22, v24, v7
	v_cvt_f32_u32_e32 v23, v23
	v_cmp_ge_f32_e64 s[4:5], 0, v25
	v_cndmask_b32_e64 v4, v24, v4, s[4:5]
	v_cmp_lt_f32_e64 s[4:5], 0, v29
	v_cndmask_b32_e64 v4, v4, v22, s[4:5]
	v_mul_f32_e32 v22, 0x37800000, v4
	v_cndmask_b32_e32 v4, v4, v22, vcc
	v_fma_f32 v22, v23, s11, 0
	v_cmp_class_f32_e32 vcc, v7, v3
	v_cndmask_b32_e32 v4, v4, v7, vcc
	v_mul_f32_e32 v7, v22, v22
	v_add_f32_e32 v6, 1.0, v17
	v_cmp_nge_f32_e32 vcc, 1.0, v4
	v_fmac_f32_e32 v7, v28, v28
	v_cndmask_b32_e32 v4, v6, v17, vcc
	v_mul_f32_e32 v6, 0x4f800000, v7
	v_cmp_gt_f32_e32 vcc, s14, v7
	v_cndmask_b32_e32 v6, v7, v6, vcc
	v_sqrt_f32_e32 v7, v6
	s_add_i32 s8, s8, -2
	v_add_f32_e32 v17, 1.0, v4
	s_cmp_lg_u32 s8, 0
	v_add_u32_e32 v22, -1, v7
	v_add_u32_e32 v23, 1, v7
	v_fma_f32 v24, -v22, v7, v6
	v_fma_f32 v25, -v23, v7, v6
	v_cmp_ge_f32_e64 s[4:5], 0, v24
	v_cndmask_b32_e64 v7, v7, v22, s[4:5]
	v_cmp_lt_f32_e64 s[4:5], 0, v25
	v_cndmask_b32_e64 v7, v7, v23, s[4:5]
	v_mul_f32_e32 v22, 0x37800000, v7
	v_cndmask_b32_e32 v7, v7, v22, vcc
	v_cmp_class_f32_e32 vcc, v6, v3
	v_cndmask_b32_e32 v6, v7, v6, vcc
	v_cmp_nge_f32_e32 vcc, 1.0, v6
	v_cndmask_b32_e32 v17, v17, v4, vcc
	s_cbranch_scc1 .LBB29_351
; %bb.352:
	v_add_u32_e32 v4, 0x61a800, v2
	v_cmp_ne_u32_e32 vcc, 0, v4
	v_mov_b32_e32 v5, 1
	s_and_saveexec_b64 s[8:9], vcc
	s_cbranch_execz .LBB29_366
; %bb.353:
	v_mov_b32_e32 v6, 1
	v_mov_b32_e32 v5, 0
	s_mov_b64 s[14:15], 0xbc8f
	s_mov_b64 s[10:11], 0
	v_mov_b32_e32 v7, 0
	s_brev_b32 s19, -2
	s_mov_b32 s20, 0x7ffffffe
	v_mov_b32_e32 v3, 0xfffff800
	s_movk_i32 s21, 0x401
	s_branch .LBB29_355
.LBB29_354:                             ;   in Loop: Header=BB29_355 Depth=1
	s_or_b64 exec, exec, s[16:17]
	s_mul_i32 s4, s14, s15
	s_mul_hi_u32 s5, s14, s14
	s_add_i32 s5, s5, s4
	s_add_i32 s4, s5, s4
	s_mul_i32 s5, s14, s14
	s_add_u32 s14, 0x402, s21
	s_addc_u32 s15, 0, 0
	v_add_co_u32_e32 v24, vcc, s14, v3
	s_cmp_lg_u64 vcc, 0
	v_readfirstlane_b32 s16, v24
	s_addc_u32 s14, s15, 1
	s_mul_hi_u32 s17, s16, 0x80000001
	s_mul_i32 s15, s14, 0x80000001
	s_sub_i32 s17, s17, s16
	s_add_i32 s17, s17, s15
	s_mul_i32 s23, s16, 0x80000001
	s_mul_hi_u32 s15, s16, s17
	s_mul_i32 s22, s16, s17
	s_mul_hi_u32 s16, s16, s23
	s_add_u32 s16, s16, s22
	s_addc_u32 s15, 0, s15
	s_mul_hi_u32 s24, s14, s23
	s_mul_i32 s23, s14, s23
	s_add_u32 s16, s16, s23
	s_mul_hi_u32 s22, s14, s17
	s_addc_u32 s15, s15, s24
	s_addc_u32 s16, s22, 0
	s_mul_i32 s17, s14, s17
	s_add_u32 s15, s15, s17
	s_addc_u32 s16, 0, s16
	v_add_co_u32_e32 v24, vcc, s15, v24
	s_cmp_lg_u64 vcc, 0
	s_addc_u32 s14, s14, s16
	v_readfirstlane_b32 s17, v24
	s_mul_i32 s16, s5, s14
	s_mul_hi_u32 s22, s5, s17
	s_mul_hi_u32 s15, s5, s14
	s_add_u32 s16, s22, s16
	s_addc_u32 s15, 0, s15
	s_mul_hi_u32 s23, s4, s17
	s_mul_i32 s17, s4, s17
	s_add_u32 s16, s16, s17
	s_mul_hi_u32 s22, s4, s14
	s_addc_u32 s15, s15, s23
	s_addc_u32 s16, s22, 0
	s_mul_i32 s14, s4, s14
	s_add_u32 s14, s15, s14
	s_addc_u32 s15, 0, s16
	s_mul_hi_u32 s16, s14, 0x7fffffff
	s_mul_i32 s14, s14, 0x7fffffff
	s_mul_i32 s15, s15, 0x7fffffff
	v_mov_b32_e32 v24, s14
	s_add_i32 s16, s16, s15
	v_sub_co_u32_e32 v24, vcc, s5, v24
	s_cmp_lg_u64 vcc, 0
	s_subb_u32 s4, s4, s16
	v_subrev_co_u32_e32 v25, vcc, s19, v24
	s_cmp_lg_u64 vcc, 0
	s_subb_u32 s5, s4, 0
	v_subrev_co_u32_e32 v28, vcc, s19, v25
	s_cmp_lg_u64 vcc, 0
	s_subb_u32 s14, s5, 0
	v_readfirstlane_b32 s15, v25
	s_cmp_gt_u32 s15, 0x7ffffffe
	s_cselect_b32 s16, -1, 0
	s_cmp_eq_u32 s5, 0
	s_cselect_b32 s16, s16, -1
	s_cmp_lg_u32 s16, 0
	s_cselect_b32 s5, s14, s5
	v_readfirstlane_b32 s14, v28
	v_readfirstlane_b32 s16, v24
	s_cselect_b32 s14, s14, s15
	s_cmp_gt_u32 s16, 0x7ffffffe
	s_cselect_b32 s15, -1, 0
	s_cmp_eq_u32 s4, 0
	s_cselect_b32 s15, s15, -1
	v_lshrrev_b64 v[22:23], 1, v[4:5]
	s_cmp_lg_u32 s15, 0
	v_cmp_gt_u64_e32 vcc, 2, v[4:5]
	s_cselect_b32 s15, s5, s4
	s_cselect_b32 s14, s14, s16
	s_or_b64 s[10:11], vcc, s[10:11]
	v_pk_mov_b32 v[4:5], v[22:23], v[22:23] op_sel:[0,1]
	s_andn2_b64 exec, exec, s[10:11]
	s_cbranch_execz .LBB29_365
.LBB29_355:                             ; =>This Inner Loop Header: Depth=1
	v_and_b32_e32 v22, 1, v4
	v_cmp_eq_u32_e32 vcc, 1, v22
	s_and_saveexec_b64 s[16:17], vcc
	s_cbranch_execz .LBB29_354
; %bb.356:                              ;   in Loop: Header=BB29_355 Depth=1
	v_mul_lo_u32 v22, s15, v6
	v_mul_lo_u32 v23, s14, v7
	v_mad_u64_u32 v[6:7], s[4:5], s14, v6, 0
	s_add_u32 s4, 0x402, s21
	v_add3_u32 v7, v7, v23, v22
	s_addc_u32 s5, 0, 0
	v_add_co_u32_e32 v22, vcc, s4, v3
	s_cmp_lg_u64 vcc, 0
	v_readfirstlane_b32 s22, v22
	s_addc_u32 s4, s5, 1
	s_mul_hi_u32 s23, s22, 0x80000001
	s_mul_i32 s5, s4, 0x80000001
	s_sub_i32 s23, s23, s22
	s_add_i32 s23, s23, s5
	s_mul_i32 s25, s22, 0x80000001
	s_mul_hi_u32 s5, s22, s23
	s_mul_i32 s24, s22, s23
	s_mul_hi_u32 s22, s22, s25
	s_add_u32 s22, s22, s24
	s_addc_u32 s5, 0, s5
	s_mul_hi_u32 s26, s4, s25
	s_mul_i32 s25, s4, s25
	s_add_u32 s22, s22, s25
	s_mul_hi_u32 s24, s4, s23
	s_addc_u32 s5, s5, s26
	s_addc_u32 s22, s24, 0
	s_mul_i32 s23, s4, s23
	s_add_u32 s5, s5, s23
	s_addc_u32 s22, 0, s22
	v_add_co_u32_e32 v24, vcc, s5, v22
	s_cmp_lg_u64 vcc, 0
	s_addc_u32 s22, s4, s22
	v_mad_u64_u32 v[22:23], s[4:5], v6, s22, 0
	v_mul_hi_u32 v25, v6, v24
	v_add_co_u32_e32 v28, vcc, v25, v22
	v_addc_co_u32_e32 v29, vcc, 0, v23, vcc
	v_mad_u64_u32 v[24:25], s[4:5], v7, v24, 0
	v_add_co_u32_e32 v24, vcc, v28, v24
	v_mad_u64_u32 v[22:23], s[4:5], v7, s22, 0
	v_addc_co_u32_e32 v24, vcc, v29, v25, vcc
	v_addc_co_u32_e32 v23, vcc, 0, v23, vcc
	v_add_co_u32_e32 v22, vcc, v24, v22
	v_addc_co_u32_e32 v25, vcc, 0, v23, vcc
	v_mad_u64_u32 v[22:23], s[4:5], v22, s19, 0
	v_mov_b32_e32 v24, v23
	v_mad_u64_u32 v[24:25], s[4:5], v25, s19, v[24:25]
	v_sub_co_u32_e32 v6, vcc, v6, v22
	v_subb_co_u32_e32 v7, vcc, v7, v24, vcc
	v_subrev_co_u32_e32 v22, vcc, s19, v6
	v_subbrev_co_u32_e32 v23, vcc, 0, v7, vcc
	v_subrev_co_u32_e32 v24, vcc, s19, v22
	v_subbrev_co_u32_e32 v25, vcc, 0, v23, vcc
	v_cmp_lt_u32_e32 vcc, s20, v22
	v_cndmask_b32_e64 v28, 0, -1, vcc
	v_cmp_eq_u32_e32 vcc, 0, v23
	v_cndmask_b32_e32 v28, -1, v28, vcc
	v_cmp_ne_u32_e32 vcc, 0, v28
	v_cmp_lt_u32_e64 s[4:5], s20, v6
	v_cndmask_b32_e32 v23, v23, v25, vcc
	v_cndmask_b32_e64 v25, 0, -1, s[4:5]
	v_cmp_eq_u32_e64 s[4:5], 0, v7
	v_cndmask_b32_e64 v25, -1, v25, s[4:5]
	v_cmp_ne_u32_e64 s[4:5], 0, v25
	v_cndmask_b32_e32 v22, v22, v24, vcc
	v_cndmask_b32_e64 v7, v7, v23, s[4:5]
	v_cndmask_b32_e64 v6, v6, v22, s[4:5]
	s_branch .LBB29_354
.LBB29_357:
	s_or_b64 exec, exec, s[10:11]
	s_movk_i32 s4, 0x401
	s_add_u32 s4, 0x402, s4
	v_mov_b32_e32 v5, 0xfffff800
	s_addc_u32 s5, 0, 0
	v_add_co_u32_e32 v5, vcc, s4, v5
	s_cmp_lg_u64 vcc, 0
	v_readfirstlane_b32 s10, v5
	s_addc_u32 s4, s5, 1
	s_mul_hi_u32 s11, s10, 0x80000001
	s_mul_i32 s5, s4, 0x80000001
	s_sub_i32 s11, s11, s10
	s_add_i32 s11, s11, s5
	s_mul_i32 s15, s10, 0x80000001
	s_mul_hi_u32 s5, s10, s11
	s_mul_i32 s14, s10, s11
	s_mul_hi_u32 s10, s10, s15
	s_add_u32 s10, s10, s14
	s_addc_u32 s5, 0, s5
	s_mul_hi_u32 s16, s4, s15
	s_mul_i32 s15, s4, s15
	s_add_u32 s10, s10, s15
	s_mul_hi_u32 s14, s4, s11
	s_addc_u32 s5, s5, s16
	s_addc_u32 s10, s14, 0
	s_mul_i32 s11, s4, s11
	s_add_u32 s5, s5, s11
	s_addc_u32 s10, 0, s10
	v_add_co_u32_e32 v5, vcc, s5, v5
	s_cmp_lg_u64 vcc, 0
	s_addc_u32 s10, s4, s10
	v_mad_u64_u32 v[6:7], s[4:5], v8, s10, 0
	v_mul_hi_u32 v21, v8, v5
	v_add_co_u32_e32 v21, vcc, v21, v6
	v_addc_co_u32_e32 v24, vcc, 0, v7, vcc
	v_mad_u64_u32 v[22:23], s[4:5], v9, v5, 0
	v_add_co_u32_e32 v5, vcc, v21, v22
	v_mad_u64_u32 v[6:7], s[4:5], v9, s10, 0
	v_addc_co_u32_e32 v5, vcc, v24, v23, vcc
	v_addc_co_u32_e32 v7, vcc, 0, v7, vcc
	v_add_co_u32_e32 v5, vcc, v5, v6
	s_brev_b32 s10, -2
	v_addc_co_u32_e32 v21, vcc, 0, v7, vcc
	v_mad_u64_u32 v[6:7], s[4:5], v5, s10, 0
	v_mov_b32_e32 v22, v7
	v_mad_u64_u32 v[22:23], s[4:5], v21, s10, v[22:23]
	v_sub_co_u32_e32 v5, vcc, v8, v6
	v_subb_co_u32_e32 v6, vcc, v9, v22, vcc
	v_subrev_co_u32_e32 v7, vcc, 0x7fffffff, v5
	v_subbrev_co_u32_e32 v8, vcc, 0, v6, vcc
	s_mov_b32 s4, 0x7ffffffe
	v_cmp_lt_u32_e32 vcc, s4, v7
	v_cndmask_b32_e64 v9, 0, -1, vcc
	v_cmp_eq_u32_e32 vcc, 0, v8
	v_cndmask_b32_e32 v8, -1, v9, vcc
	v_add_u32_e32 v9, 0x80000001, v7
	v_cmp_ne_u32_e32 vcc, 0, v8
	v_cndmask_b32_e32 v7, v7, v9, vcc
	v_cmp_lt_u32_e32 vcc, s4, v5
	v_cndmask_b32_e64 v8, 0, -1, vcc
	v_cmp_eq_u32_e32 vcc, 0, v6
	v_cndmask_b32_e32 v6, -1, v8, vcc
	v_cmp_ne_u32_e32 vcc, 0, v6
	v_cndmask_b32_e32 v7, v5, v7, vcc
.LBB29_358:
	s_or_b64 exec, exec, s[8:9]
	s_movk_i32 s8, 0x1388
	v_mov_b32_e32 v21, 0
	s_mov_b32 s9, 0xbc8f1391
	s_mov_b32 s10, 0xbc8f
	s_brev_b32 s11, 12
	s_mov_b32 s14, 0xf800000
	v_mov_b32_e32 v5, 0x260
.LBB29_359:                             ; =>This Inner Loop Header: Depth=1
	v_mul_hi_u32 v6, v7, s9
	v_lshrrev_b32_e32 v6, 15, v6
	v_mul_u32_u24_e32 v9, 0xadc8, v6
	v_sub_u32_e32 v7, v7, v9
	v_mul_u32_u24_e32 v6, 0xd47, v6
	v_mul_lo_u32 v7, v7, s10
	v_xor_b32_e32 v9, 0x7fffffff, v6
	v_sub_u32_e32 v22, 0, v6
	v_cmp_lt_u32_e32 vcc, v7, v6
	v_cndmask_b32_e32 v6, v22, v9, vcc
	v_add_u32_e32 v6, v6, v7
	v_mul_hi_u32 v9, v6, s9
	v_lshrrev_b32_e32 v9, 15, v9
	v_mul_u32_u24_e32 v22, 0xadc8, v9
	v_add_u32_e32 v7, -1, v6
	v_sub_u32_e32 v6, v6, v22
	v_mul_u32_u24_e32 v9, 0xd47, v9
	v_mul_lo_u32 v6, v6, s10
	v_xor_b32_e32 v22, 0x7fffffff, v9
	v_sub_u32_e32 v23, 0, v9
	v_cmp_lt_u32_e32 vcc, v6, v9
	v_cndmask_b32_e32 v9, v23, v22, vcc
	v_add_u32_e32 v6, v9, v6
	v_mul_hi_u32 v22, v6, s9
	v_add_u32_e32 v9, -1, v6
	v_lshrrev_b32_e32 v22, 15, v22
	v_cvt_f32_u32_e32 v9, v9
	v_mul_u32_u24_e32 v23, 0xadc8, v22
	v_cvt_f32_u32_e32 v7, v7
	v_sub_u32_e32 v6, v6, v23
	v_mul_u32_u24_e32 v22, 0xd47, v22
	v_mul_lo_u32 v6, v6, s10
	v_xor_b32_e32 v23, 0x7fffffff, v22
	v_sub_u32_e32 v24, 0, v22
	v_cmp_lt_u32_e32 vcc, v6, v22
	v_fma_f32 v9, v9, s11, 0
	v_cndmask_b32_e32 v22, v24, v23, vcc
	v_fma_f32 v7, v7, s11, 0
	v_mul_f32_e32 v9, v9, v9
	v_add_u32_e32 v6, v22, v6
	v_fmac_f32_e32 v9, v7, v7
	v_mul_hi_u32 v22, v6, s9
	v_add_u32_e32 v7, -1, v6
	v_mul_f32_e32 v23, 0x4f800000, v9
	v_lshrrev_b32_e32 v22, 15, v22
	v_cmp_gt_f32_e32 vcc, s14, v9
	v_cvt_f32_u32_e32 v7, v7
	v_cndmask_b32_e32 v9, v9, v23, vcc
	v_mul_u32_u24_e32 v23, 0xadc8, v22
	v_sqrt_f32_e32 v24, v9
	v_sub_u32_e32 v6, v6, v23
	v_mul_u32_u24_e32 v22, 0xd47, v22
	v_mul_lo_u32 v6, v6, s10
	v_xor_b32_e32 v23, 0x7fffffff, v22
	v_sub_u32_e32 v25, 0, v22
	v_cmp_lt_u32_e64 s[4:5], v6, v22
	v_fma_f32 v26, v7, s11, 0
	v_cndmask_b32_e64 v7, v25, v23, s[4:5]
	v_add_u32_e32 v7, v7, v6
	v_add_u32_e32 v6, -1, v24
	v_add_u32_e32 v22, 1, v24
	v_add_u32_e32 v23, -1, v7
	v_fma_f32 v25, -v6, v24, v9
	v_fma_f32 v27, -v22, v24, v9
	v_cvt_f32_u32_e32 v23, v23
	v_cmp_ge_f32_e64 s[4:5], 0, v25
	v_cndmask_b32_e64 v6, v24, v6, s[4:5]
	v_cmp_lt_f32_e64 s[4:5], 0, v27
	v_cndmask_b32_e64 v6, v6, v22, s[4:5]
	v_mul_f32_e32 v22, 0x37800000, v6
	v_cndmask_b32_e32 v6, v6, v22, vcc
	v_fma_f32 v22, v23, s11, 0
	v_cmp_class_f32_e32 vcc, v9, v5
	v_cndmask_b32_e32 v6, v6, v9, vcc
	v_mul_f32_e32 v9, v22, v22
	v_add_f32_e32 v8, 1.0, v21
	v_cmp_nge_f32_e32 vcc, 1.0, v6
	v_fmac_f32_e32 v9, v26, v26
	v_cndmask_b32_e32 v6, v8, v21, vcc
	v_mul_f32_e32 v8, 0x4f800000, v9
	v_cmp_gt_f32_e32 vcc, s14, v9
	v_cndmask_b32_e32 v8, v9, v8, vcc
	v_sqrt_f32_e32 v9, v8
	s_add_i32 s8, s8, -2
	v_add_f32_e32 v21, 1.0, v6
	s_cmp_lg_u32 s8, 0
	v_add_u32_e32 v22, -1, v9
	v_add_u32_e32 v23, 1, v9
	v_fma_f32 v24, -v22, v9, v8
	v_fma_f32 v25, -v23, v9, v8
	v_cmp_ge_f32_e64 s[4:5], 0, v24
	v_cndmask_b32_e64 v9, v9, v22, s[4:5]
	v_cmp_lt_f32_e64 s[4:5], 0, v25
	v_cndmask_b32_e64 v9, v9, v23, s[4:5]
	v_mul_f32_e32 v22, 0x37800000, v9
	v_cndmask_b32_e32 v9, v9, v22, vcc
	v_cmp_class_f32_e32 vcc, v8, v5
	v_cndmask_b32_e32 v8, v9, v8, vcc
	v_cmp_nge_f32_e32 vcc, 1.0, v8
	v_cndmask_b32_e32 v21, v21, v6, vcc
	s_cbranch_scc1 .LBB29_359
; %bb.360:
	v_add_u32_e32 v6, 0x61a800, v4
	v_cmp_ne_u32_e32 vcc, 0, v6
	v_mov_b32_e32 v7, 1
	s_and_saveexec_b64 s[8:9], vcc
	s_cbranch_execz .LBB29_374
; %bb.361:
	v_mov_b32_e32 v8, 1
	v_mov_b32_e32 v7, 0
	s_mov_b64 s[14:15], 0xbc8f
	s_mov_b64 s[10:11], 0
	v_mov_b32_e32 v9, 0
	s_brev_b32 s19, -2
	s_mov_b32 s20, 0x7ffffffe
	v_mov_b32_e32 v5, 0xfffff800
	s_movk_i32 s21, 0x401
	s_branch .LBB29_363
.LBB29_362:                             ;   in Loop: Header=BB29_363 Depth=1
	s_or_b64 exec, exec, s[16:17]
	s_mul_i32 s4, s14, s15
	s_mul_hi_u32 s5, s14, s14
	s_add_i32 s5, s5, s4
	s_add_i32 s4, s5, s4
	s_mul_i32 s5, s14, s14
	s_add_u32 s14, 0x402, s21
	s_addc_u32 s15, 0, 0
	v_add_co_u32_e32 v24, vcc, s14, v5
	s_cmp_lg_u64 vcc, 0
	v_readfirstlane_b32 s16, v24
	s_addc_u32 s14, s15, 1
	s_mul_hi_u32 s17, s16, 0x80000001
	s_mul_i32 s15, s14, 0x80000001
	s_sub_i32 s17, s17, s16
	s_add_i32 s17, s17, s15
	s_mul_i32 s23, s16, 0x80000001
	s_mul_hi_u32 s15, s16, s17
	s_mul_i32 s22, s16, s17
	s_mul_hi_u32 s16, s16, s23
	s_add_u32 s16, s16, s22
	s_addc_u32 s15, 0, s15
	s_mul_hi_u32 s24, s14, s23
	s_mul_i32 s23, s14, s23
	s_add_u32 s16, s16, s23
	s_mul_hi_u32 s22, s14, s17
	s_addc_u32 s15, s15, s24
	s_addc_u32 s16, s22, 0
	s_mul_i32 s17, s14, s17
	s_add_u32 s15, s15, s17
	s_addc_u32 s16, 0, s16
	v_add_co_u32_e32 v24, vcc, s15, v24
	s_cmp_lg_u64 vcc, 0
	s_addc_u32 s14, s14, s16
	v_readfirstlane_b32 s17, v24
	s_mul_i32 s16, s5, s14
	s_mul_hi_u32 s22, s5, s17
	s_mul_hi_u32 s15, s5, s14
	s_add_u32 s16, s22, s16
	s_addc_u32 s15, 0, s15
	s_mul_hi_u32 s23, s4, s17
	s_mul_i32 s17, s4, s17
	s_add_u32 s16, s16, s17
	s_mul_hi_u32 s22, s4, s14
	s_addc_u32 s15, s15, s23
	s_addc_u32 s16, s22, 0
	s_mul_i32 s14, s4, s14
	s_add_u32 s14, s15, s14
	s_addc_u32 s15, 0, s16
	s_mul_hi_u32 s16, s14, 0x7fffffff
	s_mul_i32 s14, s14, 0x7fffffff
	s_mul_i32 s15, s15, 0x7fffffff
	v_mov_b32_e32 v24, s14
	s_add_i32 s16, s16, s15
	v_sub_co_u32_e32 v24, vcc, s5, v24
	s_cmp_lg_u64 vcc, 0
	s_subb_u32 s4, s4, s16
	v_subrev_co_u32_e32 v25, vcc, s19, v24
	s_cmp_lg_u64 vcc, 0
	s_subb_u32 s5, s4, 0
	v_subrev_co_u32_e32 v26, vcc, s19, v25
	s_cmp_lg_u64 vcc, 0
	s_subb_u32 s14, s5, 0
	v_readfirstlane_b32 s15, v25
	s_cmp_gt_u32 s15, 0x7ffffffe
	s_cselect_b32 s16, -1, 0
	s_cmp_eq_u32 s5, 0
	s_cselect_b32 s16, s16, -1
	s_cmp_lg_u32 s16, 0
	s_cselect_b32 s5, s14, s5
	v_readfirstlane_b32 s14, v26
	v_readfirstlane_b32 s16, v24
	s_cselect_b32 s14, s14, s15
	s_cmp_gt_u32 s16, 0x7ffffffe
	s_cselect_b32 s15, -1, 0
	s_cmp_eq_u32 s4, 0
	s_cselect_b32 s15, s15, -1
	v_lshrrev_b64 v[22:23], 1, v[6:7]
	s_cmp_lg_u32 s15, 0
	v_cmp_gt_u64_e32 vcc, 2, v[6:7]
	s_cselect_b32 s15, s5, s4
	s_cselect_b32 s14, s14, s16
	s_or_b64 s[10:11], vcc, s[10:11]
	v_pk_mov_b32 v[6:7], v[22:23], v[22:23] op_sel:[0,1]
	s_andn2_b64 exec, exec, s[10:11]
	s_cbranch_execz .LBB29_373
.LBB29_363:                             ; =>This Inner Loop Header: Depth=1
	v_and_b32_e32 v22, 1, v6
	v_cmp_eq_u32_e32 vcc, 1, v22
	s_and_saveexec_b64 s[16:17], vcc
	s_cbranch_execz .LBB29_362
; %bb.364:                              ;   in Loop: Header=BB29_363 Depth=1
	v_mul_lo_u32 v22, s15, v8
	v_mul_lo_u32 v23, s14, v9
	v_mad_u64_u32 v[8:9], s[4:5], s14, v8, 0
	s_add_u32 s4, 0x402, s21
	v_add3_u32 v9, v9, v23, v22
	s_addc_u32 s5, 0, 0
	v_add_co_u32_e32 v22, vcc, s4, v5
	s_cmp_lg_u64 vcc, 0
	v_readfirstlane_b32 s22, v22
	s_addc_u32 s4, s5, 1
	s_mul_hi_u32 s23, s22, 0x80000001
	s_mul_i32 s5, s4, 0x80000001
	s_sub_i32 s23, s23, s22
	s_add_i32 s23, s23, s5
	s_mul_i32 s25, s22, 0x80000001
	s_mul_hi_u32 s5, s22, s23
	s_mul_i32 s24, s22, s23
	s_mul_hi_u32 s22, s22, s25
	s_add_u32 s22, s22, s24
	s_addc_u32 s5, 0, s5
	s_mul_hi_u32 s26, s4, s25
	s_mul_i32 s25, s4, s25
	s_add_u32 s22, s22, s25
	s_mul_hi_u32 s24, s4, s23
	s_addc_u32 s5, s5, s26
	s_addc_u32 s22, s24, 0
	s_mul_i32 s23, s4, s23
	s_add_u32 s5, s5, s23
	s_addc_u32 s22, 0, s22
	v_add_co_u32_e32 v24, vcc, s5, v22
	s_cmp_lg_u64 vcc, 0
	s_addc_u32 s22, s4, s22
	v_mad_u64_u32 v[22:23], s[4:5], v8, s22, 0
	v_mul_hi_u32 v25, v8, v24
	v_add_co_u32_e32 v26, vcc, v25, v22
	v_addc_co_u32_e32 v27, vcc, 0, v23, vcc
	v_mad_u64_u32 v[24:25], s[4:5], v9, v24, 0
	v_add_co_u32_e32 v24, vcc, v26, v24
	v_mad_u64_u32 v[22:23], s[4:5], v9, s22, 0
	v_addc_co_u32_e32 v24, vcc, v27, v25, vcc
	v_addc_co_u32_e32 v23, vcc, 0, v23, vcc
	v_add_co_u32_e32 v22, vcc, v24, v22
	v_addc_co_u32_e32 v25, vcc, 0, v23, vcc
	v_mad_u64_u32 v[22:23], s[4:5], v22, s19, 0
	v_mov_b32_e32 v24, v23
	v_mad_u64_u32 v[24:25], s[4:5], v25, s19, v[24:25]
	v_sub_co_u32_e32 v8, vcc, v8, v22
	v_subb_co_u32_e32 v9, vcc, v9, v24, vcc
	v_subrev_co_u32_e32 v22, vcc, s19, v8
	v_subbrev_co_u32_e32 v23, vcc, 0, v9, vcc
	v_subrev_co_u32_e32 v24, vcc, s19, v22
	v_subbrev_co_u32_e32 v25, vcc, 0, v23, vcc
	v_cmp_lt_u32_e32 vcc, s20, v22
	v_cndmask_b32_e64 v26, 0, -1, vcc
	v_cmp_eq_u32_e32 vcc, 0, v23
	v_cndmask_b32_e32 v26, -1, v26, vcc
	v_cmp_ne_u32_e32 vcc, 0, v26
	v_cmp_lt_u32_e64 s[4:5], s20, v8
	v_cndmask_b32_e32 v23, v23, v25, vcc
	v_cndmask_b32_e64 v25, 0, -1, s[4:5]
	v_cmp_eq_u32_e64 s[4:5], 0, v9
	v_cndmask_b32_e64 v25, -1, v25, s[4:5]
	v_cmp_ne_u32_e64 s[4:5], 0, v25
	v_cndmask_b32_e32 v22, v22, v24, vcc
	v_cndmask_b32_e64 v9, v9, v23, s[4:5]
	v_cndmask_b32_e64 v8, v8, v22, s[4:5]
	s_branch .LBB29_362
.LBB29_365:
	s_or_b64 exec, exec, s[10:11]
	s_movk_i32 s4, 0x401
	s_add_u32 s4, 0x402, s4
	v_mov_b32_e32 v3, 0xfffff800
	s_addc_u32 s5, 0, 0
	v_add_co_u32_e32 v3, vcc, s4, v3
	s_cmp_lg_u64 vcc, 0
	v_readfirstlane_b32 s10, v3
	s_addc_u32 s4, s5, 1
	s_mul_hi_u32 s11, s10, 0x80000001
	s_mul_i32 s5, s4, 0x80000001
	s_sub_i32 s11, s11, s10
	s_add_i32 s11, s11, s5
	s_mul_i32 s15, s10, 0x80000001
	s_mul_hi_u32 s5, s10, s11
	s_mul_i32 s14, s10, s11
	s_mul_hi_u32 s10, s10, s15
	s_add_u32 s10, s10, s14
	s_addc_u32 s5, 0, s5
	s_mul_hi_u32 s16, s4, s15
	s_mul_i32 s15, s4, s15
	s_add_u32 s10, s10, s15
	s_mul_hi_u32 s14, s4, s11
	s_addc_u32 s5, s5, s16
	s_addc_u32 s10, s14, 0
	s_mul_i32 s11, s4, s11
	s_add_u32 s5, s5, s11
	s_addc_u32 s10, 0, s10
	v_add_co_u32_e32 v3, vcc, s5, v3
	s_cmp_lg_u64 vcc, 0
	s_addc_u32 s10, s4, s10
	v_mad_u64_u32 v[4:5], s[4:5], v6, s10, 0
	v_mul_hi_u32 v22, v6, v3
	v_add_co_u32_e32 v24, vcc, v22, v4
	v_addc_co_u32_e32 v25, vcc, 0, v5, vcc
	v_mad_u64_u32 v[22:23], s[4:5], v7, v3, 0
	v_add_co_u32_e32 v3, vcc, v24, v22
	v_mad_u64_u32 v[4:5], s[4:5], v7, s10, 0
	v_addc_co_u32_e32 v3, vcc, v25, v23, vcc
	v_addc_co_u32_e32 v5, vcc, 0, v5, vcc
	v_add_co_u32_e32 v3, vcc, v3, v4
	s_brev_b32 s10, -2
	v_addc_co_u32_e32 v23, vcc, 0, v5, vcc
	v_mad_u64_u32 v[4:5], s[4:5], v3, s10, 0
	v_mov_b32_e32 v22, v5
	v_mad_u64_u32 v[22:23], s[4:5], v23, s10, v[22:23]
	v_sub_co_u32_e32 v3, vcc, v6, v4
	v_subb_co_u32_e32 v4, vcc, v7, v22, vcc
	v_subrev_co_u32_e32 v5, vcc, 0x7fffffff, v3
	v_subbrev_co_u32_e32 v6, vcc, 0, v4, vcc
	s_mov_b32 s4, 0x7ffffffe
	v_cmp_lt_u32_e32 vcc, s4, v5
	v_cndmask_b32_e64 v7, 0, -1, vcc
	v_cmp_eq_u32_e32 vcc, 0, v6
	v_cndmask_b32_e32 v6, -1, v7, vcc
	v_add_u32_e32 v7, 0x80000001, v5
	v_cmp_ne_u32_e32 vcc, 0, v6
	v_cndmask_b32_e32 v5, v5, v7, vcc
	v_cmp_lt_u32_e32 vcc, s4, v3
	v_cndmask_b32_e64 v6, 0, -1, vcc
	v_cmp_eq_u32_e32 vcc, 0, v4
	v_cndmask_b32_e32 v4, -1, v6, vcc
	v_cmp_ne_u32_e32 vcc, 0, v4
	v_cndmask_b32_e32 v5, v3, v5, vcc
.LBB29_366:
	s_or_b64 exec, exec, s[8:9]
	s_movk_i32 s8, 0x1388
	v_mov_b32_e32 v22, 0
	s_mov_b32 s9, 0xbc8f1391
	s_mov_b32 s10, 0xbc8f
	s_brev_b32 s11, 12
	s_mov_b32 s14, 0xf800000
	v_mov_b32_e32 v3, 0x260
.LBB29_367:                             ; =>This Inner Loop Header: Depth=1
	v_mul_hi_u32 v4, v5, s9
	v_lshrrev_b32_e32 v4, 15, v4
	v_mul_u32_u24_e32 v7, 0xadc8, v4
	v_sub_u32_e32 v5, v5, v7
	v_mul_u32_u24_e32 v4, 0xd47, v4
	v_mul_lo_u32 v5, v5, s10
	v_xor_b32_e32 v7, 0x7fffffff, v4
	v_sub_u32_e32 v23, 0, v4
	v_cmp_lt_u32_e32 vcc, v5, v4
	v_cndmask_b32_e32 v4, v23, v7, vcc
	v_add_u32_e32 v4, v4, v5
	v_mul_hi_u32 v7, v4, s9
	v_lshrrev_b32_e32 v7, 15, v7
	v_mul_u32_u24_e32 v23, 0xadc8, v7
	v_add_u32_e32 v5, -1, v4
	v_sub_u32_e32 v4, v4, v23
	v_mul_u32_u24_e32 v7, 0xd47, v7
	v_mul_lo_u32 v4, v4, s10
	v_xor_b32_e32 v23, 0x7fffffff, v7
	v_sub_u32_e32 v24, 0, v7
	v_cmp_lt_u32_e32 vcc, v4, v7
	v_cndmask_b32_e32 v7, v24, v23, vcc
	v_add_u32_e32 v4, v7, v4
	v_mul_hi_u32 v23, v4, s9
	v_add_u32_e32 v7, -1, v4
	v_lshrrev_b32_e32 v23, 15, v23
	v_cvt_f32_u32_e32 v7, v7
	v_mul_u32_u24_e32 v24, 0xadc8, v23
	v_cvt_f32_u32_e32 v5, v5
	v_sub_u32_e32 v4, v4, v24
	v_mul_u32_u24_e32 v23, 0xd47, v23
	v_mul_lo_u32 v4, v4, s10
	v_xor_b32_e32 v24, 0x7fffffff, v23
	v_sub_u32_e32 v25, 0, v23
	v_cmp_lt_u32_e32 vcc, v4, v23
	v_fma_f32 v7, v7, s11, 0
	v_cndmask_b32_e32 v23, v25, v24, vcc
	v_fma_f32 v5, v5, s11, 0
	v_mul_f32_e32 v7, v7, v7
	v_add_u32_e32 v4, v23, v4
	v_fmac_f32_e32 v7, v5, v5
	v_mul_hi_u32 v23, v4, s9
	v_add_u32_e32 v5, -1, v4
	v_mul_f32_e32 v24, 0x4f800000, v7
	v_lshrrev_b32_e32 v23, 15, v23
	v_cmp_gt_f32_e32 vcc, s14, v7
	v_cvt_f32_u32_e32 v5, v5
	v_cndmask_b32_e32 v7, v7, v24, vcc
	v_mul_u32_u24_e32 v24, 0xadc8, v23
	v_sqrt_f32_e32 v25, v7
	v_sub_u32_e32 v4, v4, v24
	v_mul_u32_u24_e32 v23, 0xd47, v23
	v_mul_lo_u32 v4, v4, s10
	v_xor_b32_e32 v24, 0x7fffffff, v23
	v_sub_u32_e32 v28, 0, v23
	v_cmp_lt_u32_e64 s[4:5], v4, v23
	v_fma_f32 v29, v5, s11, 0
	v_cndmask_b32_e64 v5, v28, v24, s[4:5]
	v_add_u32_e32 v5, v5, v4
	v_add_u32_e32 v4, -1, v25
	v_add_u32_e32 v23, 1, v25
	v_add_u32_e32 v24, -1, v5
	v_fma_f32 v28, -v4, v25, v7
	v_fma_f32 v30, -v23, v25, v7
	v_cvt_f32_u32_e32 v24, v24
	v_cmp_ge_f32_e64 s[4:5], 0, v28
	v_cndmask_b32_e64 v4, v25, v4, s[4:5]
	v_cmp_lt_f32_e64 s[4:5], 0, v30
	v_cndmask_b32_e64 v4, v4, v23, s[4:5]
	v_mul_f32_e32 v23, 0x37800000, v4
	v_cndmask_b32_e32 v4, v4, v23, vcc
	v_fma_f32 v23, v24, s11, 0
	v_cmp_class_f32_e32 vcc, v7, v3
	v_cndmask_b32_e32 v4, v4, v7, vcc
	v_mul_f32_e32 v7, v23, v23
	v_add_f32_e32 v6, 1.0, v22
	v_cmp_nge_f32_e32 vcc, 1.0, v4
	v_fmac_f32_e32 v7, v29, v29
	v_cndmask_b32_e32 v4, v6, v22, vcc
	v_mul_f32_e32 v6, 0x4f800000, v7
	v_cmp_gt_f32_e32 vcc, s14, v7
	v_cndmask_b32_e32 v6, v7, v6, vcc
	v_sqrt_f32_e32 v7, v6
	s_add_i32 s8, s8, -2
	v_add_f32_e32 v22, 1.0, v4
	s_cmp_lg_u32 s8, 0
	v_add_u32_e32 v23, -1, v7
	v_add_u32_e32 v24, 1, v7
	v_fma_f32 v25, -v23, v7, v6
	v_fma_f32 v28, -v24, v7, v6
	v_cmp_ge_f32_e64 s[4:5], 0, v25
	v_cndmask_b32_e64 v7, v7, v23, s[4:5]
	v_cmp_lt_f32_e64 s[4:5], 0, v28
	v_cndmask_b32_e64 v7, v7, v24, s[4:5]
	v_mul_f32_e32 v23, 0x37800000, v7
	v_cndmask_b32_e32 v7, v7, v23, vcc
	v_cmp_class_f32_e32 vcc, v6, v3
	v_cndmask_b32_e32 v6, v7, v6, vcc
	v_cmp_nge_f32_e32 vcc, 1.0, v6
	v_cndmask_b32_e32 v22, v22, v4, vcc
	s_cbranch_scc1 .LBB29_367
; %bb.368:
	v_add_u32_e32 v4, 0x6b6c00, v2
	v_cmp_ne_u32_e32 vcc, 0, v4
	v_mov_b32_e32 v5, 1
	s_and_saveexec_b64 s[8:9], vcc
	s_cbranch_execz .LBB29_382
; %bb.369:
	v_mov_b32_e32 v6, 1
	v_mov_b32_e32 v5, 0
	s_mov_b64 s[14:15], 0xbc8f
	s_mov_b64 s[10:11], 0
	v_mov_b32_e32 v7, 0
	s_brev_b32 s19, -2
	s_mov_b32 s20, 0x7ffffffe
	v_mov_b32_e32 v3, 0xfffff800
	s_movk_i32 s21, 0x401
	s_branch .LBB29_371
.LBB29_370:                             ;   in Loop: Header=BB29_371 Depth=1
	s_or_b64 exec, exec, s[16:17]
	s_mul_i32 s4, s14, s15
	s_mul_hi_u32 s5, s14, s14
	s_add_i32 s5, s5, s4
	s_add_i32 s4, s5, s4
	s_mul_i32 s5, s14, s14
	s_add_u32 s14, 0x402, s21
	s_addc_u32 s15, 0, 0
	v_add_co_u32_e32 v23, vcc, s14, v3
	s_cmp_lg_u64 vcc, 0
	v_readfirstlane_b32 s16, v23
	s_addc_u32 s14, s15, 1
	s_mul_hi_u32 s17, s16, 0x80000001
	s_mul_i32 s15, s14, 0x80000001
	s_sub_i32 s17, s17, s16
	s_add_i32 s17, s17, s15
	s_mul_i32 s23, s16, 0x80000001
	s_mul_hi_u32 s15, s16, s17
	s_mul_i32 s22, s16, s17
	s_mul_hi_u32 s16, s16, s23
	s_add_u32 s16, s16, s22
	s_addc_u32 s15, 0, s15
	s_mul_hi_u32 s24, s14, s23
	s_mul_i32 s23, s14, s23
	s_add_u32 s16, s16, s23
	s_mul_hi_u32 s22, s14, s17
	s_addc_u32 s15, s15, s24
	s_addc_u32 s16, s22, 0
	s_mul_i32 s17, s14, s17
	s_add_u32 s15, s15, s17
	s_addc_u32 s16, 0, s16
	v_add_co_u32_e32 v23, vcc, s15, v23
	s_cmp_lg_u64 vcc, 0
	s_addc_u32 s14, s14, s16
	v_readfirstlane_b32 s17, v23
	s_mul_i32 s16, s5, s14
	s_mul_hi_u32 s22, s5, s17
	s_mul_hi_u32 s15, s5, s14
	s_add_u32 s16, s22, s16
	s_addc_u32 s15, 0, s15
	s_mul_hi_u32 s23, s4, s17
	s_mul_i32 s17, s4, s17
	s_add_u32 s16, s16, s17
	s_mul_hi_u32 s22, s4, s14
	s_addc_u32 s15, s15, s23
	s_addc_u32 s16, s22, 0
	s_mul_i32 s14, s4, s14
	s_add_u32 s14, s15, s14
	s_addc_u32 s15, 0, s16
	s_mul_hi_u32 s16, s14, 0x7fffffff
	s_mul_i32 s14, s14, 0x7fffffff
	s_mul_i32 s15, s15, 0x7fffffff
	v_mov_b32_e32 v23, s14
	s_add_i32 s16, s16, s15
	v_sub_co_u32_e32 v23, vcc, s5, v23
	s_cmp_lg_u64 vcc, 0
	s_subb_u32 s4, s4, s16
	v_subrev_co_u32_e32 v28, vcc, s19, v23
	s_cmp_lg_u64 vcc, 0
	s_subb_u32 s5, s4, 0
	v_subrev_co_u32_e32 v29, vcc, s19, v28
	s_cmp_lg_u64 vcc, 0
	s_subb_u32 s14, s5, 0
	v_readfirstlane_b32 s15, v28
	s_cmp_gt_u32 s15, 0x7ffffffe
	s_cselect_b32 s16, -1, 0
	s_cmp_eq_u32 s5, 0
	s_cselect_b32 s16, s16, -1
	s_cmp_lg_u32 s16, 0
	s_cselect_b32 s5, s14, s5
	v_readfirstlane_b32 s14, v29
	v_readfirstlane_b32 s16, v23
	s_cselect_b32 s14, s14, s15
	s_cmp_gt_u32 s16, 0x7ffffffe
	s_cselect_b32 s15, -1, 0
	s_cmp_eq_u32 s4, 0
	s_cselect_b32 s15, s15, -1
	v_lshrrev_b64 v[24:25], 1, v[4:5]
	s_cmp_lg_u32 s15, 0
	v_cmp_gt_u64_e32 vcc, 2, v[4:5]
	s_cselect_b32 s15, s5, s4
	s_cselect_b32 s14, s14, s16
	s_or_b64 s[10:11], vcc, s[10:11]
	v_pk_mov_b32 v[4:5], v[24:25], v[24:25] op_sel:[0,1]
	s_andn2_b64 exec, exec, s[10:11]
	s_cbranch_execz .LBB29_381
.LBB29_371:                             ; =>This Inner Loop Header: Depth=1
	v_and_b32_e32 v23, 1, v4
	v_cmp_eq_u32_e32 vcc, 1, v23
	s_and_saveexec_b64 s[16:17], vcc
	s_cbranch_execz .LBB29_370
; %bb.372:                              ;   in Loop: Header=BB29_371 Depth=1
	v_mul_lo_u32 v23, s15, v6
	v_mul_lo_u32 v24, s14, v7
	v_mad_u64_u32 v[6:7], s[4:5], s14, v6, 0
	s_add_u32 s4, 0x402, s21
	v_add3_u32 v7, v7, v24, v23
	s_addc_u32 s5, 0, 0
	v_add_co_u32_e32 v23, vcc, s4, v3
	s_cmp_lg_u64 vcc, 0
	v_readfirstlane_b32 s22, v23
	s_addc_u32 s4, s5, 1
	s_mul_hi_u32 s23, s22, 0x80000001
	s_mul_i32 s5, s4, 0x80000001
	s_sub_i32 s23, s23, s22
	s_add_i32 s23, s23, s5
	s_mul_i32 s25, s22, 0x80000001
	s_mul_hi_u32 s5, s22, s23
	s_mul_i32 s24, s22, s23
	s_mul_hi_u32 s22, s22, s25
	s_add_u32 s22, s22, s24
	s_addc_u32 s5, 0, s5
	s_mul_hi_u32 s26, s4, s25
	s_mul_i32 s25, s4, s25
	s_add_u32 s22, s22, s25
	s_mul_hi_u32 s24, s4, s23
	s_addc_u32 s5, s5, s26
	s_addc_u32 s22, s24, 0
	s_mul_i32 s23, s4, s23
	s_add_u32 s5, s5, s23
	s_addc_u32 s22, 0, s22
	v_add_co_u32_e32 v23, vcc, s5, v23
	s_cmp_lg_u64 vcc, 0
	s_addc_u32 s22, s4, s22
	v_mad_u64_u32 v[24:25], s[4:5], v6, s22, 0
	v_mul_hi_u32 v28, v6, v23
	v_add_co_u32_e32 v30, vcc, v28, v24
	v_addc_co_u32_e32 v32, vcc, 0, v25, vcc
	v_mad_u64_u32 v[28:29], s[4:5], v7, v23, 0
	v_add_co_u32_e32 v23, vcc, v30, v28
	v_mad_u64_u32 v[24:25], s[4:5], v7, s22, 0
	v_addc_co_u32_e32 v23, vcc, v32, v29, vcc
	v_addc_co_u32_e32 v25, vcc, 0, v25, vcc
	v_add_co_u32_e32 v23, vcc, v23, v24
	v_addc_co_u32_e32 v29, vcc, 0, v25, vcc
	v_mad_u64_u32 v[24:25], s[4:5], v23, s19, 0
	v_mov_b32_e32 v28, v25
	v_mad_u64_u32 v[28:29], s[4:5], v29, s19, v[28:29]
	v_sub_co_u32_e32 v6, vcc, v6, v24
	v_subb_co_u32_e32 v7, vcc, v7, v28, vcc
	v_subrev_co_u32_e32 v23, vcc, s19, v6
	v_subbrev_co_u32_e32 v24, vcc, 0, v7, vcc
	v_subrev_co_u32_e32 v25, vcc, s19, v23
	v_subbrev_co_u32_e32 v28, vcc, 0, v24, vcc
	v_cmp_lt_u32_e32 vcc, s20, v23
	v_cndmask_b32_e64 v29, 0, -1, vcc
	v_cmp_eq_u32_e32 vcc, 0, v24
	v_cndmask_b32_e32 v29, -1, v29, vcc
	v_cmp_ne_u32_e32 vcc, 0, v29
	v_cmp_lt_u32_e64 s[4:5], s20, v6
	v_cndmask_b32_e32 v24, v24, v28, vcc
	v_cndmask_b32_e64 v28, 0, -1, s[4:5]
	v_cmp_eq_u32_e64 s[4:5], 0, v7
	v_cndmask_b32_e64 v28, -1, v28, s[4:5]
	v_cmp_ne_u32_e64 s[4:5], 0, v28
	v_cndmask_b32_e32 v23, v23, v25, vcc
	v_cndmask_b32_e64 v7, v7, v24, s[4:5]
	v_cndmask_b32_e64 v6, v6, v23, s[4:5]
	s_branch .LBB29_370
.LBB29_373:
	s_or_b64 exec, exec, s[10:11]
	s_movk_i32 s4, 0x401
	s_add_u32 s4, 0x402, s4
	v_mov_b32_e32 v5, 0xfffff800
	s_addc_u32 s5, 0, 0
	v_add_co_u32_e32 v5, vcc, s4, v5
	s_cmp_lg_u64 vcc, 0
	v_readfirstlane_b32 s10, v5
	s_addc_u32 s4, s5, 1
	s_mul_hi_u32 s11, s10, 0x80000001
	s_mul_i32 s5, s4, 0x80000001
	s_sub_i32 s11, s11, s10
	s_add_i32 s11, s11, s5
	s_mul_i32 s15, s10, 0x80000001
	s_mul_hi_u32 s5, s10, s11
	s_mul_i32 s14, s10, s11
	s_mul_hi_u32 s10, s10, s15
	s_add_u32 s10, s10, s14
	s_addc_u32 s5, 0, s5
	s_mul_hi_u32 s16, s4, s15
	s_mul_i32 s15, s4, s15
	s_add_u32 s10, s10, s15
	s_mul_hi_u32 s14, s4, s11
	s_addc_u32 s5, s5, s16
	s_addc_u32 s10, s14, 0
	s_mul_i32 s11, s4, s11
	s_add_u32 s5, s5, s11
	s_addc_u32 s10, 0, s10
	v_add_co_u32_e32 v5, vcc, s5, v5
	s_cmp_lg_u64 vcc, 0
	s_addc_u32 s10, s4, s10
	v_mad_u64_u32 v[6:7], s[4:5], v8, s10, 0
	v_mul_hi_u32 v22, v8, v5
	v_add_co_u32_e32 v24, vcc, v22, v6
	v_addc_co_u32_e32 v25, vcc, 0, v7, vcc
	v_mad_u64_u32 v[22:23], s[4:5], v9, v5, 0
	v_add_co_u32_e32 v5, vcc, v24, v22
	v_mad_u64_u32 v[6:7], s[4:5], v9, s10, 0
	v_addc_co_u32_e32 v5, vcc, v25, v23, vcc
	v_addc_co_u32_e32 v7, vcc, 0, v7, vcc
	v_add_co_u32_e32 v5, vcc, v5, v6
	s_brev_b32 s10, -2
	v_addc_co_u32_e32 v23, vcc, 0, v7, vcc
	v_mad_u64_u32 v[6:7], s[4:5], v5, s10, 0
	v_mov_b32_e32 v22, v7
	v_mad_u64_u32 v[22:23], s[4:5], v23, s10, v[22:23]
	v_sub_co_u32_e32 v5, vcc, v8, v6
	v_subb_co_u32_e32 v6, vcc, v9, v22, vcc
	v_subrev_co_u32_e32 v7, vcc, 0x7fffffff, v5
	v_subbrev_co_u32_e32 v8, vcc, 0, v6, vcc
	s_mov_b32 s4, 0x7ffffffe
	v_cmp_lt_u32_e32 vcc, s4, v7
	v_cndmask_b32_e64 v9, 0, -1, vcc
	v_cmp_eq_u32_e32 vcc, 0, v8
	v_cndmask_b32_e32 v8, -1, v9, vcc
	v_add_u32_e32 v9, 0x80000001, v7
	v_cmp_ne_u32_e32 vcc, 0, v8
	v_cndmask_b32_e32 v7, v7, v9, vcc
	v_cmp_lt_u32_e32 vcc, s4, v5
	v_cndmask_b32_e64 v8, 0, -1, vcc
	v_cmp_eq_u32_e32 vcc, 0, v6
	v_cndmask_b32_e32 v6, -1, v8, vcc
	v_cmp_ne_u32_e32 vcc, 0, v6
	v_cndmask_b32_e32 v7, v5, v7, vcc
.LBB29_374:
	s_or_b64 exec, exec, s[8:9]
	s_movk_i32 s8, 0x1388
	v_mov_b32_e32 v22, 0
	s_mov_b32 s9, 0xbc8f1391
	s_mov_b32 s10, 0xbc8f
	s_brev_b32 s11, 12
	s_mov_b32 s14, 0xf800000
	v_mov_b32_e32 v5, 0x260
.LBB29_375:                             ; =>This Inner Loop Header: Depth=1
	v_mul_hi_u32 v6, v7, s9
	v_lshrrev_b32_e32 v6, 15, v6
	v_mul_u32_u24_e32 v9, 0xadc8, v6
	v_sub_u32_e32 v7, v7, v9
	v_mul_u32_u24_e32 v6, 0xd47, v6
	v_mul_lo_u32 v7, v7, s10
	v_xor_b32_e32 v9, 0x7fffffff, v6
	v_sub_u32_e32 v23, 0, v6
	v_cmp_lt_u32_e32 vcc, v7, v6
	v_cndmask_b32_e32 v6, v23, v9, vcc
	v_add_u32_e32 v6, v6, v7
	v_mul_hi_u32 v9, v6, s9
	v_lshrrev_b32_e32 v9, 15, v9
	v_mul_u32_u24_e32 v23, 0xadc8, v9
	v_add_u32_e32 v7, -1, v6
	v_sub_u32_e32 v6, v6, v23
	v_mul_u32_u24_e32 v9, 0xd47, v9
	v_mul_lo_u32 v6, v6, s10
	v_xor_b32_e32 v23, 0x7fffffff, v9
	v_sub_u32_e32 v24, 0, v9
	v_cmp_lt_u32_e32 vcc, v6, v9
	v_cndmask_b32_e32 v9, v24, v23, vcc
	v_add_u32_e32 v6, v9, v6
	v_mul_hi_u32 v23, v6, s9
	v_add_u32_e32 v9, -1, v6
	v_lshrrev_b32_e32 v23, 15, v23
	v_cvt_f32_u32_e32 v9, v9
	v_mul_u32_u24_e32 v24, 0xadc8, v23
	v_cvt_f32_u32_e32 v7, v7
	v_sub_u32_e32 v6, v6, v24
	v_mul_u32_u24_e32 v23, 0xd47, v23
	v_mul_lo_u32 v6, v6, s10
	v_xor_b32_e32 v24, 0x7fffffff, v23
	v_sub_u32_e32 v25, 0, v23
	v_cmp_lt_u32_e32 vcc, v6, v23
	v_fma_f32 v9, v9, s11, 0
	v_cndmask_b32_e32 v23, v25, v24, vcc
	v_fma_f32 v7, v7, s11, 0
	v_mul_f32_e32 v9, v9, v9
	v_add_u32_e32 v6, v23, v6
	v_fmac_f32_e32 v9, v7, v7
	v_mul_hi_u32 v23, v6, s9
	v_add_u32_e32 v7, -1, v6
	v_mul_f32_e32 v24, 0x4f800000, v9
	v_lshrrev_b32_e32 v23, 15, v23
	v_cmp_gt_f32_e32 vcc, s14, v9
	v_cvt_f32_u32_e32 v7, v7
	v_cndmask_b32_e32 v9, v9, v24, vcc
	v_mul_u32_u24_e32 v24, 0xadc8, v23
	v_sqrt_f32_e32 v25, v9
	v_sub_u32_e32 v6, v6, v24
	v_mul_u32_u24_e32 v23, 0xd47, v23
	v_mul_lo_u32 v6, v6, s10
	v_xor_b32_e32 v24, 0x7fffffff, v23
	v_sub_u32_e32 v26, 0, v23
	v_cmp_lt_u32_e64 s[4:5], v6, v23
	v_fma_f32 v27, v7, s11, 0
	v_cndmask_b32_e64 v7, v26, v24, s[4:5]
	v_add_u32_e32 v7, v7, v6
	v_add_u32_e32 v6, -1, v25
	v_add_u32_e32 v23, 1, v25
	v_add_u32_e32 v24, -1, v7
	v_fma_f32 v26, -v6, v25, v9
	v_fma_f32 v28, -v23, v25, v9
	v_cvt_f32_u32_e32 v24, v24
	v_cmp_ge_f32_e64 s[4:5], 0, v26
	v_cndmask_b32_e64 v6, v25, v6, s[4:5]
	v_cmp_lt_f32_e64 s[4:5], 0, v28
	v_cndmask_b32_e64 v6, v6, v23, s[4:5]
	v_mul_f32_e32 v23, 0x37800000, v6
	v_cndmask_b32_e32 v6, v6, v23, vcc
	v_fma_f32 v23, v24, s11, 0
	v_cmp_class_f32_e32 vcc, v9, v5
	v_cndmask_b32_e32 v6, v6, v9, vcc
	v_mul_f32_e32 v9, v23, v23
	v_add_f32_e32 v8, 1.0, v22
	v_cmp_nge_f32_e32 vcc, 1.0, v6
	v_fmac_f32_e32 v9, v27, v27
	v_cndmask_b32_e32 v6, v8, v22, vcc
	v_mul_f32_e32 v8, 0x4f800000, v9
	v_cmp_gt_f32_e32 vcc, s14, v9
	v_cndmask_b32_e32 v8, v9, v8, vcc
	v_sqrt_f32_e32 v9, v8
	s_add_i32 s8, s8, -2
	v_add_f32_e32 v22, 1.0, v6
	s_cmp_lg_u32 s8, 0
	v_add_u32_e32 v23, -1, v9
	v_add_u32_e32 v24, 1, v9
	v_fma_f32 v25, -v23, v9, v8
	v_fma_f32 v26, -v24, v9, v8
	v_cmp_ge_f32_e64 s[4:5], 0, v25
	v_cndmask_b32_e64 v9, v9, v23, s[4:5]
	v_cmp_lt_f32_e64 s[4:5], 0, v26
	v_cndmask_b32_e64 v9, v9, v24, s[4:5]
	v_mul_f32_e32 v23, 0x37800000, v9
	v_cndmask_b32_e32 v9, v9, v23, vcc
	v_cmp_class_f32_e32 vcc, v8, v5
	v_cndmask_b32_e32 v8, v9, v8, vcc
	v_cmp_nge_f32_e32 vcc, 1.0, v8
	v_cndmask_b32_e32 v22, v22, v6, vcc
	s_cbranch_scc1 .LBB29_375
; %bb.376:
	v_add_u32_e32 v6, 0x6b6c00, v4
	v_cmp_ne_u32_e32 vcc, 0, v6
	v_mov_b32_e32 v7, 1
	s_and_saveexec_b64 s[8:9], vcc
	s_cbranch_execz .LBB29_390
; %bb.377:
	v_mov_b32_e32 v8, 1
	v_mov_b32_e32 v7, 0
	s_mov_b64 s[14:15], 0xbc8f
	s_mov_b64 s[10:11], 0
	v_mov_b32_e32 v9, 0
	s_brev_b32 s19, -2
	s_mov_b32 s20, 0x7ffffffe
	v_mov_b32_e32 v5, 0xfffff800
	s_movk_i32 s21, 0x401
	s_branch .LBB29_379
.LBB29_378:                             ;   in Loop: Header=BB29_379 Depth=1
	s_or_b64 exec, exec, s[16:17]
	s_mul_i32 s4, s14, s15
	s_mul_hi_u32 s5, s14, s14
	s_add_i32 s5, s5, s4
	s_add_i32 s4, s5, s4
	s_mul_i32 s5, s14, s14
	s_add_u32 s14, 0x402, s21
	s_addc_u32 s15, 0, 0
	v_add_co_u32_e32 v23, vcc, s14, v5
	s_cmp_lg_u64 vcc, 0
	v_readfirstlane_b32 s16, v23
	s_addc_u32 s14, s15, 1
	s_mul_hi_u32 s17, s16, 0x80000001
	s_mul_i32 s15, s14, 0x80000001
	s_sub_i32 s17, s17, s16
	s_add_i32 s17, s17, s15
	s_mul_i32 s23, s16, 0x80000001
	s_mul_hi_u32 s15, s16, s17
	s_mul_i32 s22, s16, s17
	s_mul_hi_u32 s16, s16, s23
	s_add_u32 s16, s16, s22
	s_addc_u32 s15, 0, s15
	s_mul_hi_u32 s24, s14, s23
	s_mul_i32 s23, s14, s23
	s_add_u32 s16, s16, s23
	s_mul_hi_u32 s22, s14, s17
	s_addc_u32 s15, s15, s24
	s_addc_u32 s16, s22, 0
	s_mul_i32 s17, s14, s17
	s_add_u32 s15, s15, s17
	s_addc_u32 s16, 0, s16
	v_add_co_u32_e32 v23, vcc, s15, v23
	s_cmp_lg_u64 vcc, 0
	s_addc_u32 s14, s14, s16
	v_readfirstlane_b32 s17, v23
	s_mul_i32 s16, s5, s14
	s_mul_hi_u32 s22, s5, s17
	s_mul_hi_u32 s15, s5, s14
	s_add_u32 s16, s22, s16
	s_addc_u32 s15, 0, s15
	s_mul_hi_u32 s23, s4, s17
	s_mul_i32 s17, s4, s17
	s_add_u32 s16, s16, s17
	s_mul_hi_u32 s22, s4, s14
	s_addc_u32 s15, s15, s23
	s_addc_u32 s16, s22, 0
	s_mul_i32 s14, s4, s14
	s_add_u32 s14, s15, s14
	s_addc_u32 s15, 0, s16
	s_mul_hi_u32 s16, s14, 0x7fffffff
	s_mul_i32 s14, s14, 0x7fffffff
	s_mul_i32 s15, s15, 0x7fffffff
	v_mov_b32_e32 v23, s14
	s_add_i32 s16, s16, s15
	v_sub_co_u32_e32 v23, vcc, s5, v23
	s_cmp_lg_u64 vcc, 0
	s_subb_u32 s4, s4, s16
	v_subrev_co_u32_e32 v26, vcc, s19, v23
	s_cmp_lg_u64 vcc, 0
	s_subb_u32 s5, s4, 0
	v_subrev_co_u32_e32 v27, vcc, s19, v26
	s_cmp_lg_u64 vcc, 0
	s_subb_u32 s14, s5, 0
	v_readfirstlane_b32 s15, v26
	s_cmp_gt_u32 s15, 0x7ffffffe
	s_cselect_b32 s16, -1, 0
	s_cmp_eq_u32 s5, 0
	s_cselect_b32 s16, s16, -1
	s_cmp_lg_u32 s16, 0
	s_cselect_b32 s5, s14, s5
	v_readfirstlane_b32 s14, v27
	v_readfirstlane_b32 s16, v23
	s_cselect_b32 s14, s14, s15
	s_cmp_gt_u32 s16, 0x7ffffffe
	s_cselect_b32 s15, -1, 0
	s_cmp_eq_u32 s4, 0
	s_cselect_b32 s15, s15, -1
	v_lshrrev_b64 v[24:25], 1, v[6:7]
	s_cmp_lg_u32 s15, 0
	v_cmp_gt_u64_e32 vcc, 2, v[6:7]
	s_cselect_b32 s15, s5, s4
	s_cselect_b32 s14, s14, s16
	s_or_b64 s[10:11], vcc, s[10:11]
	v_pk_mov_b32 v[6:7], v[24:25], v[24:25] op_sel:[0,1]
	s_andn2_b64 exec, exec, s[10:11]
	s_cbranch_execz .LBB29_389
.LBB29_379:                             ; =>This Inner Loop Header: Depth=1
	v_and_b32_e32 v23, 1, v6
	v_cmp_eq_u32_e32 vcc, 1, v23
	s_and_saveexec_b64 s[16:17], vcc
	s_cbranch_execz .LBB29_378
; %bb.380:                              ;   in Loop: Header=BB29_379 Depth=1
	v_mul_lo_u32 v23, s15, v8
	v_mul_lo_u32 v24, s14, v9
	v_mad_u64_u32 v[8:9], s[4:5], s14, v8, 0
	s_add_u32 s4, 0x402, s21
	v_add3_u32 v9, v9, v24, v23
	s_addc_u32 s5, 0, 0
	v_add_co_u32_e32 v23, vcc, s4, v5
	s_cmp_lg_u64 vcc, 0
	v_readfirstlane_b32 s22, v23
	s_addc_u32 s4, s5, 1
	s_mul_hi_u32 s23, s22, 0x80000001
	s_mul_i32 s5, s4, 0x80000001
	s_sub_i32 s23, s23, s22
	s_add_i32 s23, s23, s5
	s_mul_i32 s25, s22, 0x80000001
	s_mul_hi_u32 s5, s22, s23
	s_mul_i32 s24, s22, s23
	s_mul_hi_u32 s22, s22, s25
	s_add_u32 s22, s22, s24
	s_addc_u32 s5, 0, s5
	s_mul_hi_u32 s26, s4, s25
	s_mul_i32 s25, s4, s25
	s_add_u32 s22, s22, s25
	s_mul_hi_u32 s24, s4, s23
	s_addc_u32 s5, s5, s26
	s_addc_u32 s22, s24, 0
	s_mul_i32 s23, s4, s23
	s_add_u32 s5, s5, s23
	s_addc_u32 s22, 0, s22
	v_add_co_u32_e32 v23, vcc, s5, v23
	s_cmp_lg_u64 vcc, 0
	s_addc_u32 s22, s4, s22
	v_mad_u64_u32 v[24:25], s[4:5], v8, s22, 0
	v_mul_hi_u32 v26, v8, v23
	v_add_co_u32_e32 v28, vcc, v26, v24
	v_addc_co_u32_e32 v29, vcc, 0, v25, vcc
	v_mad_u64_u32 v[26:27], s[4:5], v9, v23, 0
	v_add_co_u32_e32 v23, vcc, v28, v26
	v_mad_u64_u32 v[24:25], s[4:5], v9, s22, 0
	v_addc_co_u32_e32 v23, vcc, v29, v27, vcc
	v_addc_co_u32_e32 v25, vcc, 0, v25, vcc
	v_add_co_u32_e32 v23, vcc, v23, v24
	v_addc_co_u32_e32 v27, vcc, 0, v25, vcc
	v_mad_u64_u32 v[24:25], s[4:5], v23, s19, 0
	v_mov_b32_e32 v26, v25
	v_mad_u64_u32 v[26:27], s[4:5], v27, s19, v[26:27]
	v_sub_co_u32_e32 v8, vcc, v8, v24
	v_subb_co_u32_e32 v9, vcc, v9, v26, vcc
	v_subrev_co_u32_e32 v23, vcc, s19, v8
	v_subbrev_co_u32_e32 v24, vcc, 0, v9, vcc
	v_subrev_co_u32_e32 v25, vcc, s19, v23
	v_subbrev_co_u32_e32 v26, vcc, 0, v24, vcc
	v_cmp_lt_u32_e32 vcc, s20, v23
	v_cndmask_b32_e64 v27, 0, -1, vcc
	v_cmp_eq_u32_e32 vcc, 0, v24
	v_cndmask_b32_e32 v27, -1, v27, vcc
	v_cmp_ne_u32_e32 vcc, 0, v27
	v_cmp_lt_u32_e64 s[4:5], s20, v8
	v_cndmask_b32_e32 v24, v24, v26, vcc
	v_cndmask_b32_e64 v26, 0, -1, s[4:5]
	v_cmp_eq_u32_e64 s[4:5], 0, v9
	v_cndmask_b32_e64 v26, -1, v26, s[4:5]
	v_cmp_ne_u32_e64 s[4:5], 0, v26
	v_cndmask_b32_e32 v23, v23, v25, vcc
	v_cndmask_b32_e64 v9, v9, v24, s[4:5]
	v_cndmask_b32_e64 v8, v8, v23, s[4:5]
	s_branch .LBB29_378
.LBB29_381:
	s_or_b64 exec, exec, s[10:11]
	s_movk_i32 s4, 0x401
	s_add_u32 s4, 0x402, s4
	v_mov_b32_e32 v3, 0xfffff800
	s_addc_u32 s5, 0, 0
	v_add_co_u32_e32 v3, vcc, s4, v3
	s_cmp_lg_u64 vcc, 0
	v_readfirstlane_b32 s10, v3
	s_addc_u32 s4, s5, 1
	s_mul_hi_u32 s11, s10, 0x80000001
	s_mul_i32 s5, s4, 0x80000001
	s_sub_i32 s11, s11, s10
	s_add_i32 s11, s11, s5
	s_mul_i32 s15, s10, 0x80000001
	s_mul_hi_u32 s5, s10, s11
	s_mul_i32 s14, s10, s11
	s_mul_hi_u32 s10, s10, s15
	s_add_u32 s10, s10, s14
	s_addc_u32 s5, 0, s5
	s_mul_hi_u32 s16, s4, s15
	s_mul_i32 s15, s4, s15
	s_add_u32 s10, s10, s15
	s_mul_hi_u32 s14, s4, s11
	s_addc_u32 s5, s5, s16
	s_addc_u32 s10, s14, 0
	s_mul_i32 s11, s4, s11
	s_add_u32 s5, s5, s11
	s_addc_u32 s10, 0, s10
	v_add_co_u32_e32 v3, vcc, s5, v3
	s_cmp_lg_u64 vcc, 0
	s_addc_u32 s10, s4, s10
	v_mad_u64_u32 v[4:5], s[4:5], v6, s10, 0
	v_mul_hi_u32 v23, v6, v3
	v_add_co_u32_e32 v23, vcc, v23, v4
	v_addc_co_u32_e32 v28, vcc, 0, v5, vcc
	v_mad_u64_u32 v[24:25], s[4:5], v7, v3, 0
	v_add_co_u32_e32 v3, vcc, v23, v24
	v_mad_u64_u32 v[4:5], s[4:5], v7, s10, 0
	v_addc_co_u32_e32 v3, vcc, v28, v25, vcc
	v_addc_co_u32_e32 v5, vcc, 0, v5, vcc
	v_add_co_u32_e32 v3, vcc, v3, v4
	s_brev_b32 s10, -2
	v_addc_co_u32_e32 v23, vcc, 0, v5, vcc
	v_mad_u64_u32 v[4:5], s[4:5], v3, s10, 0
	v_mov_b32_e32 v24, v5
	v_mad_u64_u32 v[24:25], s[4:5], v23, s10, v[24:25]
	v_sub_co_u32_e32 v3, vcc, v6, v4
	v_subb_co_u32_e32 v4, vcc, v7, v24, vcc
	v_subrev_co_u32_e32 v5, vcc, 0x7fffffff, v3
	v_subbrev_co_u32_e32 v6, vcc, 0, v4, vcc
	s_mov_b32 s4, 0x7ffffffe
	v_cmp_lt_u32_e32 vcc, s4, v5
	v_cndmask_b32_e64 v7, 0, -1, vcc
	v_cmp_eq_u32_e32 vcc, 0, v6
	v_cndmask_b32_e32 v6, -1, v7, vcc
	v_add_u32_e32 v7, 0x80000001, v5
	v_cmp_ne_u32_e32 vcc, 0, v6
	v_cndmask_b32_e32 v5, v5, v7, vcc
	v_cmp_lt_u32_e32 vcc, s4, v3
	v_cndmask_b32_e64 v6, 0, -1, vcc
	v_cmp_eq_u32_e32 vcc, 0, v4
	v_cndmask_b32_e32 v4, -1, v6, vcc
	v_cmp_ne_u32_e32 vcc, 0, v4
	v_cndmask_b32_e32 v5, v3, v5, vcc
.LBB29_382:
	s_or_b64 exec, exec, s[8:9]
	s_movk_i32 s8, 0x1388
	v_mov_b32_e32 v23, 0
	s_mov_b32 s9, 0xbc8f1391
	s_mov_b32 s10, 0xbc8f
	s_brev_b32 s11, 12
	s_mov_b32 s14, 0xf800000
	v_mov_b32_e32 v3, 0x260
.LBB29_383:                             ; =>This Inner Loop Header: Depth=1
	v_mul_hi_u32 v4, v5, s9
	v_lshrrev_b32_e32 v4, 15, v4
	v_mul_u32_u24_e32 v7, 0xadc8, v4
	v_sub_u32_e32 v5, v5, v7
	v_mul_u32_u24_e32 v4, 0xd47, v4
	v_mul_lo_u32 v5, v5, s10
	v_xor_b32_e32 v7, 0x7fffffff, v4
	v_sub_u32_e32 v24, 0, v4
	v_cmp_lt_u32_e32 vcc, v5, v4
	v_cndmask_b32_e32 v4, v24, v7, vcc
	v_add_u32_e32 v4, v4, v5
	v_mul_hi_u32 v7, v4, s9
	v_lshrrev_b32_e32 v7, 15, v7
	v_mul_u32_u24_e32 v24, 0xadc8, v7
	v_add_u32_e32 v5, -1, v4
	v_sub_u32_e32 v4, v4, v24
	v_mul_u32_u24_e32 v7, 0xd47, v7
	v_mul_lo_u32 v4, v4, s10
	v_xor_b32_e32 v24, 0x7fffffff, v7
	v_sub_u32_e32 v25, 0, v7
	v_cmp_lt_u32_e32 vcc, v4, v7
	v_cndmask_b32_e32 v7, v25, v24, vcc
	v_add_u32_e32 v4, v7, v4
	v_mul_hi_u32 v24, v4, s9
	v_add_u32_e32 v7, -1, v4
	v_lshrrev_b32_e32 v24, 15, v24
	v_cvt_f32_u32_e32 v7, v7
	v_mul_u32_u24_e32 v25, 0xadc8, v24
	v_cvt_f32_u32_e32 v5, v5
	v_sub_u32_e32 v4, v4, v25
	v_mul_u32_u24_e32 v24, 0xd47, v24
	v_mul_lo_u32 v4, v4, s10
	v_xor_b32_e32 v25, 0x7fffffff, v24
	v_sub_u32_e32 v28, 0, v24
	v_cmp_lt_u32_e32 vcc, v4, v24
	v_fma_f32 v7, v7, s11, 0
	v_cndmask_b32_e32 v24, v28, v25, vcc
	v_fma_f32 v5, v5, s11, 0
	v_mul_f32_e32 v7, v7, v7
	v_add_u32_e32 v4, v24, v4
	v_fmac_f32_e32 v7, v5, v5
	v_mul_hi_u32 v24, v4, s9
	v_add_u32_e32 v5, -1, v4
	v_mul_f32_e32 v25, 0x4f800000, v7
	v_lshrrev_b32_e32 v24, 15, v24
	v_cmp_gt_f32_e32 vcc, s14, v7
	v_cvt_f32_u32_e32 v5, v5
	v_cndmask_b32_e32 v7, v7, v25, vcc
	v_mul_u32_u24_e32 v25, 0xadc8, v24
	v_sqrt_f32_e32 v28, v7
	v_sub_u32_e32 v4, v4, v25
	v_mul_u32_u24_e32 v24, 0xd47, v24
	v_mul_lo_u32 v4, v4, s10
	v_xor_b32_e32 v25, 0x7fffffff, v24
	v_sub_u32_e32 v29, 0, v24
	v_cmp_lt_u32_e64 s[4:5], v4, v24
	v_fma_f32 v30, v5, s11, 0
	v_cndmask_b32_e64 v5, v29, v25, s[4:5]
	v_add_u32_e32 v5, v5, v4
	v_add_u32_e32 v4, -1, v28
	v_add_u32_e32 v24, 1, v28
	v_add_u32_e32 v25, -1, v5
	v_fma_f32 v29, -v4, v28, v7
	v_fma_f32 v32, -v24, v28, v7
	v_cvt_f32_u32_e32 v25, v25
	v_cmp_ge_f32_e64 s[4:5], 0, v29
	v_cndmask_b32_e64 v4, v28, v4, s[4:5]
	v_cmp_lt_f32_e64 s[4:5], 0, v32
	v_cndmask_b32_e64 v4, v4, v24, s[4:5]
	v_mul_f32_e32 v24, 0x37800000, v4
	v_cndmask_b32_e32 v4, v4, v24, vcc
	v_fma_f32 v24, v25, s11, 0
	v_cmp_class_f32_e32 vcc, v7, v3
	v_cndmask_b32_e32 v4, v4, v7, vcc
	v_mul_f32_e32 v7, v24, v24
	v_add_f32_e32 v6, 1.0, v23
	v_cmp_nge_f32_e32 vcc, 1.0, v4
	v_fmac_f32_e32 v7, v30, v30
	v_cndmask_b32_e32 v4, v6, v23, vcc
	v_mul_f32_e32 v6, 0x4f800000, v7
	v_cmp_gt_f32_e32 vcc, s14, v7
	v_cndmask_b32_e32 v6, v7, v6, vcc
	v_sqrt_f32_e32 v7, v6
	s_add_i32 s8, s8, -2
	v_add_f32_e32 v23, 1.0, v4
	s_cmp_lg_u32 s8, 0
	v_add_u32_e32 v24, -1, v7
	v_add_u32_e32 v25, 1, v7
	v_fma_f32 v28, -v24, v7, v6
	v_fma_f32 v29, -v25, v7, v6
	v_cmp_ge_f32_e64 s[4:5], 0, v28
	v_cndmask_b32_e64 v7, v7, v24, s[4:5]
	v_cmp_lt_f32_e64 s[4:5], 0, v29
	v_cndmask_b32_e64 v7, v7, v25, s[4:5]
	v_mul_f32_e32 v24, 0x37800000, v7
	v_cndmask_b32_e32 v7, v7, v24, vcc
	v_cmp_class_f32_e32 vcc, v6, v3
	v_cndmask_b32_e32 v6, v7, v6, vcc
	v_cmp_nge_f32_e32 vcc, 1.0, v6
	v_cndmask_b32_e32 v23, v23, v4, vcc
	s_cbranch_scc1 .LBB29_383
; %bb.384:
	v_add_u32_e32 v4, 0x753000, v2
	v_cmp_ne_u32_e32 vcc, 0, v4
	v_mov_b32_e32 v5, 1
	s_and_saveexec_b64 s[8:9], vcc
	s_cbranch_execz .LBB29_398
; %bb.385:
	v_mov_b32_e32 v6, 1
	v_mov_b32_e32 v5, 0
	s_mov_b64 s[14:15], 0xbc8f
	s_mov_b64 s[10:11], 0
	v_mov_b32_e32 v7, 0
	s_brev_b32 s19, -2
	s_mov_b32 s20, 0x7ffffffe
	v_mov_b32_e32 v3, 0xfffff800
	s_movk_i32 s21, 0x401
	s_branch .LBB29_387
.LBB29_386:                             ;   in Loop: Header=BB29_387 Depth=1
	s_or_b64 exec, exec, s[16:17]
	s_mul_i32 s4, s14, s15
	s_mul_hi_u32 s5, s14, s14
	s_add_i32 s5, s5, s4
	s_add_i32 s4, s5, s4
	s_mul_i32 s5, s14, s14
	s_add_u32 s14, 0x402, s21
	s_addc_u32 s15, 0, 0
	v_add_co_u32_e32 v28, vcc, s14, v3
	s_cmp_lg_u64 vcc, 0
	v_readfirstlane_b32 s16, v28
	s_addc_u32 s14, s15, 1
	s_mul_hi_u32 s17, s16, 0x80000001
	s_mul_i32 s15, s14, 0x80000001
	s_sub_i32 s17, s17, s16
	s_add_i32 s17, s17, s15
	s_mul_i32 s23, s16, 0x80000001
	s_mul_hi_u32 s15, s16, s17
	s_mul_i32 s22, s16, s17
	s_mul_hi_u32 s16, s16, s23
	s_add_u32 s16, s16, s22
	s_addc_u32 s15, 0, s15
	s_mul_hi_u32 s24, s14, s23
	s_mul_i32 s23, s14, s23
	s_add_u32 s16, s16, s23
	s_mul_hi_u32 s22, s14, s17
	s_addc_u32 s15, s15, s24
	s_addc_u32 s16, s22, 0
	s_mul_i32 s17, s14, s17
	s_add_u32 s15, s15, s17
	s_addc_u32 s16, 0, s16
	v_add_co_u32_e32 v28, vcc, s15, v28
	s_cmp_lg_u64 vcc, 0
	s_addc_u32 s14, s14, s16
	v_readfirstlane_b32 s17, v28
	s_mul_i32 s16, s5, s14
	s_mul_hi_u32 s22, s5, s17
	s_mul_hi_u32 s15, s5, s14
	s_add_u32 s16, s22, s16
	s_addc_u32 s15, 0, s15
	s_mul_hi_u32 s23, s4, s17
	s_mul_i32 s17, s4, s17
	s_add_u32 s16, s16, s17
	s_mul_hi_u32 s22, s4, s14
	s_addc_u32 s15, s15, s23
	s_addc_u32 s16, s22, 0
	s_mul_i32 s14, s4, s14
	s_add_u32 s14, s15, s14
	s_addc_u32 s15, 0, s16
	s_mul_hi_u32 s16, s14, 0x7fffffff
	s_mul_i32 s14, s14, 0x7fffffff
	s_mul_i32 s15, s15, 0x7fffffff
	v_mov_b32_e32 v28, s14
	s_add_i32 s16, s16, s15
	v_sub_co_u32_e32 v28, vcc, s5, v28
	s_cmp_lg_u64 vcc, 0
	s_subb_u32 s4, s4, s16
	v_subrev_co_u32_e32 v29, vcc, s19, v28
	s_cmp_lg_u64 vcc, 0
	s_subb_u32 s5, s4, 0
	v_subrev_co_u32_e32 v30, vcc, s19, v29
	s_cmp_lg_u64 vcc, 0
	s_subb_u32 s14, s5, 0
	v_readfirstlane_b32 s15, v29
	s_cmp_gt_u32 s15, 0x7ffffffe
	s_cselect_b32 s16, -1, 0
	s_cmp_eq_u32 s5, 0
	s_cselect_b32 s16, s16, -1
	s_cmp_lg_u32 s16, 0
	s_cselect_b32 s5, s14, s5
	v_readfirstlane_b32 s14, v30
	v_readfirstlane_b32 s16, v28
	s_cselect_b32 s14, s14, s15
	s_cmp_gt_u32 s16, 0x7ffffffe
	s_cselect_b32 s15, -1, 0
	s_cmp_eq_u32 s4, 0
	s_cselect_b32 s15, s15, -1
	v_lshrrev_b64 v[24:25], 1, v[4:5]
	s_cmp_lg_u32 s15, 0
	v_cmp_gt_u64_e32 vcc, 2, v[4:5]
	s_cselect_b32 s15, s5, s4
	s_cselect_b32 s14, s14, s16
	s_or_b64 s[10:11], vcc, s[10:11]
	v_pk_mov_b32 v[4:5], v[24:25], v[24:25] op_sel:[0,1]
	s_andn2_b64 exec, exec, s[10:11]
	s_cbranch_execz .LBB29_397
.LBB29_387:                             ; =>This Inner Loop Header: Depth=1
	v_and_b32_e32 v24, 1, v4
	v_cmp_eq_u32_e32 vcc, 1, v24
	s_and_saveexec_b64 s[16:17], vcc
	s_cbranch_execz .LBB29_386
; %bb.388:                              ;   in Loop: Header=BB29_387 Depth=1
	v_mul_lo_u32 v24, s15, v6
	v_mul_lo_u32 v25, s14, v7
	v_mad_u64_u32 v[6:7], s[4:5], s14, v6, 0
	s_add_u32 s4, 0x402, s21
	v_add3_u32 v7, v7, v25, v24
	s_addc_u32 s5, 0, 0
	v_add_co_u32_e32 v24, vcc, s4, v3
	s_cmp_lg_u64 vcc, 0
	v_readfirstlane_b32 s22, v24
	s_addc_u32 s4, s5, 1
	s_mul_hi_u32 s23, s22, 0x80000001
	s_mul_i32 s5, s4, 0x80000001
	s_sub_i32 s23, s23, s22
	s_add_i32 s23, s23, s5
	s_mul_i32 s25, s22, 0x80000001
	s_mul_hi_u32 s5, s22, s23
	s_mul_i32 s24, s22, s23
	s_mul_hi_u32 s22, s22, s25
	s_add_u32 s22, s22, s24
	s_addc_u32 s5, 0, s5
	s_mul_hi_u32 s26, s4, s25
	s_mul_i32 s25, s4, s25
	s_add_u32 s22, s22, s25
	s_mul_hi_u32 s24, s4, s23
	s_addc_u32 s5, s5, s26
	s_addc_u32 s22, s24, 0
	s_mul_i32 s23, s4, s23
	s_add_u32 s5, s5, s23
	s_addc_u32 s22, 0, s22
	v_add_co_u32_e32 v28, vcc, s5, v24
	s_cmp_lg_u64 vcc, 0
	s_addc_u32 s22, s4, s22
	v_mad_u64_u32 v[24:25], s[4:5], v6, s22, 0
	v_mul_hi_u32 v29, v6, v28
	v_add_co_u32_e32 v30, vcc, v29, v24
	v_addc_co_u32_e32 v32, vcc, 0, v25, vcc
	v_mad_u64_u32 v[28:29], s[4:5], v7, v28, 0
	v_add_co_u32_e32 v28, vcc, v30, v28
	v_mad_u64_u32 v[24:25], s[4:5], v7, s22, 0
	v_addc_co_u32_e32 v28, vcc, v32, v29, vcc
	v_addc_co_u32_e32 v25, vcc, 0, v25, vcc
	v_add_co_u32_e32 v24, vcc, v28, v24
	v_addc_co_u32_e32 v29, vcc, 0, v25, vcc
	v_mad_u64_u32 v[24:25], s[4:5], v24, s19, 0
	v_mov_b32_e32 v28, v25
	v_mad_u64_u32 v[28:29], s[4:5], v29, s19, v[28:29]
	v_sub_co_u32_e32 v6, vcc, v6, v24
	v_subb_co_u32_e32 v7, vcc, v7, v28, vcc
	v_subrev_co_u32_e32 v24, vcc, s19, v6
	v_subbrev_co_u32_e32 v25, vcc, 0, v7, vcc
	v_subrev_co_u32_e32 v28, vcc, s19, v24
	v_subbrev_co_u32_e32 v29, vcc, 0, v25, vcc
	v_cmp_lt_u32_e32 vcc, s20, v24
	v_cndmask_b32_e64 v30, 0, -1, vcc
	v_cmp_eq_u32_e32 vcc, 0, v25
	v_cndmask_b32_e32 v30, -1, v30, vcc
	v_cmp_ne_u32_e32 vcc, 0, v30
	v_cmp_lt_u32_e64 s[4:5], s20, v6
	v_cndmask_b32_e32 v25, v25, v29, vcc
	v_cndmask_b32_e64 v29, 0, -1, s[4:5]
	v_cmp_eq_u32_e64 s[4:5], 0, v7
	v_cndmask_b32_e64 v29, -1, v29, s[4:5]
	v_cmp_ne_u32_e64 s[4:5], 0, v29
	v_cndmask_b32_e32 v24, v24, v28, vcc
	v_cndmask_b32_e64 v7, v7, v25, s[4:5]
	v_cndmask_b32_e64 v6, v6, v24, s[4:5]
	s_branch .LBB29_386
.LBB29_389:
	s_or_b64 exec, exec, s[10:11]
	s_movk_i32 s4, 0x401
	s_add_u32 s4, 0x402, s4
	v_mov_b32_e32 v5, 0xfffff800
	s_addc_u32 s5, 0, 0
	v_add_co_u32_e32 v5, vcc, s4, v5
	s_cmp_lg_u64 vcc, 0
	v_readfirstlane_b32 s10, v5
	s_addc_u32 s4, s5, 1
	s_mul_hi_u32 s11, s10, 0x80000001
	s_mul_i32 s5, s4, 0x80000001
	s_sub_i32 s11, s11, s10
	s_add_i32 s11, s11, s5
	s_mul_i32 s15, s10, 0x80000001
	s_mul_hi_u32 s5, s10, s11
	s_mul_i32 s14, s10, s11
	s_mul_hi_u32 s10, s10, s15
	s_add_u32 s10, s10, s14
	s_addc_u32 s5, 0, s5
	s_mul_hi_u32 s16, s4, s15
	s_mul_i32 s15, s4, s15
	s_add_u32 s10, s10, s15
	s_mul_hi_u32 s14, s4, s11
	s_addc_u32 s5, s5, s16
	s_addc_u32 s10, s14, 0
	s_mul_i32 s11, s4, s11
	s_add_u32 s5, s5, s11
	s_addc_u32 s10, 0, s10
	v_add_co_u32_e32 v5, vcc, s5, v5
	s_cmp_lg_u64 vcc, 0
	s_addc_u32 s10, s4, s10
	v_mad_u64_u32 v[6:7], s[4:5], v8, s10, 0
	v_mul_hi_u32 v23, v8, v5
	v_add_co_u32_e32 v23, vcc, v23, v6
	v_addc_co_u32_e32 v26, vcc, 0, v7, vcc
	v_mad_u64_u32 v[24:25], s[4:5], v9, v5, 0
	v_add_co_u32_e32 v5, vcc, v23, v24
	v_mad_u64_u32 v[6:7], s[4:5], v9, s10, 0
	v_addc_co_u32_e32 v5, vcc, v26, v25, vcc
	v_addc_co_u32_e32 v7, vcc, 0, v7, vcc
	v_add_co_u32_e32 v5, vcc, v5, v6
	s_brev_b32 s10, -2
	v_addc_co_u32_e32 v23, vcc, 0, v7, vcc
	v_mad_u64_u32 v[6:7], s[4:5], v5, s10, 0
	v_mov_b32_e32 v24, v7
	v_mad_u64_u32 v[24:25], s[4:5], v23, s10, v[24:25]
	v_sub_co_u32_e32 v5, vcc, v8, v6
	v_subb_co_u32_e32 v6, vcc, v9, v24, vcc
	v_subrev_co_u32_e32 v7, vcc, 0x7fffffff, v5
	v_subbrev_co_u32_e32 v8, vcc, 0, v6, vcc
	s_mov_b32 s4, 0x7ffffffe
	v_cmp_lt_u32_e32 vcc, s4, v7
	v_cndmask_b32_e64 v9, 0, -1, vcc
	v_cmp_eq_u32_e32 vcc, 0, v8
	v_cndmask_b32_e32 v8, -1, v9, vcc
	v_add_u32_e32 v9, 0x80000001, v7
	v_cmp_ne_u32_e32 vcc, 0, v8
	v_cndmask_b32_e32 v7, v7, v9, vcc
	v_cmp_lt_u32_e32 vcc, s4, v5
	v_cndmask_b32_e64 v8, 0, -1, vcc
	v_cmp_eq_u32_e32 vcc, 0, v6
	v_cndmask_b32_e32 v6, -1, v8, vcc
	v_cmp_ne_u32_e32 vcc, 0, v6
	v_cndmask_b32_e32 v7, v5, v7, vcc
.LBB29_390:
	s_or_b64 exec, exec, s[8:9]
	s_movk_i32 s8, 0x1388
	v_mov_b32_e32 v23, 0
	s_mov_b32 s9, 0xbc8f1391
	s_mov_b32 s10, 0xbc8f
	s_brev_b32 s11, 12
	s_mov_b32 s14, 0xf800000
	v_mov_b32_e32 v5, 0x260
.LBB29_391:                             ; =>This Inner Loop Header: Depth=1
	v_mul_hi_u32 v6, v7, s9
	v_lshrrev_b32_e32 v6, 15, v6
	v_mul_u32_u24_e32 v9, 0xadc8, v6
	v_sub_u32_e32 v7, v7, v9
	v_mul_u32_u24_e32 v6, 0xd47, v6
	v_mul_lo_u32 v7, v7, s10
	v_xor_b32_e32 v9, 0x7fffffff, v6
	v_sub_u32_e32 v24, 0, v6
	v_cmp_lt_u32_e32 vcc, v7, v6
	v_cndmask_b32_e32 v6, v24, v9, vcc
	v_add_u32_e32 v6, v6, v7
	v_mul_hi_u32 v9, v6, s9
	v_lshrrev_b32_e32 v9, 15, v9
	v_mul_u32_u24_e32 v24, 0xadc8, v9
	v_add_u32_e32 v7, -1, v6
	v_sub_u32_e32 v6, v6, v24
	v_mul_u32_u24_e32 v9, 0xd47, v9
	v_mul_lo_u32 v6, v6, s10
	v_xor_b32_e32 v24, 0x7fffffff, v9
	v_sub_u32_e32 v25, 0, v9
	v_cmp_lt_u32_e32 vcc, v6, v9
	v_cndmask_b32_e32 v9, v25, v24, vcc
	v_add_u32_e32 v6, v9, v6
	v_mul_hi_u32 v24, v6, s9
	v_add_u32_e32 v9, -1, v6
	v_lshrrev_b32_e32 v24, 15, v24
	v_cvt_f32_u32_e32 v9, v9
	v_mul_u32_u24_e32 v25, 0xadc8, v24
	v_cvt_f32_u32_e32 v7, v7
	v_sub_u32_e32 v6, v6, v25
	v_mul_u32_u24_e32 v24, 0xd47, v24
	v_mul_lo_u32 v6, v6, s10
	v_xor_b32_e32 v25, 0x7fffffff, v24
	v_sub_u32_e32 v26, 0, v24
	v_cmp_lt_u32_e32 vcc, v6, v24
	v_fma_f32 v9, v9, s11, 0
	v_cndmask_b32_e32 v24, v26, v25, vcc
	v_fma_f32 v7, v7, s11, 0
	v_mul_f32_e32 v9, v9, v9
	v_add_u32_e32 v6, v24, v6
	v_fmac_f32_e32 v9, v7, v7
	v_mul_hi_u32 v24, v6, s9
	v_add_u32_e32 v7, -1, v6
	v_mul_f32_e32 v25, 0x4f800000, v9
	v_lshrrev_b32_e32 v24, 15, v24
	v_cmp_gt_f32_e32 vcc, s14, v9
	v_cvt_f32_u32_e32 v7, v7
	v_cndmask_b32_e32 v9, v9, v25, vcc
	v_mul_u32_u24_e32 v25, 0xadc8, v24
	v_sqrt_f32_e32 v26, v9
	v_sub_u32_e32 v6, v6, v25
	v_mul_u32_u24_e32 v24, 0xd47, v24
	v_mul_lo_u32 v6, v6, s10
	v_xor_b32_e32 v25, 0x7fffffff, v24
	v_sub_u32_e32 v27, 0, v24
	v_cmp_lt_u32_e64 s[4:5], v6, v24
	v_fma_f32 v28, v7, s11, 0
	v_cndmask_b32_e64 v7, v27, v25, s[4:5]
	v_add_u32_e32 v7, v7, v6
	v_add_u32_e32 v6, -1, v26
	v_add_u32_e32 v24, 1, v26
	v_add_u32_e32 v25, -1, v7
	v_fma_f32 v27, -v6, v26, v9
	v_fma_f32 v29, -v24, v26, v9
	v_cvt_f32_u32_e32 v25, v25
	v_cmp_ge_f32_e64 s[4:5], 0, v27
	v_cndmask_b32_e64 v6, v26, v6, s[4:5]
	v_cmp_lt_f32_e64 s[4:5], 0, v29
	v_cndmask_b32_e64 v6, v6, v24, s[4:5]
	v_mul_f32_e32 v24, 0x37800000, v6
	v_cndmask_b32_e32 v6, v6, v24, vcc
	v_fma_f32 v24, v25, s11, 0
	v_cmp_class_f32_e32 vcc, v9, v5
	v_cndmask_b32_e32 v6, v6, v9, vcc
	v_mul_f32_e32 v9, v24, v24
	v_add_f32_e32 v8, 1.0, v23
	v_cmp_nge_f32_e32 vcc, 1.0, v6
	v_fmac_f32_e32 v9, v28, v28
	v_cndmask_b32_e32 v6, v8, v23, vcc
	v_mul_f32_e32 v8, 0x4f800000, v9
	v_cmp_gt_f32_e32 vcc, s14, v9
	v_cndmask_b32_e32 v8, v9, v8, vcc
	v_sqrt_f32_e32 v9, v8
	s_add_i32 s8, s8, -2
	v_add_f32_e32 v23, 1.0, v6
	s_cmp_lg_u32 s8, 0
	v_add_u32_e32 v24, -1, v9
	v_add_u32_e32 v25, 1, v9
	v_fma_f32 v26, -v24, v9, v8
	v_fma_f32 v27, -v25, v9, v8
	v_cmp_ge_f32_e64 s[4:5], 0, v26
	v_cndmask_b32_e64 v9, v9, v24, s[4:5]
	v_cmp_lt_f32_e64 s[4:5], 0, v27
	v_cndmask_b32_e64 v9, v9, v25, s[4:5]
	v_mul_f32_e32 v24, 0x37800000, v9
	v_cndmask_b32_e32 v9, v9, v24, vcc
	v_cmp_class_f32_e32 vcc, v8, v5
	v_cndmask_b32_e32 v8, v9, v8, vcc
	v_cmp_nge_f32_e32 vcc, 1.0, v8
	v_cndmask_b32_e32 v23, v23, v6, vcc
	s_cbranch_scc1 .LBB29_391
; %bb.392:
	v_add_u32_e32 v6, 0x753000, v4
	v_cmp_ne_u32_e32 vcc, 0, v6
	v_mov_b32_e32 v7, 1
	s_and_saveexec_b64 s[8:9], vcc
	s_cbranch_execz .LBB29_406
; %bb.393:
	v_mov_b32_e32 v8, 1
	v_mov_b32_e32 v7, 0
	s_mov_b64 s[14:15], 0xbc8f
	s_mov_b64 s[10:11], 0
	v_mov_b32_e32 v9, 0
	s_brev_b32 s19, -2
	s_mov_b32 s20, 0x7ffffffe
	v_mov_b32_e32 v5, 0xfffff800
	s_movk_i32 s21, 0x401
	s_branch .LBB29_395
.LBB29_394:                             ;   in Loop: Header=BB29_395 Depth=1
	s_or_b64 exec, exec, s[16:17]
	s_mul_i32 s4, s14, s15
	s_mul_hi_u32 s5, s14, s14
	s_add_i32 s5, s5, s4
	s_add_i32 s4, s5, s4
	s_mul_i32 s5, s14, s14
	s_add_u32 s14, 0x402, s21
	s_addc_u32 s15, 0, 0
	v_add_co_u32_e32 v26, vcc, s14, v5
	s_cmp_lg_u64 vcc, 0
	v_readfirstlane_b32 s16, v26
	s_addc_u32 s14, s15, 1
	s_mul_hi_u32 s17, s16, 0x80000001
	s_mul_i32 s15, s14, 0x80000001
	s_sub_i32 s17, s17, s16
	s_add_i32 s17, s17, s15
	s_mul_i32 s23, s16, 0x80000001
	s_mul_hi_u32 s15, s16, s17
	s_mul_i32 s22, s16, s17
	s_mul_hi_u32 s16, s16, s23
	s_add_u32 s16, s16, s22
	s_addc_u32 s15, 0, s15
	s_mul_hi_u32 s24, s14, s23
	s_mul_i32 s23, s14, s23
	s_add_u32 s16, s16, s23
	s_mul_hi_u32 s22, s14, s17
	s_addc_u32 s15, s15, s24
	s_addc_u32 s16, s22, 0
	s_mul_i32 s17, s14, s17
	s_add_u32 s15, s15, s17
	s_addc_u32 s16, 0, s16
	v_add_co_u32_e32 v26, vcc, s15, v26
	s_cmp_lg_u64 vcc, 0
	s_addc_u32 s14, s14, s16
	v_readfirstlane_b32 s17, v26
	s_mul_i32 s16, s5, s14
	s_mul_hi_u32 s22, s5, s17
	s_mul_hi_u32 s15, s5, s14
	s_add_u32 s16, s22, s16
	s_addc_u32 s15, 0, s15
	s_mul_hi_u32 s23, s4, s17
	s_mul_i32 s17, s4, s17
	s_add_u32 s16, s16, s17
	s_mul_hi_u32 s22, s4, s14
	s_addc_u32 s15, s15, s23
	s_addc_u32 s16, s22, 0
	s_mul_i32 s14, s4, s14
	s_add_u32 s14, s15, s14
	s_addc_u32 s15, 0, s16
	s_mul_hi_u32 s16, s14, 0x7fffffff
	s_mul_i32 s14, s14, 0x7fffffff
	s_mul_i32 s15, s15, 0x7fffffff
	v_mov_b32_e32 v26, s14
	s_add_i32 s16, s16, s15
	v_sub_co_u32_e32 v26, vcc, s5, v26
	s_cmp_lg_u64 vcc, 0
	s_subb_u32 s4, s4, s16
	v_subrev_co_u32_e32 v27, vcc, s19, v26
	s_cmp_lg_u64 vcc, 0
	s_subb_u32 s5, s4, 0
	v_subrev_co_u32_e32 v28, vcc, s19, v27
	s_cmp_lg_u64 vcc, 0
	s_subb_u32 s14, s5, 0
	v_readfirstlane_b32 s15, v27
	s_cmp_gt_u32 s15, 0x7ffffffe
	s_cselect_b32 s16, -1, 0
	s_cmp_eq_u32 s5, 0
	s_cselect_b32 s16, s16, -1
	s_cmp_lg_u32 s16, 0
	s_cselect_b32 s5, s14, s5
	v_readfirstlane_b32 s14, v28
	v_readfirstlane_b32 s16, v26
	s_cselect_b32 s14, s14, s15
	s_cmp_gt_u32 s16, 0x7ffffffe
	s_cselect_b32 s15, -1, 0
	s_cmp_eq_u32 s4, 0
	s_cselect_b32 s15, s15, -1
	v_lshrrev_b64 v[24:25], 1, v[6:7]
	s_cmp_lg_u32 s15, 0
	v_cmp_gt_u64_e32 vcc, 2, v[6:7]
	s_cselect_b32 s15, s5, s4
	s_cselect_b32 s14, s14, s16
	s_or_b64 s[10:11], vcc, s[10:11]
	v_pk_mov_b32 v[6:7], v[24:25], v[24:25] op_sel:[0,1]
	s_andn2_b64 exec, exec, s[10:11]
	s_cbranch_execz .LBB29_405
.LBB29_395:                             ; =>This Inner Loop Header: Depth=1
	v_and_b32_e32 v24, 1, v6
	v_cmp_eq_u32_e32 vcc, 1, v24
	s_and_saveexec_b64 s[16:17], vcc
	s_cbranch_execz .LBB29_394
; %bb.396:                              ;   in Loop: Header=BB29_395 Depth=1
	v_mul_lo_u32 v24, s15, v8
	v_mul_lo_u32 v25, s14, v9
	v_mad_u64_u32 v[8:9], s[4:5], s14, v8, 0
	s_add_u32 s4, 0x402, s21
	v_add3_u32 v9, v9, v25, v24
	s_addc_u32 s5, 0, 0
	v_add_co_u32_e32 v24, vcc, s4, v5
	s_cmp_lg_u64 vcc, 0
	v_readfirstlane_b32 s22, v24
	s_addc_u32 s4, s5, 1
	s_mul_hi_u32 s23, s22, 0x80000001
	s_mul_i32 s5, s4, 0x80000001
	s_sub_i32 s23, s23, s22
	s_add_i32 s23, s23, s5
	s_mul_i32 s25, s22, 0x80000001
	s_mul_hi_u32 s5, s22, s23
	s_mul_i32 s24, s22, s23
	s_mul_hi_u32 s22, s22, s25
	s_add_u32 s22, s22, s24
	s_addc_u32 s5, 0, s5
	s_mul_hi_u32 s26, s4, s25
	s_mul_i32 s25, s4, s25
	s_add_u32 s22, s22, s25
	s_mul_hi_u32 s24, s4, s23
	s_addc_u32 s5, s5, s26
	s_addc_u32 s22, s24, 0
	s_mul_i32 s23, s4, s23
	s_add_u32 s5, s5, s23
	s_addc_u32 s22, 0, s22
	v_add_co_u32_e32 v26, vcc, s5, v24
	s_cmp_lg_u64 vcc, 0
	s_addc_u32 s22, s4, s22
	v_mad_u64_u32 v[24:25], s[4:5], v8, s22, 0
	v_mul_hi_u32 v27, v8, v26
	v_add_co_u32_e32 v28, vcc, v27, v24
	v_addc_co_u32_e32 v29, vcc, 0, v25, vcc
	v_mad_u64_u32 v[26:27], s[4:5], v9, v26, 0
	v_add_co_u32_e32 v26, vcc, v28, v26
	v_mad_u64_u32 v[24:25], s[4:5], v9, s22, 0
	v_addc_co_u32_e32 v26, vcc, v29, v27, vcc
	v_addc_co_u32_e32 v25, vcc, 0, v25, vcc
	v_add_co_u32_e32 v24, vcc, v26, v24
	v_addc_co_u32_e32 v27, vcc, 0, v25, vcc
	v_mad_u64_u32 v[24:25], s[4:5], v24, s19, 0
	v_mov_b32_e32 v26, v25
	v_mad_u64_u32 v[26:27], s[4:5], v27, s19, v[26:27]
	v_sub_co_u32_e32 v8, vcc, v8, v24
	v_subb_co_u32_e32 v9, vcc, v9, v26, vcc
	v_subrev_co_u32_e32 v24, vcc, s19, v8
	v_subbrev_co_u32_e32 v25, vcc, 0, v9, vcc
	v_subrev_co_u32_e32 v26, vcc, s19, v24
	v_subbrev_co_u32_e32 v27, vcc, 0, v25, vcc
	v_cmp_lt_u32_e32 vcc, s20, v24
	v_cndmask_b32_e64 v28, 0, -1, vcc
	v_cmp_eq_u32_e32 vcc, 0, v25
	v_cndmask_b32_e32 v28, -1, v28, vcc
	v_cmp_ne_u32_e32 vcc, 0, v28
	v_cmp_lt_u32_e64 s[4:5], s20, v8
	v_cndmask_b32_e32 v25, v25, v27, vcc
	v_cndmask_b32_e64 v27, 0, -1, s[4:5]
	v_cmp_eq_u32_e64 s[4:5], 0, v9
	v_cndmask_b32_e64 v27, -1, v27, s[4:5]
	v_cmp_ne_u32_e64 s[4:5], 0, v27
	v_cndmask_b32_e32 v24, v24, v26, vcc
	v_cndmask_b32_e64 v9, v9, v25, s[4:5]
	v_cndmask_b32_e64 v8, v8, v24, s[4:5]
	s_branch .LBB29_394
.LBB29_397:
	s_or_b64 exec, exec, s[10:11]
	s_movk_i32 s4, 0x401
	s_add_u32 s4, 0x402, s4
	v_mov_b32_e32 v3, 0xfffff800
	s_addc_u32 s5, 0, 0
	v_add_co_u32_e32 v3, vcc, s4, v3
	s_cmp_lg_u64 vcc, 0
	v_readfirstlane_b32 s10, v3
	s_addc_u32 s4, s5, 1
	s_mul_hi_u32 s11, s10, 0x80000001
	s_mul_i32 s5, s4, 0x80000001
	s_sub_i32 s11, s11, s10
	s_add_i32 s11, s11, s5
	s_mul_i32 s15, s10, 0x80000001
	s_mul_hi_u32 s5, s10, s11
	s_mul_i32 s14, s10, s11
	s_mul_hi_u32 s10, s10, s15
	s_add_u32 s10, s10, s14
	s_addc_u32 s5, 0, s5
	s_mul_hi_u32 s16, s4, s15
	s_mul_i32 s15, s4, s15
	s_add_u32 s10, s10, s15
	s_mul_hi_u32 s14, s4, s11
	s_addc_u32 s5, s5, s16
	s_addc_u32 s10, s14, 0
	s_mul_i32 s11, s4, s11
	s_add_u32 s5, s5, s11
	s_addc_u32 s10, 0, s10
	v_add_co_u32_e32 v3, vcc, s5, v3
	s_cmp_lg_u64 vcc, 0
	s_addc_u32 s10, s4, s10
	v_mad_u64_u32 v[4:5], s[4:5], v6, s10, 0
	v_mul_hi_u32 v24, v6, v3
	v_add_co_u32_e32 v28, vcc, v24, v4
	v_addc_co_u32_e32 v29, vcc, 0, v5, vcc
	v_mad_u64_u32 v[24:25], s[4:5], v7, v3, 0
	v_add_co_u32_e32 v3, vcc, v28, v24
	v_mad_u64_u32 v[4:5], s[4:5], v7, s10, 0
	v_addc_co_u32_e32 v3, vcc, v29, v25, vcc
	v_addc_co_u32_e32 v5, vcc, 0, v5, vcc
	v_add_co_u32_e32 v3, vcc, v3, v4
	s_brev_b32 s10, -2
	v_addc_co_u32_e32 v25, vcc, 0, v5, vcc
	v_mad_u64_u32 v[4:5], s[4:5], v3, s10, 0
	v_mov_b32_e32 v24, v5
	v_mad_u64_u32 v[24:25], s[4:5], v25, s10, v[24:25]
	v_sub_co_u32_e32 v3, vcc, v6, v4
	v_subb_co_u32_e32 v4, vcc, v7, v24, vcc
	v_subrev_co_u32_e32 v5, vcc, 0x7fffffff, v3
	v_subbrev_co_u32_e32 v6, vcc, 0, v4, vcc
	s_mov_b32 s4, 0x7ffffffe
	v_cmp_lt_u32_e32 vcc, s4, v5
	v_cndmask_b32_e64 v7, 0, -1, vcc
	v_cmp_eq_u32_e32 vcc, 0, v6
	v_cndmask_b32_e32 v6, -1, v7, vcc
	v_add_u32_e32 v7, 0x80000001, v5
	v_cmp_ne_u32_e32 vcc, 0, v6
	v_cndmask_b32_e32 v5, v5, v7, vcc
	v_cmp_lt_u32_e32 vcc, s4, v3
	v_cndmask_b32_e64 v6, 0, -1, vcc
	v_cmp_eq_u32_e32 vcc, 0, v4
	v_cndmask_b32_e32 v4, -1, v6, vcc
	v_cmp_ne_u32_e32 vcc, 0, v4
	v_cndmask_b32_e32 v5, v3, v5, vcc
.LBB29_398:
	s_or_b64 exec, exec, s[8:9]
	s_movk_i32 s8, 0x1388
	v_mov_b32_e32 v24, 0
	s_mov_b32 s9, 0xbc8f1391
	s_mov_b32 s10, 0xbc8f
	s_brev_b32 s11, 12
	s_mov_b32 s14, 0xf800000
	v_mov_b32_e32 v3, 0x260
.LBB29_399:                             ; =>This Inner Loop Header: Depth=1
	v_mul_hi_u32 v4, v5, s9
	v_lshrrev_b32_e32 v4, 15, v4
	v_mul_u32_u24_e32 v7, 0xadc8, v4
	v_sub_u32_e32 v5, v5, v7
	v_mul_u32_u24_e32 v4, 0xd47, v4
	v_mul_lo_u32 v5, v5, s10
	v_xor_b32_e32 v7, 0x7fffffff, v4
	v_sub_u32_e32 v25, 0, v4
	v_cmp_lt_u32_e32 vcc, v5, v4
	v_cndmask_b32_e32 v4, v25, v7, vcc
	v_add_u32_e32 v4, v4, v5
	v_mul_hi_u32 v7, v4, s9
	v_lshrrev_b32_e32 v7, 15, v7
	v_mul_u32_u24_e32 v25, 0xadc8, v7
	v_add_u32_e32 v5, -1, v4
	v_sub_u32_e32 v4, v4, v25
	v_mul_u32_u24_e32 v7, 0xd47, v7
	v_mul_lo_u32 v4, v4, s10
	v_xor_b32_e32 v25, 0x7fffffff, v7
	v_sub_u32_e32 v28, 0, v7
	v_cmp_lt_u32_e32 vcc, v4, v7
	v_cndmask_b32_e32 v7, v28, v25, vcc
	v_add_u32_e32 v4, v7, v4
	v_mul_hi_u32 v25, v4, s9
	v_add_u32_e32 v7, -1, v4
	v_lshrrev_b32_e32 v25, 15, v25
	v_cvt_f32_u32_e32 v7, v7
	v_mul_u32_u24_e32 v28, 0xadc8, v25
	v_cvt_f32_u32_e32 v5, v5
	v_sub_u32_e32 v4, v4, v28
	v_mul_u32_u24_e32 v25, 0xd47, v25
	v_mul_lo_u32 v4, v4, s10
	v_xor_b32_e32 v28, 0x7fffffff, v25
	v_sub_u32_e32 v29, 0, v25
	v_cmp_lt_u32_e32 vcc, v4, v25
	v_fma_f32 v7, v7, s11, 0
	v_cndmask_b32_e32 v25, v29, v28, vcc
	v_fma_f32 v5, v5, s11, 0
	v_mul_f32_e32 v7, v7, v7
	v_add_u32_e32 v4, v25, v4
	v_fmac_f32_e32 v7, v5, v5
	v_mul_hi_u32 v25, v4, s9
	v_add_u32_e32 v5, -1, v4
	v_mul_f32_e32 v28, 0x4f800000, v7
	v_lshrrev_b32_e32 v25, 15, v25
	v_cmp_gt_f32_e32 vcc, s14, v7
	v_cvt_f32_u32_e32 v5, v5
	v_cndmask_b32_e32 v7, v7, v28, vcc
	v_mul_u32_u24_e32 v28, 0xadc8, v25
	v_sqrt_f32_e32 v29, v7
	v_sub_u32_e32 v4, v4, v28
	v_mul_u32_u24_e32 v25, 0xd47, v25
	v_mul_lo_u32 v4, v4, s10
	v_xor_b32_e32 v28, 0x7fffffff, v25
	v_sub_u32_e32 v30, 0, v25
	v_cmp_lt_u32_e64 s[4:5], v4, v25
	v_fma_f32 v32, v5, s11, 0
	v_cndmask_b32_e64 v5, v30, v28, s[4:5]
	v_add_u32_e32 v5, v5, v4
	v_add_u32_e32 v4, -1, v29
	v_add_u32_e32 v25, 1, v29
	v_add_u32_e32 v28, -1, v5
	v_fma_f32 v30, -v4, v29, v7
	v_fma_f32 v33, -v25, v29, v7
	v_cvt_f32_u32_e32 v28, v28
	v_cmp_ge_f32_e64 s[4:5], 0, v30
	v_cndmask_b32_e64 v4, v29, v4, s[4:5]
	v_cmp_lt_f32_e64 s[4:5], 0, v33
	v_cndmask_b32_e64 v4, v4, v25, s[4:5]
	v_mul_f32_e32 v25, 0x37800000, v4
	v_cndmask_b32_e32 v4, v4, v25, vcc
	v_fma_f32 v25, v28, s11, 0
	v_cmp_class_f32_e32 vcc, v7, v3
	v_cndmask_b32_e32 v4, v4, v7, vcc
	v_mul_f32_e32 v7, v25, v25
	v_add_f32_e32 v6, 1.0, v24
	v_cmp_nge_f32_e32 vcc, 1.0, v4
	v_fmac_f32_e32 v7, v32, v32
	v_cndmask_b32_e32 v4, v6, v24, vcc
	v_mul_f32_e32 v6, 0x4f800000, v7
	v_cmp_gt_f32_e32 vcc, s14, v7
	v_cndmask_b32_e32 v6, v7, v6, vcc
	v_sqrt_f32_e32 v7, v6
	s_add_i32 s8, s8, -2
	v_add_f32_e32 v24, 1.0, v4
	s_cmp_lg_u32 s8, 0
	v_add_u32_e32 v25, -1, v7
	v_add_u32_e32 v28, 1, v7
	v_fma_f32 v29, -v25, v7, v6
	v_fma_f32 v30, -v28, v7, v6
	v_cmp_ge_f32_e64 s[4:5], 0, v29
	v_cndmask_b32_e64 v7, v7, v25, s[4:5]
	v_cmp_lt_f32_e64 s[4:5], 0, v30
	v_cndmask_b32_e64 v7, v7, v28, s[4:5]
	v_mul_f32_e32 v25, 0x37800000, v7
	v_cndmask_b32_e32 v7, v7, v25, vcc
	v_cmp_class_f32_e32 vcc, v6, v3
	v_cndmask_b32_e32 v6, v7, v6, vcc
	v_cmp_nge_f32_e32 vcc, 1.0, v6
	v_cndmask_b32_e32 v24, v24, v4, vcc
	s_cbranch_scc1 .LBB29_399
; %bb.400:
	v_add_u32_e32 v4, 0x7ef400, v2
	v_cmp_ne_u32_e32 vcc, 0, v4
	v_mov_b32_e32 v5, 1
	s_and_saveexec_b64 s[8:9], vcc
	s_cbranch_execz .LBB29_414
; %bb.401:
	v_mov_b32_e32 v6, 1
	v_mov_b32_e32 v5, 0
	s_mov_b64 s[14:15], 0xbc8f
	s_mov_b64 s[10:11], 0
	v_mov_b32_e32 v7, 0
	s_brev_b32 s19, -2
	s_mov_b32 s20, 0x7ffffffe
	v_mov_b32_e32 v3, 0xfffff800
	s_movk_i32 s21, 0x401
	s_branch .LBB29_403
.LBB29_402:                             ;   in Loop: Header=BB29_403 Depth=1
	s_or_b64 exec, exec, s[16:17]
	s_mul_i32 s4, s14, s15
	s_mul_hi_u32 s5, s14, s14
	s_add_i32 s5, s5, s4
	s_add_i32 s4, s5, s4
	s_mul_i32 s5, s14, s14
	s_add_u32 s14, 0x402, s21
	s_addc_u32 s15, 0, 0
	v_add_co_u32_e32 v25, vcc, s14, v3
	s_cmp_lg_u64 vcc, 0
	v_readfirstlane_b32 s16, v25
	s_addc_u32 s14, s15, 1
	s_mul_hi_u32 s17, s16, 0x80000001
	s_mul_i32 s15, s14, 0x80000001
	s_sub_i32 s17, s17, s16
	s_add_i32 s17, s17, s15
	s_mul_i32 s23, s16, 0x80000001
	s_mul_hi_u32 s15, s16, s17
	s_mul_i32 s22, s16, s17
	s_mul_hi_u32 s16, s16, s23
	s_add_u32 s16, s16, s22
	s_addc_u32 s15, 0, s15
	s_mul_hi_u32 s24, s14, s23
	s_mul_i32 s23, s14, s23
	s_add_u32 s16, s16, s23
	s_mul_hi_u32 s22, s14, s17
	s_addc_u32 s15, s15, s24
	s_addc_u32 s16, s22, 0
	s_mul_i32 s17, s14, s17
	s_add_u32 s15, s15, s17
	s_addc_u32 s16, 0, s16
	v_add_co_u32_e32 v25, vcc, s15, v25
	s_cmp_lg_u64 vcc, 0
	s_addc_u32 s14, s14, s16
	v_readfirstlane_b32 s17, v25
	s_mul_i32 s16, s5, s14
	s_mul_hi_u32 s22, s5, s17
	s_mul_hi_u32 s15, s5, s14
	s_add_u32 s16, s22, s16
	s_addc_u32 s15, 0, s15
	s_mul_hi_u32 s23, s4, s17
	s_mul_i32 s17, s4, s17
	s_add_u32 s16, s16, s17
	s_mul_hi_u32 s22, s4, s14
	s_addc_u32 s15, s15, s23
	s_addc_u32 s16, s22, 0
	s_mul_i32 s14, s4, s14
	s_add_u32 s14, s15, s14
	s_addc_u32 s15, 0, s16
	s_mul_hi_u32 s16, s14, 0x7fffffff
	s_mul_i32 s14, s14, 0x7fffffff
	s_mul_i32 s15, s15, 0x7fffffff
	v_mov_b32_e32 v25, s14
	s_add_i32 s16, s16, s15
	v_sub_co_u32_e32 v25, vcc, s5, v25
	s_cmp_lg_u64 vcc, 0
	s_subb_u32 s4, s4, s16
	v_subrev_co_u32_e32 v30, vcc, s19, v25
	s_cmp_lg_u64 vcc, 0
	s_subb_u32 s5, s4, 0
	v_subrev_co_u32_e32 v32, vcc, s19, v30
	s_cmp_lg_u64 vcc, 0
	s_subb_u32 s14, s5, 0
	v_readfirstlane_b32 s15, v30
	s_cmp_gt_u32 s15, 0x7ffffffe
	s_cselect_b32 s16, -1, 0
	s_cmp_eq_u32 s5, 0
	s_cselect_b32 s16, s16, -1
	s_cmp_lg_u32 s16, 0
	s_cselect_b32 s5, s14, s5
	v_readfirstlane_b32 s14, v32
	v_readfirstlane_b32 s16, v25
	s_cselect_b32 s14, s14, s15
	s_cmp_gt_u32 s16, 0x7ffffffe
	s_cselect_b32 s15, -1, 0
	s_cmp_eq_u32 s4, 0
	s_cselect_b32 s15, s15, -1
	v_lshrrev_b64 v[28:29], 1, v[4:5]
	s_cmp_lg_u32 s15, 0
	v_cmp_gt_u64_e32 vcc, 2, v[4:5]
	s_cselect_b32 s15, s5, s4
	s_cselect_b32 s14, s14, s16
	s_or_b64 s[10:11], vcc, s[10:11]
	v_pk_mov_b32 v[4:5], v[28:29], v[28:29] op_sel:[0,1]
	s_andn2_b64 exec, exec, s[10:11]
	s_cbranch_execz .LBB29_413
.LBB29_403:                             ; =>This Inner Loop Header: Depth=1
	v_and_b32_e32 v25, 1, v4
	v_cmp_eq_u32_e32 vcc, 1, v25
	s_and_saveexec_b64 s[16:17], vcc
	s_cbranch_execz .LBB29_402
; %bb.404:                              ;   in Loop: Header=BB29_403 Depth=1
	v_mul_lo_u32 v25, s15, v6
	v_mul_lo_u32 v28, s14, v7
	v_mad_u64_u32 v[6:7], s[4:5], s14, v6, 0
	s_add_u32 s4, 0x402, s21
	v_add3_u32 v7, v7, v28, v25
	s_addc_u32 s5, 0, 0
	v_add_co_u32_e32 v25, vcc, s4, v3
	s_cmp_lg_u64 vcc, 0
	v_readfirstlane_b32 s22, v25
	s_addc_u32 s4, s5, 1
	s_mul_hi_u32 s23, s22, 0x80000001
	s_mul_i32 s5, s4, 0x80000001
	s_sub_i32 s23, s23, s22
	s_add_i32 s23, s23, s5
	s_mul_i32 s25, s22, 0x80000001
	s_mul_hi_u32 s5, s22, s23
	s_mul_i32 s24, s22, s23
	s_mul_hi_u32 s22, s22, s25
	s_add_u32 s22, s22, s24
	s_addc_u32 s5, 0, s5
	s_mul_hi_u32 s26, s4, s25
	s_mul_i32 s25, s4, s25
	s_add_u32 s22, s22, s25
	s_mul_hi_u32 s24, s4, s23
	s_addc_u32 s5, s5, s26
	s_addc_u32 s22, s24, 0
	s_mul_i32 s23, s4, s23
	s_add_u32 s5, s5, s23
	s_addc_u32 s22, 0, s22
	v_add_co_u32_e32 v25, vcc, s5, v25
	s_cmp_lg_u64 vcc, 0
	s_addc_u32 s22, s4, s22
	v_mad_u64_u32 v[28:29], s[4:5], v6, s22, 0
	v_mul_hi_u32 v30, v6, v25
	v_add_co_u32_e32 v30, vcc, v30, v28
	v_addc_co_u32_e32 v34, vcc, 0, v29, vcc
	v_mad_u64_u32 v[32:33], s[4:5], v7, v25, 0
	v_add_co_u32_e32 v25, vcc, v30, v32
	v_mad_u64_u32 v[28:29], s[4:5], v7, s22, 0
	v_addc_co_u32_e32 v25, vcc, v34, v33, vcc
	v_addc_co_u32_e32 v29, vcc, 0, v29, vcc
	v_add_co_u32_e32 v25, vcc, v25, v28
	v_addc_co_u32_e32 v32, vcc, 0, v29, vcc
	v_mad_u64_u32 v[28:29], s[4:5], v25, s19, 0
	v_mov_b32_e32 v30, v29
	v_mad_u64_u32 v[32:33], s[4:5], v32, s19, v[30:31]
	v_sub_co_u32_e32 v6, vcc, v6, v28
	v_subb_co_u32_e32 v7, vcc, v7, v32, vcc
	v_subrev_co_u32_e32 v25, vcc, s19, v6
	v_subbrev_co_u32_e32 v28, vcc, 0, v7, vcc
	v_subrev_co_u32_e32 v29, vcc, s19, v25
	v_subbrev_co_u32_e32 v30, vcc, 0, v28, vcc
	v_cmp_lt_u32_e32 vcc, s20, v25
	v_cndmask_b32_e64 v32, 0, -1, vcc
	v_cmp_eq_u32_e32 vcc, 0, v28
	v_cndmask_b32_e32 v32, -1, v32, vcc
	v_cmp_ne_u32_e32 vcc, 0, v32
	v_cmp_lt_u32_e64 s[4:5], s20, v6
	v_cndmask_b32_e32 v28, v28, v30, vcc
	v_cndmask_b32_e64 v30, 0, -1, s[4:5]
	v_cmp_eq_u32_e64 s[4:5], 0, v7
	v_cndmask_b32_e64 v30, -1, v30, s[4:5]
	v_cmp_ne_u32_e64 s[4:5], 0, v30
	v_cndmask_b32_e32 v25, v25, v29, vcc
	v_cndmask_b32_e64 v7, v7, v28, s[4:5]
	v_cndmask_b32_e64 v6, v6, v25, s[4:5]
	s_branch .LBB29_402
.LBB29_405:
	s_or_b64 exec, exec, s[10:11]
	s_movk_i32 s4, 0x401
	s_add_u32 s4, 0x402, s4
	v_mov_b32_e32 v5, 0xfffff800
	s_addc_u32 s5, 0, 0
	v_add_co_u32_e32 v5, vcc, s4, v5
	s_cmp_lg_u64 vcc, 0
	v_readfirstlane_b32 s10, v5
	s_addc_u32 s4, s5, 1
	s_mul_hi_u32 s11, s10, 0x80000001
	s_mul_i32 s5, s4, 0x80000001
	s_sub_i32 s11, s11, s10
	s_add_i32 s11, s11, s5
	s_mul_i32 s15, s10, 0x80000001
	s_mul_hi_u32 s5, s10, s11
	s_mul_i32 s14, s10, s11
	s_mul_hi_u32 s10, s10, s15
	s_add_u32 s10, s10, s14
	s_addc_u32 s5, 0, s5
	s_mul_hi_u32 s16, s4, s15
	s_mul_i32 s15, s4, s15
	s_add_u32 s10, s10, s15
	s_mul_hi_u32 s14, s4, s11
	s_addc_u32 s5, s5, s16
	s_addc_u32 s10, s14, 0
	s_mul_i32 s11, s4, s11
	s_add_u32 s5, s5, s11
	s_addc_u32 s10, 0, s10
	v_add_co_u32_e32 v5, vcc, s5, v5
	s_cmp_lg_u64 vcc, 0
	s_addc_u32 s10, s4, s10
	v_mad_u64_u32 v[6:7], s[4:5], v8, s10, 0
	v_mul_hi_u32 v24, v8, v5
	v_add_co_u32_e32 v26, vcc, v24, v6
	v_addc_co_u32_e32 v27, vcc, 0, v7, vcc
	v_mad_u64_u32 v[24:25], s[4:5], v9, v5, 0
	v_add_co_u32_e32 v5, vcc, v26, v24
	v_mad_u64_u32 v[6:7], s[4:5], v9, s10, 0
	v_addc_co_u32_e32 v5, vcc, v27, v25, vcc
	v_addc_co_u32_e32 v7, vcc, 0, v7, vcc
	v_add_co_u32_e32 v5, vcc, v5, v6
	s_brev_b32 s10, -2
	v_addc_co_u32_e32 v25, vcc, 0, v7, vcc
	v_mad_u64_u32 v[6:7], s[4:5], v5, s10, 0
	v_mov_b32_e32 v24, v7
	v_mad_u64_u32 v[24:25], s[4:5], v25, s10, v[24:25]
	v_sub_co_u32_e32 v5, vcc, v8, v6
	v_subb_co_u32_e32 v6, vcc, v9, v24, vcc
	v_subrev_co_u32_e32 v7, vcc, 0x7fffffff, v5
	v_subbrev_co_u32_e32 v8, vcc, 0, v6, vcc
	s_mov_b32 s4, 0x7ffffffe
	v_cmp_lt_u32_e32 vcc, s4, v7
	v_cndmask_b32_e64 v9, 0, -1, vcc
	v_cmp_eq_u32_e32 vcc, 0, v8
	v_cndmask_b32_e32 v8, -1, v9, vcc
	v_add_u32_e32 v9, 0x80000001, v7
	v_cmp_ne_u32_e32 vcc, 0, v8
	v_cndmask_b32_e32 v7, v7, v9, vcc
	v_cmp_lt_u32_e32 vcc, s4, v5
	v_cndmask_b32_e64 v8, 0, -1, vcc
	v_cmp_eq_u32_e32 vcc, 0, v6
	v_cndmask_b32_e32 v6, -1, v8, vcc
	v_cmp_ne_u32_e32 vcc, 0, v6
	v_cndmask_b32_e32 v7, v5, v7, vcc
.LBB29_406:
	s_or_b64 exec, exec, s[8:9]
	s_movk_i32 s8, 0x1388
	v_mov_b32_e32 v24, 0
	s_mov_b32 s9, 0xbc8f1391
	s_mov_b32 s10, 0xbc8f
	s_brev_b32 s11, 12
	s_mov_b32 s14, 0xf800000
	v_mov_b32_e32 v5, 0x260
.LBB29_407:                             ; =>This Inner Loop Header: Depth=1
	v_mul_hi_u32 v6, v7, s9
	v_lshrrev_b32_e32 v6, 15, v6
	v_mul_u32_u24_e32 v9, 0xadc8, v6
	v_sub_u32_e32 v7, v7, v9
	v_mul_u32_u24_e32 v6, 0xd47, v6
	v_mul_lo_u32 v7, v7, s10
	v_xor_b32_e32 v9, 0x7fffffff, v6
	v_sub_u32_e32 v25, 0, v6
	v_cmp_lt_u32_e32 vcc, v7, v6
	v_cndmask_b32_e32 v6, v25, v9, vcc
	v_add_u32_e32 v6, v6, v7
	v_mul_hi_u32 v9, v6, s9
	v_lshrrev_b32_e32 v9, 15, v9
	v_mul_u32_u24_e32 v25, 0xadc8, v9
	v_add_u32_e32 v7, -1, v6
	v_sub_u32_e32 v6, v6, v25
	v_mul_u32_u24_e32 v9, 0xd47, v9
	v_mul_lo_u32 v6, v6, s10
	v_xor_b32_e32 v25, 0x7fffffff, v9
	v_sub_u32_e32 v26, 0, v9
	v_cmp_lt_u32_e32 vcc, v6, v9
	v_cndmask_b32_e32 v9, v26, v25, vcc
	v_add_u32_e32 v6, v9, v6
	v_mul_hi_u32 v25, v6, s9
	v_add_u32_e32 v9, -1, v6
	v_lshrrev_b32_e32 v25, 15, v25
	v_cvt_f32_u32_e32 v9, v9
	v_mul_u32_u24_e32 v26, 0xadc8, v25
	v_cvt_f32_u32_e32 v7, v7
	v_sub_u32_e32 v6, v6, v26
	v_mul_u32_u24_e32 v25, 0xd47, v25
	v_mul_lo_u32 v6, v6, s10
	v_xor_b32_e32 v26, 0x7fffffff, v25
	v_sub_u32_e32 v27, 0, v25
	v_cmp_lt_u32_e32 vcc, v6, v25
	v_fma_f32 v9, v9, s11, 0
	v_cndmask_b32_e32 v25, v27, v26, vcc
	v_fma_f32 v7, v7, s11, 0
	v_mul_f32_e32 v9, v9, v9
	v_add_u32_e32 v6, v25, v6
	v_fmac_f32_e32 v9, v7, v7
	v_mul_hi_u32 v25, v6, s9
	v_add_u32_e32 v7, -1, v6
	v_mul_f32_e32 v26, 0x4f800000, v9
	v_lshrrev_b32_e32 v25, 15, v25
	v_cmp_gt_f32_e32 vcc, s14, v9
	v_cvt_f32_u32_e32 v7, v7
	v_cndmask_b32_e32 v9, v9, v26, vcc
	v_mul_u32_u24_e32 v26, 0xadc8, v25
	v_sqrt_f32_e32 v27, v9
	v_sub_u32_e32 v6, v6, v26
	v_mul_u32_u24_e32 v25, 0xd47, v25
	v_mul_lo_u32 v6, v6, s10
	v_xor_b32_e32 v26, 0x7fffffff, v25
	v_sub_u32_e32 v28, 0, v25
	v_cmp_lt_u32_e64 s[4:5], v6, v25
	v_fma_f32 v29, v7, s11, 0
	v_cndmask_b32_e64 v7, v28, v26, s[4:5]
	v_add_u32_e32 v7, v7, v6
	v_add_u32_e32 v6, -1, v27
	v_add_u32_e32 v25, 1, v27
	v_add_u32_e32 v26, -1, v7
	v_fma_f32 v28, -v6, v27, v9
	v_fma_f32 v30, -v25, v27, v9
	v_cvt_f32_u32_e32 v26, v26
	v_cmp_ge_f32_e64 s[4:5], 0, v28
	v_cndmask_b32_e64 v6, v27, v6, s[4:5]
	v_cmp_lt_f32_e64 s[4:5], 0, v30
	v_cndmask_b32_e64 v6, v6, v25, s[4:5]
	v_mul_f32_e32 v25, 0x37800000, v6
	v_cndmask_b32_e32 v6, v6, v25, vcc
	v_fma_f32 v25, v26, s11, 0
	v_cmp_class_f32_e32 vcc, v9, v5
	v_cndmask_b32_e32 v6, v6, v9, vcc
	v_mul_f32_e32 v9, v25, v25
	v_add_f32_e32 v8, 1.0, v24
	v_cmp_nge_f32_e32 vcc, 1.0, v6
	v_fmac_f32_e32 v9, v29, v29
	v_cndmask_b32_e32 v6, v8, v24, vcc
	v_mul_f32_e32 v8, 0x4f800000, v9
	v_cmp_gt_f32_e32 vcc, s14, v9
	v_cndmask_b32_e32 v8, v9, v8, vcc
	v_sqrt_f32_e32 v9, v8
	s_add_i32 s8, s8, -2
	v_add_f32_e32 v24, 1.0, v6
	s_cmp_lg_u32 s8, 0
	v_add_u32_e32 v25, -1, v9
	v_add_u32_e32 v26, 1, v9
	v_fma_f32 v27, -v25, v9, v8
	v_fma_f32 v28, -v26, v9, v8
	v_cmp_ge_f32_e64 s[4:5], 0, v27
	v_cndmask_b32_e64 v9, v9, v25, s[4:5]
	v_cmp_lt_f32_e64 s[4:5], 0, v28
	v_cndmask_b32_e64 v9, v9, v26, s[4:5]
	v_mul_f32_e32 v25, 0x37800000, v9
	v_cndmask_b32_e32 v9, v9, v25, vcc
	v_cmp_class_f32_e32 vcc, v8, v5
	v_cndmask_b32_e32 v8, v9, v8, vcc
	v_cmp_nge_f32_e32 vcc, 1.0, v8
	v_cndmask_b32_e32 v24, v24, v6, vcc
	s_cbranch_scc1 .LBB29_407
; %bb.408:
	v_add_u32_e32 v6, 0x7ef400, v4
	v_cmp_ne_u32_e32 vcc, 0, v6
	v_mov_b32_e32 v7, 1
	s_and_saveexec_b64 s[8:9], vcc
	s_cbranch_execz .LBB29_422
; %bb.409:
	v_mov_b32_e32 v8, 1
	v_mov_b32_e32 v7, 0
	s_mov_b64 s[14:15], 0xbc8f
	s_mov_b64 s[10:11], 0
	v_mov_b32_e32 v9, 0
	s_brev_b32 s19, -2
	s_mov_b32 s20, 0x7ffffffe
	v_mov_b32_e32 v5, 0xfffff800
	s_movk_i32 s21, 0x401
	s_branch .LBB29_411
.LBB29_410:                             ;   in Loop: Header=BB29_411 Depth=1
	s_or_b64 exec, exec, s[16:17]
	s_mul_i32 s4, s14, s15
	s_mul_hi_u32 s5, s14, s14
	s_add_i32 s5, s5, s4
	s_add_i32 s4, s5, s4
	s_mul_i32 s5, s14, s14
	s_add_u32 s14, 0x402, s21
	s_addc_u32 s15, 0, 0
	v_add_co_u32_e32 v25, vcc, s14, v5
	s_cmp_lg_u64 vcc, 0
	v_readfirstlane_b32 s16, v25
	s_addc_u32 s14, s15, 1
	s_mul_hi_u32 s17, s16, 0x80000001
	s_mul_i32 s15, s14, 0x80000001
	s_sub_i32 s17, s17, s16
	s_add_i32 s17, s17, s15
	s_mul_i32 s23, s16, 0x80000001
	s_mul_hi_u32 s15, s16, s17
	s_mul_i32 s22, s16, s17
	s_mul_hi_u32 s16, s16, s23
	s_add_u32 s16, s16, s22
	s_addc_u32 s15, 0, s15
	s_mul_hi_u32 s24, s14, s23
	s_mul_i32 s23, s14, s23
	s_add_u32 s16, s16, s23
	s_mul_hi_u32 s22, s14, s17
	s_addc_u32 s15, s15, s24
	s_addc_u32 s16, s22, 0
	s_mul_i32 s17, s14, s17
	s_add_u32 s15, s15, s17
	s_addc_u32 s16, 0, s16
	v_add_co_u32_e32 v25, vcc, s15, v25
	s_cmp_lg_u64 vcc, 0
	s_addc_u32 s14, s14, s16
	v_readfirstlane_b32 s17, v25
	s_mul_i32 s16, s5, s14
	s_mul_hi_u32 s22, s5, s17
	s_mul_hi_u32 s15, s5, s14
	s_add_u32 s16, s22, s16
	s_addc_u32 s15, 0, s15
	s_mul_hi_u32 s23, s4, s17
	s_mul_i32 s17, s4, s17
	s_add_u32 s16, s16, s17
	s_mul_hi_u32 s22, s4, s14
	s_addc_u32 s15, s15, s23
	s_addc_u32 s16, s22, 0
	s_mul_i32 s14, s4, s14
	s_add_u32 s14, s15, s14
	s_addc_u32 s15, 0, s16
	s_mul_hi_u32 s16, s14, 0x7fffffff
	s_mul_i32 s14, s14, 0x7fffffff
	s_mul_i32 s15, s15, 0x7fffffff
	v_mov_b32_e32 v25, s14
	s_add_i32 s16, s16, s15
	v_sub_co_u32_e32 v25, vcc, s5, v25
	s_cmp_lg_u64 vcc, 0
	s_subb_u32 s4, s4, s16
	v_subrev_co_u32_e32 v28, vcc, s19, v25
	s_cmp_lg_u64 vcc, 0
	s_subb_u32 s5, s4, 0
	v_subrev_co_u32_e32 v29, vcc, s19, v28
	s_cmp_lg_u64 vcc, 0
	s_subb_u32 s14, s5, 0
	v_readfirstlane_b32 s15, v28
	s_cmp_gt_u32 s15, 0x7ffffffe
	s_cselect_b32 s16, -1, 0
	s_cmp_eq_u32 s5, 0
	s_cselect_b32 s16, s16, -1
	s_cmp_lg_u32 s16, 0
	s_cselect_b32 s5, s14, s5
	v_readfirstlane_b32 s14, v29
	v_readfirstlane_b32 s16, v25
	s_cselect_b32 s14, s14, s15
	s_cmp_gt_u32 s16, 0x7ffffffe
	s_cselect_b32 s15, -1, 0
	s_cmp_eq_u32 s4, 0
	s_cselect_b32 s15, s15, -1
	v_lshrrev_b64 v[26:27], 1, v[6:7]
	s_cmp_lg_u32 s15, 0
	v_cmp_gt_u64_e32 vcc, 2, v[6:7]
	s_cselect_b32 s15, s5, s4
	s_cselect_b32 s14, s14, s16
	s_or_b64 s[10:11], vcc, s[10:11]
	v_pk_mov_b32 v[6:7], v[26:27], v[26:27] op_sel:[0,1]
	s_andn2_b64 exec, exec, s[10:11]
	s_cbranch_execz .LBB29_421
.LBB29_411:                             ; =>This Inner Loop Header: Depth=1
	v_and_b32_e32 v25, 1, v6
	v_cmp_eq_u32_e32 vcc, 1, v25
	s_and_saveexec_b64 s[16:17], vcc
	s_cbranch_execz .LBB29_410
; %bb.412:                              ;   in Loop: Header=BB29_411 Depth=1
	v_mul_lo_u32 v25, s15, v8
	v_mul_lo_u32 v26, s14, v9
	v_mad_u64_u32 v[8:9], s[4:5], s14, v8, 0
	s_add_u32 s4, 0x402, s21
	v_add3_u32 v9, v9, v26, v25
	s_addc_u32 s5, 0, 0
	v_add_co_u32_e32 v25, vcc, s4, v5
	s_cmp_lg_u64 vcc, 0
	v_readfirstlane_b32 s22, v25
	s_addc_u32 s4, s5, 1
	s_mul_hi_u32 s23, s22, 0x80000001
	s_mul_i32 s5, s4, 0x80000001
	s_sub_i32 s23, s23, s22
	s_add_i32 s23, s23, s5
	s_mul_i32 s25, s22, 0x80000001
	s_mul_hi_u32 s5, s22, s23
	s_mul_i32 s24, s22, s23
	s_mul_hi_u32 s22, s22, s25
	s_add_u32 s22, s22, s24
	s_addc_u32 s5, 0, s5
	s_mul_hi_u32 s26, s4, s25
	s_mul_i32 s25, s4, s25
	s_add_u32 s22, s22, s25
	s_mul_hi_u32 s24, s4, s23
	s_addc_u32 s5, s5, s26
	s_addc_u32 s22, s24, 0
	s_mul_i32 s23, s4, s23
	s_add_u32 s5, s5, s23
	s_addc_u32 s22, 0, s22
	v_add_co_u32_e32 v25, vcc, s5, v25
	s_cmp_lg_u64 vcc, 0
	s_addc_u32 s22, s4, s22
	v_mad_u64_u32 v[26:27], s[4:5], v8, s22, 0
	v_mul_hi_u32 v28, v8, v25
	v_add_co_u32_e32 v30, vcc, v28, v26
	v_addc_co_u32_e32 v31, vcc, 0, v27, vcc
	v_mad_u64_u32 v[28:29], s[4:5], v9, v25, 0
	v_add_co_u32_e32 v25, vcc, v30, v28
	v_mad_u64_u32 v[26:27], s[4:5], v9, s22, 0
	v_addc_co_u32_e32 v25, vcc, v31, v29, vcc
	v_addc_co_u32_e32 v27, vcc, 0, v27, vcc
	v_add_co_u32_e32 v25, vcc, v25, v26
	v_addc_co_u32_e32 v29, vcc, 0, v27, vcc
	v_mad_u64_u32 v[26:27], s[4:5], v25, s19, 0
	v_mov_b32_e32 v28, v27
	v_mad_u64_u32 v[28:29], s[4:5], v29, s19, v[28:29]
	v_sub_co_u32_e32 v8, vcc, v8, v26
	v_subb_co_u32_e32 v9, vcc, v9, v28, vcc
	v_subrev_co_u32_e32 v25, vcc, s19, v8
	v_subbrev_co_u32_e32 v26, vcc, 0, v9, vcc
	v_subrev_co_u32_e32 v27, vcc, s19, v25
	v_subbrev_co_u32_e32 v28, vcc, 0, v26, vcc
	v_cmp_lt_u32_e32 vcc, s20, v25
	v_cndmask_b32_e64 v29, 0, -1, vcc
	v_cmp_eq_u32_e32 vcc, 0, v26
	v_cndmask_b32_e32 v29, -1, v29, vcc
	v_cmp_ne_u32_e32 vcc, 0, v29
	v_cmp_lt_u32_e64 s[4:5], s20, v8
	v_cndmask_b32_e32 v26, v26, v28, vcc
	v_cndmask_b32_e64 v28, 0, -1, s[4:5]
	v_cmp_eq_u32_e64 s[4:5], 0, v9
	v_cndmask_b32_e64 v28, -1, v28, s[4:5]
	v_cmp_ne_u32_e64 s[4:5], 0, v28
	v_cndmask_b32_e32 v25, v25, v27, vcc
	v_cndmask_b32_e64 v9, v9, v26, s[4:5]
	v_cndmask_b32_e64 v8, v8, v25, s[4:5]
	s_branch .LBB29_410
.LBB29_413:
	s_or_b64 exec, exec, s[10:11]
	s_movk_i32 s4, 0x401
	s_add_u32 s4, 0x402, s4
	v_mov_b32_e32 v3, 0xfffff800
	s_addc_u32 s5, 0, 0
	v_add_co_u32_e32 v3, vcc, s4, v3
	s_cmp_lg_u64 vcc, 0
	v_readfirstlane_b32 s10, v3
	s_addc_u32 s4, s5, 1
	s_mul_hi_u32 s11, s10, 0x80000001
	s_mul_i32 s5, s4, 0x80000001
	s_sub_i32 s11, s11, s10
	s_add_i32 s11, s11, s5
	s_mul_i32 s15, s10, 0x80000001
	s_mul_hi_u32 s5, s10, s11
	s_mul_i32 s14, s10, s11
	s_mul_hi_u32 s10, s10, s15
	s_add_u32 s10, s10, s14
	s_addc_u32 s5, 0, s5
	s_mul_hi_u32 s16, s4, s15
	s_mul_i32 s15, s4, s15
	s_add_u32 s10, s10, s15
	s_mul_hi_u32 s14, s4, s11
	s_addc_u32 s5, s5, s16
	s_addc_u32 s10, s14, 0
	s_mul_i32 s11, s4, s11
	s_add_u32 s5, s5, s11
	s_addc_u32 s10, 0, s10
	v_add_co_u32_e32 v3, vcc, s5, v3
	s_cmp_lg_u64 vcc, 0
	s_addc_u32 s10, s4, s10
	v_mad_u64_u32 v[4:5], s[4:5], v6, s10, 0
	v_mul_hi_u32 v25, v6, v3
	v_add_co_u32_e32 v25, vcc, v25, v4
	v_addc_co_u32_e32 v30, vcc, 0, v5, vcc
	v_mad_u64_u32 v[28:29], s[4:5], v7, v3, 0
	v_add_co_u32_e32 v3, vcc, v25, v28
	v_mad_u64_u32 v[4:5], s[4:5], v7, s10, 0
	v_addc_co_u32_e32 v3, vcc, v30, v29, vcc
	v_addc_co_u32_e32 v5, vcc, 0, v5, vcc
	v_add_co_u32_e32 v3, vcc, v3, v4
	s_brev_b32 s10, -2
	v_addc_co_u32_e32 v25, vcc, 0, v5, vcc
	v_mad_u64_u32 v[4:5], s[4:5], v3, s10, 0
	v_mov_b32_e32 v28, v5
	v_mad_u64_u32 v[28:29], s[4:5], v25, s10, v[28:29]
	v_sub_co_u32_e32 v3, vcc, v6, v4
	v_subb_co_u32_e32 v4, vcc, v7, v28, vcc
	v_subrev_co_u32_e32 v5, vcc, 0x7fffffff, v3
	v_subbrev_co_u32_e32 v6, vcc, 0, v4, vcc
	s_mov_b32 s4, 0x7ffffffe
	v_cmp_lt_u32_e32 vcc, s4, v5
	v_cndmask_b32_e64 v7, 0, -1, vcc
	v_cmp_eq_u32_e32 vcc, 0, v6
	v_cndmask_b32_e32 v6, -1, v7, vcc
	v_add_u32_e32 v7, 0x80000001, v5
	v_cmp_ne_u32_e32 vcc, 0, v6
	v_cndmask_b32_e32 v5, v5, v7, vcc
	v_cmp_lt_u32_e32 vcc, s4, v3
	v_cndmask_b32_e64 v6, 0, -1, vcc
	v_cmp_eq_u32_e32 vcc, 0, v4
	v_cndmask_b32_e32 v4, -1, v6, vcc
	v_cmp_ne_u32_e32 vcc, 0, v4
	v_cndmask_b32_e32 v5, v3, v5, vcc
.LBB29_414:
	s_or_b64 exec, exec, s[8:9]
	s_movk_i32 s8, 0x1388
	v_mov_b32_e32 v25, 0
	s_mov_b32 s9, 0xbc8f1391
	s_mov_b32 s10, 0xbc8f
	s_brev_b32 s11, 12
	s_mov_b32 s14, 0xf800000
	v_mov_b32_e32 v3, 0x260
.LBB29_415:                             ; =>This Inner Loop Header: Depth=1
	v_mul_hi_u32 v4, v5, s9
	v_lshrrev_b32_e32 v4, 15, v4
	v_mul_u32_u24_e32 v7, 0xadc8, v4
	v_sub_u32_e32 v5, v5, v7
	v_mul_u32_u24_e32 v4, 0xd47, v4
	v_mul_lo_u32 v5, v5, s10
	v_xor_b32_e32 v7, 0x7fffffff, v4
	v_sub_u32_e32 v28, 0, v4
	v_cmp_lt_u32_e32 vcc, v5, v4
	v_cndmask_b32_e32 v4, v28, v7, vcc
	v_add_u32_e32 v4, v4, v5
	v_mul_hi_u32 v7, v4, s9
	v_lshrrev_b32_e32 v7, 15, v7
	v_mul_u32_u24_e32 v28, 0xadc8, v7
	v_add_u32_e32 v5, -1, v4
	v_sub_u32_e32 v4, v4, v28
	v_mul_u32_u24_e32 v7, 0xd47, v7
	v_mul_lo_u32 v4, v4, s10
	v_xor_b32_e32 v28, 0x7fffffff, v7
	v_sub_u32_e32 v29, 0, v7
	v_cmp_lt_u32_e32 vcc, v4, v7
	v_cndmask_b32_e32 v7, v29, v28, vcc
	v_add_u32_e32 v4, v7, v4
	v_mul_hi_u32 v28, v4, s9
	v_add_u32_e32 v7, -1, v4
	v_lshrrev_b32_e32 v28, 15, v28
	v_cvt_f32_u32_e32 v7, v7
	v_mul_u32_u24_e32 v29, 0xadc8, v28
	v_cvt_f32_u32_e32 v5, v5
	v_sub_u32_e32 v4, v4, v29
	v_mul_u32_u24_e32 v28, 0xd47, v28
	v_mul_lo_u32 v4, v4, s10
	v_xor_b32_e32 v29, 0x7fffffff, v28
	v_sub_u32_e32 v30, 0, v28
	v_cmp_lt_u32_e32 vcc, v4, v28
	v_fma_f32 v7, v7, s11, 0
	v_cndmask_b32_e32 v28, v30, v29, vcc
	v_fma_f32 v5, v5, s11, 0
	v_mul_f32_e32 v7, v7, v7
	v_add_u32_e32 v4, v28, v4
	v_fmac_f32_e32 v7, v5, v5
	v_mul_hi_u32 v28, v4, s9
	v_add_u32_e32 v5, -1, v4
	v_mul_f32_e32 v29, 0x4f800000, v7
	v_lshrrev_b32_e32 v28, 15, v28
	v_cmp_gt_f32_e32 vcc, s14, v7
	v_cvt_f32_u32_e32 v5, v5
	v_cndmask_b32_e32 v7, v7, v29, vcc
	v_mul_u32_u24_e32 v29, 0xadc8, v28
	v_sqrt_f32_e32 v30, v7
	v_sub_u32_e32 v4, v4, v29
	v_mul_u32_u24_e32 v28, 0xd47, v28
	v_mul_lo_u32 v4, v4, s10
	v_xor_b32_e32 v29, 0x7fffffff, v28
	v_sub_u32_e32 v32, 0, v28
	v_cmp_lt_u32_e64 s[4:5], v4, v28
	v_fma_f32 v33, v5, s11, 0
	v_cndmask_b32_e64 v5, v32, v29, s[4:5]
	v_add_u32_e32 v5, v5, v4
	v_add_u32_e32 v4, -1, v30
	v_add_u32_e32 v28, 1, v30
	v_add_u32_e32 v29, -1, v5
	v_fma_f32 v32, -v4, v30, v7
	v_fma_f32 v34, -v28, v30, v7
	v_cvt_f32_u32_e32 v29, v29
	v_cmp_ge_f32_e64 s[4:5], 0, v32
	v_cndmask_b32_e64 v4, v30, v4, s[4:5]
	v_cmp_lt_f32_e64 s[4:5], 0, v34
	v_cndmask_b32_e64 v4, v4, v28, s[4:5]
	v_mul_f32_e32 v28, 0x37800000, v4
	v_cndmask_b32_e32 v4, v4, v28, vcc
	v_fma_f32 v28, v29, s11, 0
	v_cmp_class_f32_e32 vcc, v7, v3
	v_cndmask_b32_e32 v4, v4, v7, vcc
	v_mul_f32_e32 v7, v28, v28
	v_add_f32_e32 v6, 1.0, v25
	v_cmp_nge_f32_e32 vcc, 1.0, v4
	v_fmac_f32_e32 v7, v33, v33
	v_cndmask_b32_e32 v4, v6, v25, vcc
	v_mul_f32_e32 v6, 0x4f800000, v7
	v_cmp_gt_f32_e32 vcc, s14, v7
	v_cndmask_b32_e32 v6, v7, v6, vcc
	v_sqrt_f32_e32 v7, v6
	s_add_i32 s8, s8, -2
	v_add_f32_e32 v25, 1.0, v4
	s_cmp_lg_u32 s8, 0
	v_add_u32_e32 v28, -1, v7
	v_add_u32_e32 v29, 1, v7
	v_fma_f32 v30, -v28, v7, v6
	v_fma_f32 v32, -v29, v7, v6
	v_cmp_ge_f32_e64 s[4:5], 0, v30
	v_cndmask_b32_e64 v7, v7, v28, s[4:5]
	v_cmp_lt_f32_e64 s[4:5], 0, v32
	v_cndmask_b32_e64 v7, v7, v29, s[4:5]
	v_mul_f32_e32 v28, 0x37800000, v7
	v_cndmask_b32_e32 v7, v7, v28, vcc
	v_cmp_class_f32_e32 vcc, v6, v3
	v_cndmask_b32_e32 v6, v7, v6, vcc
	v_cmp_nge_f32_e32 vcc, 1.0, v6
	v_cndmask_b32_e32 v25, v25, v4, vcc
	s_cbranch_scc1 .LBB29_415
; %bb.416:
	v_add_u32_e32 v4, 0x88b800, v2
	v_cmp_ne_u32_e32 vcc, 0, v4
	v_mov_b32_e32 v5, 1
	s_and_saveexec_b64 s[8:9], vcc
	s_cbranch_execz .LBB29_430
; %bb.417:
	v_mov_b32_e32 v6, 1
	v_mov_b32_e32 v5, 0
	s_mov_b64 s[14:15], 0xbc8f
	s_mov_b64 s[10:11], 0
	v_mov_b32_e32 v7, 0
	s_brev_b32 s19, -2
	s_mov_b32 s20, 0x7ffffffe
	v_mov_b32_e32 v3, 0xfffff800
	s_movk_i32 s21, 0x401
	s_branch .LBB29_419
.LBB29_418:                             ;   in Loop: Header=BB29_419 Depth=1
	s_or_b64 exec, exec, s[16:17]
	s_mul_i32 s4, s14, s15
	s_mul_hi_u32 s5, s14, s14
	s_add_i32 s5, s5, s4
	s_add_i32 s4, s5, s4
	s_mul_i32 s5, s14, s14
	s_add_u32 s14, 0x402, s21
	s_addc_u32 s15, 0, 0
	v_add_co_u32_e32 v30, vcc, s14, v3
	s_cmp_lg_u64 vcc, 0
	v_readfirstlane_b32 s16, v30
	s_addc_u32 s14, s15, 1
	s_mul_hi_u32 s17, s16, 0x80000001
	s_mul_i32 s15, s14, 0x80000001
	s_sub_i32 s17, s17, s16
	s_add_i32 s17, s17, s15
	s_mul_i32 s23, s16, 0x80000001
	s_mul_hi_u32 s15, s16, s17
	s_mul_i32 s22, s16, s17
	s_mul_hi_u32 s16, s16, s23
	s_add_u32 s16, s16, s22
	s_addc_u32 s15, 0, s15
	s_mul_hi_u32 s24, s14, s23
	s_mul_i32 s23, s14, s23
	s_add_u32 s16, s16, s23
	s_mul_hi_u32 s22, s14, s17
	s_addc_u32 s15, s15, s24
	s_addc_u32 s16, s22, 0
	s_mul_i32 s17, s14, s17
	s_add_u32 s15, s15, s17
	s_addc_u32 s16, 0, s16
	v_add_co_u32_e32 v30, vcc, s15, v30
	s_cmp_lg_u64 vcc, 0
	s_addc_u32 s14, s14, s16
	v_readfirstlane_b32 s17, v30
	s_mul_i32 s16, s5, s14
	s_mul_hi_u32 s22, s5, s17
	s_mul_hi_u32 s15, s5, s14
	s_add_u32 s16, s22, s16
	s_addc_u32 s15, 0, s15
	s_mul_hi_u32 s23, s4, s17
	s_mul_i32 s17, s4, s17
	s_add_u32 s16, s16, s17
	s_mul_hi_u32 s22, s4, s14
	s_addc_u32 s15, s15, s23
	s_addc_u32 s16, s22, 0
	s_mul_i32 s14, s4, s14
	s_add_u32 s14, s15, s14
	s_addc_u32 s15, 0, s16
	s_mul_hi_u32 s16, s14, 0x7fffffff
	s_mul_i32 s14, s14, 0x7fffffff
	s_mul_i32 s15, s15, 0x7fffffff
	v_mov_b32_e32 v30, s14
	s_add_i32 s16, s16, s15
	v_sub_co_u32_e32 v30, vcc, s5, v30
	s_cmp_lg_u64 vcc, 0
	s_subb_u32 s4, s4, s16
	v_subrev_co_u32_e32 v32, vcc, s19, v30
	s_cmp_lg_u64 vcc, 0
	s_subb_u32 s5, s4, 0
	v_subrev_co_u32_e32 v33, vcc, s19, v32
	s_cmp_lg_u64 vcc, 0
	s_subb_u32 s14, s5, 0
	v_readfirstlane_b32 s15, v32
	s_cmp_gt_u32 s15, 0x7ffffffe
	s_cselect_b32 s16, -1, 0
	s_cmp_eq_u32 s5, 0
	s_cselect_b32 s16, s16, -1
	s_cmp_lg_u32 s16, 0
	s_cselect_b32 s5, s14, s5
	v_readfirstlane_b32 s14, v33
	v_readfirstlane_b32 s16, v30
	s_cselect_b32 s14, s14, s15
	s_cmp_gt_u32 s16, 0x7ffffffe
	s_cselect_b32 s15, -1, 0
	s_cmp_eq_u32 s4, 0
	s_cselect_b32 s15, s15, -1
	v_lshrrev_b64 v[28:29], 1, v[4:5]
	s_cmp_lg_u32 s15, 0
	v_cmp_gt_u64_e32 vcc, 2, v[4:5]
	s_cselect_b32 s15, s5, s4
	s_cselect_b32 s14, s14, s16
	s_or_b64 s[10:11], vcc, s[10:11]
	v_pk_mov_b32 v[4:5], v[28:29], v[28:29] op_sel:[0,1]
	s_andn2_b64 exec, exec, s[10:11]
	s_cbranch_execz .LBB29_429
.LBB29_419:                             ; =>This Inner Loop Header: Depth=1
	v_and_b32_e32 v28, 1, v4
	v_cmp_eq_u32_e32 vcc, 1, v28
	s_and_saveexec_b64 s[16:17], vcc
	s_cbranch_execz .LBB29_418
; %bb.420:                              ;   in Loop: Header=BB29_419 Depth=1
	v_mul_lo_u32 v28, s15, v6
	v_mul_lo_u32 v29, s14, v7
	v_mad_u64_u32 v[6:7], s[4:5], s14, v6, 0
	s_add_u32 s4, 0x402, s21
	v_add3_u32 v7, v7, v29, v28
	s_addc_u32 s5, 0, 0
	v_add_co_u32_e32 v28, vcc, s4, v3
	s_cmp_lg_u64 vcc, 0
	v_readfirstlane_b32 s22, v28
	s_addc_u32 s4, s5, 1
	s_mul_hi_u32 s23, s22, 0x80000001
	s_mul_i32 s5, s4, 0x80000001
	s_sub_i32 s23, s23, s22
	s_add_i32 s23, s23, s5
	s_mul_i32 s25, s22, 0x80000001
	s_mul_hi_u32 s5, s22, s23
	s_mul_i32 s24, s22, s23
	s_mul_hi_u32 s22, s22, s25
	s_add_u32 s22, s22, s24
	s_addc_u32 s5, 0, s5
	s_mul_hi_u32 s26, s4, s25
	s_mul_i32 s25, s4, s25
	s_add_u32 s22, s22, s25
	s_mul_hi_u32 s24, s4, s23
	s_addc_u32 s5, s5, s26
	s_addc_u32 s22, s24, 0
	s_mul_i32 s23, s4, s23
	s_add_u32 s5, s5, s23
	s_addc_u32 s22, 0, s22
	v_add_co_u32_e32 v30, vcc, s5, v28
	s_cmp_lg_u64 vcc, 0
	s_addc_u32 s22, s4, s22
	v_mad_u64_u32 v[28:29], s[4:5], v6, s22, 0
	v_mul_hi_u32 v32, v6, v30
	v_add_co_u32_e32 v34, vcc, v32, v28
	v_addc_co_u32_e32 v35, vcc, 0, v29, vcc
	v_mad_u64_u32 v[32:33], s[4:5], v7, v30, 0
	v_add_co_u32_e32 v30, vcc, v34, v32
	v_mad_u64_u32 v[28:29], s[4:5], v7, s22, 0
	v_addc_co_u32_e32 v30, vcc, v35, v33, vcc
	v_addc_co_u32_e32 v29, vcc, 0, v29, vcc
	v_add_co_u32_e32 v28, vcc, v30, v28
	v_addc_co_u32_e32 v32, vcc, 0, v29, vcc
	v_mad_u64_u32 v[28:29], s[4:5], v28, s19, 0
	v_mov_b32_e32 v30, v29
	v_mad_u64_u32 v[32:33], s[4:5], v32, s19, v[30:31]
	v_sub_co_u32_e32 v6, vcc, v6, v28
	v_subb_co_u32_e32 v7, vcc, v7, v32, vcc
	v_subrev_co_u32_e32 v28, vcc, s19, v6
	v_subbrev_co_u32_e32 v29, vcc, 0, v7, vcc
	v_subrev_co_u32_e32 v30, vcc, s19, v28
	v_subbrev_co_u32_e32 v32, vcc, 0, v29, vcc
	v_cmp_lt_u32_e32 vcc, s20, v28
	v_cndmask_b32_e64 v33, 0, -1, vcc
	v_cmp_eq_u32_e32 vcc, 0, v29
	v_cndmask_b32_e32 v33, -1, v33, vcc
	v_cmp_ne_u32_e32 vcc, 0, v33
	v_cmp_lt_u32_e64 s[4:5], s20, v6
	v_cndmask_b32_e32 v29, v29, v32, vcc
	v_cndmask_b32_e64 v32, 0, -1, s[4:5]
	v_cmp_eq_u32_e64 s[4:5], 0, v7
	v_cndmask_b32_e64 v32, -1, v32, s[4:5]
	v_cmp_ne_u32_e64 s[4:5], 0, v32
	v_cndmask_b32_e32 v28, v28, v30, vcc
	v_cndmask_b32_e64 v7, v7, v29, s[4:5]
	v_cndmask_b32_e64 v6, v6, v28, s[4:5]
	s_branch .LBB29_418
.LBB29_421:
	s_or_b64 exec, exec, s[10:11]
	s_movk_i32 s4, 0x401
	s_add_u32 s4, 0x402, s4
	v_mov_b32_e32 v5, 0xfffff800
	s_addc_u32 s5, 0, 0
	v_add_co_u32_e32 v5, vcc, s4, v5
	s_cmp_lg_u64 vcc, 0
	v_readfirstlane_b32 s10, v5
	s_addc_u32 s4, s5, 1
	s_mul_hi_u32 s11, s10, 0x80000001
	s_mul_i32 s5, s4, 0x80000001
	s_sub_i32 s11, s11, s10
	s_add_i32 s11, s11, s5
	s_mul_i32 s15, s10, 0x80000001
	s_mul_hi_u32 s5, s10, s11
	s_mul_i32 s14, s10, s11
	s_mul_hi_u32 s10, s10, s15
	s_add_u32 s10, s10, s14
	s_addc_u32 s5, 0, s5
	s_mul_hi_u32 s16, s4, s15
	s_mul_i32 s15, s4, s15
	s_add_u32 s10, s10, s15
	s_mul_hi_u32 s14, s4, s11
	s_addc_u32 s5, s5, s16
	s_addc_u32 s10, s14, 0
	s_mul_i32 s11, s4, s11
	s_add_u32 s5, s5, s11
	s_addc_u32 s10, 0, s10
	v_add_co_u32_e32 v5, vcc, s5, v5
	s_cmp_lg_u64 vcc, 0
	s_addc_u32 s10, s4, s10
	v_mad_u64_u32 v[6:7], s[4:5], v8, s10, 0
	v_mul_hi_u32 v25, v8, v5
	v_add_co_u32_e32 v25, vcc, v25, v6
	v_addc_co_u32_e32 v28, vcc, 0, v7, vcc
	v_mad_u64_u32 v[26:27], s[4:5], v9, v5, 0
	v_add_co_u32_e32 v5, vcc, v25, v26
	v_mad_u64_u32 v[6:7], s[4:5], v9, s10, 0
	v_addc_co_u32_e32 v5, vcc, v28, v27, vcc
	v_addc_co_u32_e32 v7, vcc, 0, v7, vcc
	v_add_co_u32_e32 v5, vcc, v5, v6
	s_brev_b32 s10, -2
	v_addc_co_u32_e32 v25, vcc, 0, v7, vcc
	v_mad_u64_u32 v[6:7], s[4:5], v5, s10, 0
	v_mov_b32_e32 v26, v7
	v_mad_u64_u32 v[26:27], s[4:5], v25, s10, v[26:27]
	v_sub_co_u32_e32 v5, vcc, v8, v6
	v_subb_co_u32_e32 v6, vcc, v9, v26, vcc
	v_subrev_co_u32_e32 v7, vcc, 0x7fffffff, v5
	v_subbrev_co_u32_e32 v8, vcc, 0, v6, vcc
	s_mov_b32 s4, 0x7ffffffe
	v_cmp_lt_u32_e32 vcc, s4, v7
	v_cndmask_b32_e64 v9, 0, -1, vcc
	v_cmp_eq_u32_e32 vcc, 0, v8
	v_cndmask_b32_e32 v8, -1, v9, vcc
	v_add_u32_e32 v9, 0x80000001, v7
	v_cmp_ne_u32_e32 vcc, 0, v8
	v_cndmask_b32_e32 v7, v7, v9, vcc
	v_cmp_lt_u32_e32 vcc, s4, v5
	v_cndmask_b32_e64 v8, 0, -1, vcc
	v_cmp_eq_u32_e32 vcc, 0, v6
	v_cndmask_b32_e32 v6, -1, v8, vcc
	v_cmp_ne_u32_e32 vcc, 0, v6
	v_cndmask_b32_e32 v7, v5, v7, vcc
.LBB29_422:
	s_or_b64 exec, exec, s[8:9]
	s_movk_i32 s8, 0x1388
	v_mov_b32_e32 v25, 0
	s_mov_b32 s9, 0xbc8f1391
	s_mov_b32 s10, 0xbc8f
	s_brev_b32 s11, 12
	s_mov_b32 s14, 0xf800000
	v_mov_b32_e32 v5, 0x260
.LBB29_423:                             ; =>This Inner Loop Header: Depth=1
	v_mul_hi_u32 v6, v7, s9
	v_lshrrev_b32_e32 v6, 15, v6
	v_mul_u32_u24_e32 v9, 0xadc8, v6
	v_sub_u32_e32 v7, v7, v9
	v_mul_u32_u24_e32 v6, 0xd47, v6
	v_mul_lo_u32 v7, v7, s10
	v_xor_b32_e32 v9, 0x7fffffff, v6
	v_sub_u32_e32 v26, 0, v6
	v_cmp_lt_u32_e32 vcc, v7, v6
	v_cndmask_b32_e32 v6, v26, v9, vcc
	v_add_u32_e32 v6, v6, v7
	v_mul_hi_u32 v9, v6, s9
	v_lshrrev_b32_e32 v9, 15, v9
	v_mul_u32_u24_e32 v26, 0xadc8, v9
	v_add_u32_e32 v7, -1, v6
	v_sub_u32_e32 v6, v6, v26
	v_mul_u32_u24_e32 v9, 0xd47, v9
	v_mul_lo_u32 v6, v6, s10
	v_xor_b32_e32 v26, 0x7fffffff, v9
	v_sub_u32_e32 v27, 0, v9
	v_cmp_lt_u32_e32 vcc, v6, v9
	v_cndmask_b32_e32 v9, v27, v26, vcc
	v_add_u32_e32 v6, v9, v6
	v_mul_hi_u32 v26, v6, s9
	v_add_u32_e32 v9, -1, v6
	v_lshrrev_b32_e32 v26, 15, v26
	v_cvt_f32_u32_e32 v9, v9
	v_mul_u32_u24_e32 v27, 0xadc8, v26
	v_cvt_f32_u32_e32 v7, v7
	v_sub_u32_e32 v6, v6, v27
	v_mul_u32_u24_e32 v26, 0xd47, v26
	v_mul_lo_u32 v6, v6, s10
	v_xor_b32_e32 v27, 0x7fffffff, v26
	v_sub_u32_e32 v28, 0, v26
	v_cmp_lt_u32_e32 vcc, v6, v26
	v_fma_f32 v9, v9, s11, 0
	v_cndmask_b32_e32 v26, v28, v27, vcc
	v_fma_f32 v7, v7, s11, 0
	v_mul_f32_e32 v9, v9, v9
	v_add_u32_e32 v6, v26, v6
	v_fmac_f32_e32 v9, v7, v7
	v_mul_hi_u32 v26, v6, s9
	v_add_u32_e32 v7, -1, v6
	v_mul_f32_e32 v27, 0x4f800000, v9
	v_lshrrev_b32_e32 v26, 15, v26
	v_cmp_gt_f32_e32 vcc, s14, v9
	v_cvt_f32_u32_e32 v7, v7
	v_cndmask_b32_e32 v9, v9, v27, vcc
	v_mul_u32_u24_e32 v27, 0xadc8, v26
	v_sqrt_f32_e32 v28, v9
	v_sub_u32_e32 v6, v6, v27
	v_mul_u32_u24_e32 v26, 0xd47, v26
	v_mul_lo_u32 v6, v6, s10
	v_xor_b32_e32 v27, 0x7fffffff, v26
	v_sub_u32_e32 v29, 0, v26
	v_cmp_lt_u32_e64 s[4:5], v6, v26
	v_fma_f32 v30, v7, s11, 0
	v_cndmask_b32_e64 v7, v29, v27, s[4:5]
	v_add_u32_e32 v7, v7, v6
	v_add_u32_e32 v6, -1, v28
	v_add_u32_e32 v26, 1, v28
	v_add_u32_e32 v27, -1, v7
	v_fma_f32 v29, -v6, v28, v9
	v_fma_f32 v31, -v26, v28, v9
	v_cvt_f32_u32_e32 v27, v27
	v_cmp_ge_f32_e64 s[4:5], 0, v29
	v_cndmask_b32_e64 v6, v28, v6, s[4:5]
	v_cmp_lt_f32_e64 s[4:5], 0, v31
	v_cndmask_b32_e64 v6, v6, v26, s[4:5]
	v_mul_f32_e32 v26, 0x37800000, v6
	v_cndmask_b32_e32 v6, v6, v26, vcc
	v_fma_f32 v26, v27, s11, 0
	v_cmp_class_f32_e32 vcc, v9, v5
	v_cndmask_b32_e32 v6, v6, v9, vcc
	v_mul_f32_e32 v9, v26, v26
	v_add_f32_e32 v8, 1.0, v25
	v_cmp_nge_f32_e32 vcc, 1.0, v6
	v_fmac_f32_e32 v9, v30, v30
	v_cndmask_b32_e32 v6, v8, v25, vcc
	v_mul_f32_e32 v8, 0x4f800000, v9
	v_cmp_gt_f32_e32 vcc, s14, v9
	v_cndmask_b32_e32 v8, v9, v8, vcc
	v_sqrt_f32_e32 v9, v8
	s_add_i32 s8, s8, -2
	v_add_f32_e32 v25, 1.0, v6
	s_cmp_lg_u32 s8, 0
	v_add_u32_e32 v26, -1, v9
	v_add_u32_e32 v27, 1, v9
	v_fma_f32 v28, -v26, v9, v8
	v_fma_f32 v29, -v27, v9, v8
	v_cmp_ge_f32_e64 s[4:5], 0, v28
	v_cndmask_b32_e64 v9, v9, v26, s[4:5]
	v_cmp_lt_f32_e64 s[4:5], 0, v29
	v_cndmask_b32_e64 v9, v9, v27, s[4:5]
	v_mul_f32_e32 v26, 0x37800000, v9
	v_cndmask_b32_e32 v9, v9, v26, vcc
	v_cmp_class_f32_e32 vcc, v8, v5
	v_cndmask_b32_e32 v8, v9, v8, vcc
	v_cmp_nge_f32_e32 vcc, 1.0, v8
	v_cndmask_b32_e32 v25, v25, v6, vcc
	s_cbranch_scc1 .LBB29_423
; %bb.424:
	v_add_u32_e32 v6, 0x88b800, v4
	v_cmp_ne_u32_e32 vcc, 0, v6
	v_mov_b32_e32 v7, 1
	s_and_saveexec_b64 s[8:9], vcc
	s_cbranch_execz .LBB29_438
; %bb.425:
	v_mov_b32_e32 v8, 1
	v_mov_b32_e32 v7, 0
	s_mov_b64 s[14:15], 0xbc8f
	s_mov_b64 s[10:11], 0
	v_mov_b32_e32 v9, 0
	s_brev_b32 s19, -2
	s_mov_b32 s20, 0x7ffffffe
	v_mov_b32_e32 v5, 0xfffff800
	s_movk_i32 s21, 0x401
	s_branch .LBB29_427
.LBB29_426:                             ;   in Loop: Header=BB29_427 Depth=1
	s_or_b64 exec, exec, s[16:17]
	s_mul_i32 s4, s14, s15
	s_mul_hi_u32 s5, s14, s14
	s_add_i32 s5, s5, s4
	s_add_i32 s4, s5, s4
	s_mul_i32 s5, s14, s14
	s_add_u32 s14, 0x402, s21
	s_addc_u32 s15, 0, 0
	v_add_co_u32_e32 v28, vcc, s14, v5
	s_cmp_lg_u64 vcc, 0
	v_readfirstlane_b32 s16, v28
	s_addc_u32 s14, s15, 1
	s_mul_hi_u32 s17, s16, 0x80000001
	s_mul_i32 s15, s14, 0x80000001
	s_sub_i32 s17, s17, s16
	s_add_i32 s17, s17, s15
	s_mul_i32 s23, s16, 0x80000001
	s_mul_hi_u32 s15, s16, s17
	s_mul_i32 s22, s16, s17
	s_mul_hi_u32 s16, s16, s23
	s_add_u32 s16, s16, s22
	s_addc_u32 s15, 0, s15
	s_mul_hi_u32 s24, s14, s23
	s_mul_i32 s23, s14, s23
	s_add_u32 s16, s16, s23
	s_mul_hi_u32 s22, s14, s17
	s_addc_u32 s15, s15, s24
	s_addc_u32 s16, s22, 0
	s_mul_i32 s17, s14, s17
	s_add_u32 s15, s15, s17
	s_addc_u32 s16, 0, s16
	v_add_co_u32_e32 v28, vcc, s15, v28
	s_cmp_lg_u64 vcc, 0
	s_addc_u32 s14, s14, s16
	v_readfirstlane_b32 s17, v28
	s_mul_i32 s16, s5, s14
	s_mul_hi_u32 s22, s5, s17
	s_mul_hi_u32 s15, s5, s14
	s_add_u32 s16, s22, s16
	s_addc_u32 s15, 0, s15
	s_mul_hi_u32 s23, s4, s17
	s_mul_i32 s17, s4, s17
	s_add_u32 s16, s16, s17
	s_mul_hi_u32 s22, s4, s14
	s_addc_u32 s15, s15, s23
	s_addc_u32 s16, s22, 0
	s_mul_i32 s14, s4, s14
	s_add_u32 s14, s15, s14
	s_addc_u32 s15, 0, s16
	s_mul_hi_u32 s16, s14, 0x7fffffff
	s_mul_i32 s14, s14, 0x7fffffff
	s_mul_i32 s15, s15, 0x7fffffff
	v_mov_b32_e32 v28, s14
	s_add_i32 s16, s16, s15
	v_sub_co_u32_e32 v28, vcc, s5, v28
	s_cmp_lg_u64 vcc, 0
	s_subb_u32 s4, s4, s16
	v_subrev_co_u32_e32 v29, vcc, s19, v28
	s_cmp_lg_u64 vcc, 0
	s_subb_u32 s5, s4, 0
	v_subrev_co_u32_e32 v30, vcc, s19, v29
	s_cmp_lg_u64 vcc, 0
	s_subb_u32 s14, s5, 0
	v_readfirstlane_b32 s15, v29
	s_cmp_gt_u32 s15, 0x7ffffffe
	s_cselect_b32 s16, -1, 0
	s_cmp_eq_u32 s5, 0
	s_cselect_b32 s16, s16, -1
	s_cmp_lg_u32 s16, 0
	s_cselect_b32 s5, s14, s5
	v_readfirstlane_b32 s14, v30
	v_readfirstlane_b32 s16, v28
	s_cselect_b32 s14, s14, s15
	s_cmp_gt_u32 s16, 0x7ffffffe
	s_cselect_b32 s15, -1, 0
	s_cmp_eq_u32 s4, 0
	s_cselect_b32 s15, s15, -1
	v_lshrrev_b64 v[26:27], 1, v[6:7]
	s_cmp_lg_u32 s15, 0
	v_cmp_gt_u64_e32 vcc, 2, v[6:7]
	s_cselect_b32 s15, s5, s4
	s_cselect_b32 s14, s14, s16
	s_or_b64 s[10:11], vcc, s[10:11]
	v_pk_mov_b32 v[6:7], v[26:27], v[26:27] op_sel:[0,1]
	s_andn2_b64 exec, exec, s[10:11]
	s_cbranch_execz .LBB29_437
.LBB29_427:                             ; =>This Inner Loop Header: Depth=1
	v_and_b32_e32 v26, 1, v6
	v_cmp_eq_u32_e32 vcc, 1, v26
	s_and_saveexec_b64 s[16:17], vcc
	s_cbranch_execz .LBB29_426
; %bb.428:                              ;   in Loop: Header=BB29_427 Depth=1
	v_mul_lo_u32 v26, s15, v8
	v_mul_lo_u32 v27, s14, v9
	v_mad_u64_u32 v[8:9], s[4:5], s14, v8, 0
	s_add_u32 s4, 0x402, s21
	v_add3_u32 v9, v9, v27, v26
	s_addc_u32 s5, 0, 0
	v_add_co_u32_e32 v26, vcc, s4, v5
	s_cmp_lg_u64 vcc, 0
	v_readfirstlane_b32 s22, v26
	s_addc_u32 s4, s5, 1
	s_mul_hi_u32 s23, s22, 0x80000001
	s_mul_i32 s5, s4, 0x80000001
	s_sub_i32 s23, s23, s22
	s_add_i32 s23, s23, s5
	s_mul_i32 s25, s22, 0x80000001
	s_mul_hi_u32 s5, s22, s23
	s_mul_i32 s24, s22, s23
	s_mul_hi_u32 s22, s22, s25
	s_add_u32 s22, s22, s24
	s_addc_u32 s5, 0, s5
	s_mul_hi_u32 s26, s4, s25
	s_mul_i32 s25, s4, s25
	s_add_u32 s22, s22, s25
	s_mul_hi_u32 s24, s4, s23
	s_addc_u32 s5, s5, s26
	s_addc_u32 s22, s24, 0
	s_mul_i32 s23, s4, s23
	s_add_u32 s5, s5, s23
	s_addc_u32 s22, 0, s22
	v_add_co_u32_e32 v28, vcc, s5, v26
	s_cmp_lg_u64 vcc, 0
	s_addc_u32 s22, s4, s22
	v_mad_u64_u32 v[26:27], s[4:5], v8, s22, 0
	v_mul_hi_u32 v29, v8, v28
	v_add_co_u32_e32 v30, vcc, v29, v26
	v_addc_co_u32_e32 v31, vcc, 0, v27, vcc
	v_mad_u64_u32 v[28:29], s[4:5], v9, v28, 0
	v_add_co_u32_e32 v28, vcc, v30, v28
	v_mad_u64_u32 v[26:27], s[4:5], v9, s22, 0
	v_addc_co_u32_e32 v28, vcc, v31, v29, vcc
	v_addc_co_u32_e32 v27, vcc, 0, v27, vcc
	v_add_co_u32_e32 v26, vcc, v28, v26
	v_addc_co_u32_e32 v29, vcc, 0, v27, vcc
	v_mad_u64_u32 v[26:27], s[4:5], v26, s19, 0
	v_mov_b32_e32 v28, v27
	v_mad_u64_u32 v[28:29], s[4:5], v29, s19, v[28:29]
	v_sub_co_u32_e32 v8, vcc, v8, v26
	v_subb_co_u32_e32 v9, vcc, v9, v28, vcc
	v_subrev_co_u32_e32 v26, vcc, s19, v8
	v_subbrev_co_u32_e32 v27, vcc, 0, v9, vcc
	v_subrev_co_u32_e32 v28, vcc, s19, v26
	v_subbrev_co_u32_e32 v29, vcc, 0, v27, vcc
	v_cmp_lt_u32_e32 vcc, s20, v26
	v_cndmask_b32_e64 v30, 0, -1, vcc
	v_cmp_eq_u32_e32 vcc, 0, v27
	v_cndmask_b32_e32 v30, -1, v30, vcc
	v_cmp_ne_u32_e32 vcc, 0, v30
	v_cmp_lt_u32_e64 s[4:5], s20, v8
	v_cndmask_b32_e32 v27, v27, v29, vcc
	v_cndmask_b32_e64 v29, 0, -1, s[4:5]
	v_cmp_eq_u32_e64 s[4:5], 0, v9
	v_cndmask_b32_e64 v29, -1, v29, s[4:5]
	v_cmp_ne_u32_e64 s[4:5], 0, v29
	v_cndmask_b32_e32 v26, v26, v28, vcc
	v_cndmask_b32_e64 v9, v9, v27, s[4:5]
	v_cndmask_b32_e64 v8, v8, v26, s[4:5]
	s_branch .LBB29_426
.LBB29_429:
	s_or_b64 exec, exec, s[10:11]
	s_movk_i32 s4, 0x401
	s_add_u32 s4, 0x402, s4
	v_mov_b32_e32 v3, 0xfffff800
	s_addc_u32 s5, 0, 0
	v_add_co_u32_e32 v3, vcc, s4, v3
	s_cmp_lg_u64 vcc, 0
	v_readfirstlane_b32 s10, v3
	s_addc_u32 s4, s5, 1
	s_mul_hi_u32 s11, s10, 0x80000001
	s_mul_i32 s5, s4, 0x80000001
	s_sub_i32 s11, s11, s10
	s_add_i32 s11, s11, s5
	s_mul_i32 s15, s10, 0x80000001
	s_mul_hi_u32 s5, s10, s11
	s_mul_i32 s14, s10, s11
	s_mul_hi_u32 s10, s10, s15
	s_add_u32 s10, s10, s14
	s_addc_u32 s5, 0, s5
	s_mul_hi_u32 s16, s4, s15
	s_mul_i32 s15, s4, s15
	s_add_u32 s10, s10, s15
	s_mul_hi_u32 s14, s4, s11
	s_addc_u32 s5, s5, s16
	s_addc_u32 s10, s14, 0
	s_mul_i32 s11, s4, s11
	s_add_u32 s5, s5, s11
	s_addc_u32 s10, 0, s10
	v_add_co_u32_e32 v3, vcc, s5, v3
	s_cmp_lg_u64 vcc, 0
	s_addc_u32 s10, s4, s10
	v_mad_u64_u32 v[4:5], s[4:5], v6, s10, 0
	v_mul_hi_u32 v28, v6, v3
	v_add_co_u32_e32 v30, vcc, v28, v4
	v_addc_co_u32_e32 v32, vcc, 0, v5, vcc
	v_mad_u64_u32 v[28:29], s[4:5], v7, v3, 0
	v_add_co_u32_e32 v3, vcc, v30, v28
	v_mad_u64_u32 v[4:5], s[4:5], v7, s10, 0
	v_addc_co_u32_e32 v3, vcc, v32, v29, vcc
	v_addc_co_u32_e32 v5, vcc, 0, v5, vcc
	v_add_co_u32_e32 v3, vcc, v3, v4
	s_brev_b32 s10, -2
	v_addc_co_u32_e32 v29, vcc, 0, v5, vcc
	v_mad_u64_u32 v[4:5], s[4:5], v3, s10, 0
	v_mov_b32_e32 v28, v5
	v_mad_u64_u32 v[28:29], s[4:5], v29, s10, v[28:29]
	v_sub_co_u32_e32 v3, vcc, v6, v4
	v_subb_co_u32_e32 v4, vcc, v7, v28, vcc
	v_subrev_co_u32_e32 v5, vcc, 0x7fffffff, v3
	v_subbrev_co_u32_e32 v6, vcc, 0, v4, vcc
	s_mov_b32 s4, 0x7ffffffe
	v_cmp_lt_u32_e32 vcc, s4, v5
	v_cndmask_b32_e64 v7, 0, -1, vcc
	v_cmp_eq_u32_e32 vcc, 0, v6
	v_cndmask_b32_e32 v6, -1, v7, vcc
	v_add_u32_e32 v7, 0x80000001, v5
	v_cmp_ne_u32_e32 vcc, 0, v6
	v_cndmask_b32_e32 v5, v5, v7, vcc
	v_cmp_lt_u32_e32 vcc, s4, v3
	v_cndmask_b32_e64 v6, 0, -1, vcc
	v_cmp_eq_u32_e32 vcc, 0, v4
	v_cndmask_b32_e32 v4, -1, v6, vcc
	v_cmp_ne_u32_e32 vcc, 0, v4
	v_cndmask_b32_e32 v5, v3, v5, vcc
.LBB29_430:
	s_or_b64 exec, exec, s[8:9]
	s_movk_i32 s8, 0x1388
	v_mov_b32_e32 v6, 0
	s_mov_b32 s9, 0xbc8f1391
	s_mov_b32 s10, 0xbc8f
	s_brev_b32 s11, 12
	s_mov_b32 s14, 0xf800000
	v_mov_b32_e32 v3, 0x260
.LBB29_431:                             ; =>This Inner Loop Header: Depth=1
	v_mul_hi_u32 v4, v5, s9
	v_lshrrev_b32_e32 v4, 15, v4
	v_mul_u32_u24_e32 v28, 0xadc8, v4
	v_sub_u32_e32 v5, v5, v28
	v_mul_u32_u24_e32 v4, 0xd47, v4
	v_mul_lo_u32 v5, v5, s10
	v_xor_b32_e32 v28, 0x7fffffff, v4
	v_sub_u32_e32 v29, 0, v4
	v_cmp_lt_u32_e32 vcc, v5, v4
	v_cndmask_b32_e32 v4, v29, v28, vcc
	v_add_u32_e32 v4, v4, v5
	v_mul_hi_u32 v28, v4, s9
	v_lshrrev_b32_e32 v28, 15, v28
	v_mul_u32_u24_e32 v29, 0xadc8, v28
	v_add_u32_e32 v5, -1, v4
	v_sub_u32_e32 v4, v4, v29
	v_mul_u32_u24_e32 v28, 0xd47, v28
	v_mul_lo_u32 v4, v4, s10
	v_xor_b32_e32 v29, 0x7fffffff, v28
	v_sub_u32_e32 v30, 0, v28
	v_cmp_lt_u32_e32 vcc, v4, v28
	v_cndmask_b32_e32 v28, v30, v29, vcc
	v_add_u32_e32 v4, v28, v4
	v_mul_hi_u32 v29, v4, s9
	v_add_u32_e32 v28, -1, v4
	v_lshrrev_b32_e32 v29, 15, v29
	v_cvt_f32_u32_e32 v28, v28
	v_mul_u32_u24_e32 v30, 0xadc8, v29
	v_cvt_f32_u32_e32 v5, v5
	v_sub_u32_e32 v4, v4, v30
	v_mul_u32_u24_e32 v29, 0xd47, v29
	v_mul_lo_u32 v4, v4, s10
	v_xor_b32_e32 v30, 0x7fffffff, v29
	v_sub_u32_e32 v32, 0, v29
	v_cmp_lt_u32_e32 vcc, v4, v29
	v_fma_f32 v28, v28, s11, 0
	v_cndmask_b32_e32 v29, v32, v30, vcc
	v_fma_f32 v5, v5, s11, 0
	v_mul_f32_e32 v28, v28, v28
	v_add_u32_e32 v4, v29, v4
	v_fmac_f32_e32 v28, v5, v5
	v_mul_hi_u32 v29, v4, s9
	v_add_u32_e32 v5, -1, v4
	v_mul_f32_e32 v30, 0x4f800000, v28
	v_lshrrev_b32_e32 v29, 15, v29
	v_cmp_gt_f32_e32 vcc, s14, v28
	v_cvt_f32_u32_e32 v5, v5
	v_cndmask_b32_e32 v28, v28, v30, vcc
	v_mul_u32_u24_e32 v30, 0xadc8, v29
	v_sqrt_f32_e32 v32, v28
	v_sub_u32_e32 v4, v4, v30
	v_mul_u32_u24_e32 v29, 0xd47, v29
	v_mul_lo_u32 v4, v4, s10
	v_xor_b32_e32 v30, 0x7fffffff, v29
	v_sub_u32_e32 v33, 0, v29
	v_cmp_lt_u32_e64 s[4:5], v4, v29
	v_fma_f32 v34, v5, s11, 0
	v_cndmask_b32_e64 v5, v33, v30, s[4:5]
	v_add_u32_e32 v5, v5, v4
	v_add_u32_e32 v4, -1, v32
	v_add_u32_e32 v29, 1, v32
	v_add_u32_e32 v30, -1, v5
	v_fma_f32 v33, -v4, v32, v28
	v_fma_f32 v35, -v29, v32, v28
	v_cvt_f32_u32_e32 v30, v30
	v_cmp_ge_f32_e64 s[4:5], 0, v33
	v_cndmask_b32_e64 v4, v32, v4, s[4:5]
	v_cmp_lt_f32_e64 s[4:5], 0, v35
	v_cndmask_b32_e64 v4, v4, v29, s[4:5]
	v_mul_f32_e32 v29, 0x37800000, v4
	v_cndmask_b32_e32 v4, v4, v29, vcc
	v_fma_f32 v29, v30, s11, 0
	v_cmp_class_f32_e32 vcc, v28, v3
	v_cndmask_b32_e32 v4, v4, v28, vcc
	v_mul_f32_e32 v28, v29, v29
	v_add_f32_e32 v7, 1.0, v6
	v_cmp_nge_f32_e32 vcc, 1.0, v4
	v_fmac_f32_e32 v28, v34, v34
	v_cndmask_b32_e32 v4, v7, v6, vcc
	v_mul_f32_e32 v6, 0x4f800000, v28
	v_cmp_gt_f32_e32 vcc, s14, v28
	v_cndmask_b32_e32 v6, v28, v6, vcc
	v_sqrt_f32_e32 v28, v6
	s_add_i32 s8, s8, -2
	v_add_f32_e32 v7, 1.0, v4
	s_cmp_lg_u32 s8, 0
	v_add_u32_e32 v29, -1, v28
	v_add_u32_e32 v30, 1, v28
	v_fma_f32 v32, -v29, v28, v6
	v_fma_f32 v33, -v30, v28, v6
	v_cmp_ge_f32_e64 s[4:5], 0, v32
	v_cndmask_b32_e64 v28, v28, v29, s[4:5]
	v_cmp_lt_f32_e64 s[4:5], 0, v33
	v_cndmask_b32_e64 v28, v28, v30, s[4:5]
	v_mul_f32_e32 v29, 0x37800000, v28
	v_cndmask_b32_e32 v28, v28, v29, vcc
	v_cmp_class_f32_e32 vcc, v6, v3
	v_cndmask_b32_e32 v6, v28, v6, vcc
	v_cmp_nge_f32_e32 vcc, 1.0, v6
	v_cndmask_b32_e32 v6, v7, v4, vcc
	s_cbranch_scc1 .LBB29_431
; %bb.432:
	v_add_u32_e32 v2, 0x927c00, v2
	v_cmp_ne_u32_e32 vcc, 0, v2
	v_mov_b32_e32 v4, 1
	s_and_saveexec_b64 s[8:9], vcc
	s_cbranch_execz .LBB29_446
; %bb.433:
	v_mov_b32_e32 v4, 1
	v_mov_b32_e32 v3, 0
	s_mov_b64 s[14:15], 0xbc8f
	s_mov_b64 s[10:11], 0
	v_mov_b32_e32 v5, 0
	s_brev_b32 s19, -2
	s_mov_b32 s20, 0x7ffffffe
	v_mov_b32_e32 v7, 0xfffff800
	s_movk_i32 s21, 0x401
	s_branch .LBB29_435
.LBB29_434:                             ;   in Loop: Header=BB29_435 Depth=1
	s_or_b64 exec, exec, s[16:17]
	s_mul_i32 s4, s14, s15
	s_mul_hi_u32 s5, s14, s14
	s_add_i32 s5, s5, s4
	s_add_i32 s4, s5, s4
	s_mul_i32 s5, s14, s14
	s_add_u32 s14, 0x402, s21
	s_addc_u32 s15, 0, 0
	v_add_co_u32_e32 v30, vcc, s14, v7
	s_cmp_lg_u64 vcc, 0
	v_readfirstlane_b32 s16, v30
	s_addc_u32 s14, s15, 1
	s_mul_hi_u32 s17, s16, 0x80000001
	s_mul_i32 s15, s14, 0x80000001
	s_sub_i32 s17, s17, s16
	s_add_i32 s17, s17, s15
	s_mul_i32 s23, s16, 0x80000001
	s_mul_hi_u32 s15, s16, s17
	s_mul_i32 s22, s16, s17
	s_mul_hi_u32 s16, s16, s23
	s_add_u32 s16, s16, s22
	s_addc_u32 s15, 0, s15
	s_mul_hi_u32 s24, s14, s23
	s_mul_i32 s23, s14, s23
	s_add_u32 s16, s16, s23
	s_mul_hi_u32 s22, s14, s17
	s_addc_u32 s15, s15, s24
	s_addc_u32 s16, s22, 0
	s_mul_i32 s17, s14, s17
	s_add_u32 s15, s15, s17
	s_addc_u32 s16, 0, s16
	v_add_co_u32_e32 v30, vcc, s15, v30
	s_cmp_lg_u64 vcc, 0
	s_addc_u32 s14, s14, s16
	v_readfirstlane_b32 s17, v30
	s_mul_i32 s16, s5, s14
	s_mul_hi_u32 s22, s5, s17
	s_mul_hi_u32 s15, s5, s14
	s_add_u32 s16, s22, s16
	s_addc_u32 s15, 0, s15
	s_mul_hi_u32 s23, s4, s17
	s_mul_i32 s17, s4, s17
	s_add_u32 s16, s16, s17
	s_mul_hi_u32 s22, s4, s14
	s_addc_u32 s15, s15, s23
	s_addc_u32 s16, s22, 0
	s_mul_i32 s14, s4, s14
	s_add_u32 s14, s15, s14
	s_addc_u32 s15, 0, s16
	s_mul_hi_u32 s16, s14, 0x7fffffff
	s_mul_i32 s14, s14, 0x7fffffff
	s_mul_i32 s15, s15, 0x7fffffff
	v_mov_b32_e32 v30, s14
	s_add_i32 s16, s16, s15
	v_sub_co_u32_e32 v30, vcc, s5, v30
	s_cmp_lg_u64 vcc, 0
	s_subb_u32 s4, s4, s16
	v_subrev_co_u32_e32 v32, vcc, s19, v30
	s_cmp_lg_u64 vcc, 0
	s_subb_u32 s5, s4, 0
	v_subrev_co_u32_e32 v33, vcc, s19, v32
	s_cmp_lg_u64 vcc, 0
	s_subb_u32 s14, s5, 0
	v_readfirstlane_b32 s15, v32
	s_cmp_gt_u32 s15, 0x7ffffffe
	s_cselect_b32 s16, -1, 0
	s_cmp_eq_u32 s5, 0
	s_cselect_b32 s16, s16, -1
	s_cmp_lg_u32 s16, 0
	s_cselect_b32 s5, s14, s5
	v_readfirstlane_b32 s14, v33
	v_readfirstlane_b32 s16, v30
	s_cselect_b32 s14, s14, s15
	s_cmp_gt_u32 s16, 0x7ffffffe
	s_cselect_b32 s15, -1, 0
	s_cmp_eq_u32 s4, 0
	s_cselect_b32 s15, s15, -1
	v_lshrrev_b64 v[28:29], 1, v[2:3]
	s_cmp_lg_u32 s15, 0
	v_cmp_gt_u64_e32 vcc, 2, v[2:3]
	s_cselect_b32 s15, s5, s4
	s_cselect_b32 s14, s14, s16
	s_or_b64 s[10:11], vcc, s[10:11]
	v_pk_mov_b32 v[2:3], v[28:29], v[28:29] op_sel:[0,1]
	s_andn2_b64 exec, exec, s[10:11]
	s_cbranch_execz .LBB29_445
.LBB29_435:                             ; =>This Inner Loop Header: Depth=1
	v_and_b32_e32 v28, 1, v2
	v_cmp_eq_u32_e32 vcc, 1, v28
	s_and_saveexec_b64 s[16:17], vcc
	s_cbranch_execz .LBB29_434
; %bb.436:                              ;   in Loop: Header=BB29_435 Depth=1
	v_mul_lo_u32 v28, s15, v4
	v_mul_lo_u32 v29, s14, v5
	v_mad_u64_u32 v[4:5], s[4:5], s14, v4, 0
	s_add_u32 s4, 0x402, s21
	v_add3_u32 v5, v5, v29, v28
	s_addc_u32 s5, 0, 0
	v_add_co_u32_e32 v28, vcc, s4, v7
	s_cmp_lg_u64 vcc, 0
	v_readfirstlane_b32 s22, v28
	s_addc_u32 s4, s5, 1
	s_mul_hi_u32 s23, s22, 0x80000001
	s_mul_i32 s5, s4, 0x80000001
	s_sub_i32 s23, s23, s22
	s_add_i32 s23, s23, s5
	s_mul_i32 s25, s22, 0x80000001
	s_mul_hi_u32 s5, s22, s23
	s_mul_i32 s24, s22, s23
	s_mul_hi_u32 s22, s22, s25
	s_add_u32 s22, s22, s24
	s_addc_u32 s5, 0, s5
	s_mul_hi_u32 s26, s4, s25
	s_mul_i32 s25, s4, s25
	s_add_u32 s22, s22, s25
	s_mul_hi_u32 s24, s4, s23
	s_addc_u32 s5, s5, s26
	s_addc_u32 s22, s24, 0
	s_mul_i32 s23, s4, s23
	s_add_u32 s5, s5, s23
	s_addc_u32 s22, 0, s22
	v_add_co_u32_e32 v30, vcc, s5, v28
	s_cmp_lg_u64 vcc, 0
	s_addc_u32 s22, s4, s22
	v_mad_u64_u32 v[28:29], s[4:5], v4, s22, 0
	v_mul_hi_u32 v32, v4, v30
	v_add_co_u32_e32 v34, vcc, v32, v28
	v_addc_co_u32_e32 v35, vcc, 0, v29, vcc
	v_mad_u64_u32 v[32:33], s[4:5], v5, v30, 0
	v_add_co_u32_e32 v30, vcc, v34, v32
	v_mad_u64_u32 v[28:29], s[4:5], v5, s22, 0
	v_addc_co_u32_e32 v30, vcc, v35, v33, vcc
	v_addc_co_u32_e32 v29, vcc, 0, v29, vcc
	v_add_co_u32_e32 v28, vcc, v30, v28
	v_addc_co_u32_e32 v32, vcc, 0, v29, vcc
	v_mad_u64_u32 v[28:29], s[4:5], v28, s19, 0
	v_mov_b32_e32 v30, v29
	v_mad_u64_u32 v[32:33], s[4:5], v32, s19, v[30:31]
	v_sub_co_u32_e32 v4, vcc, v4, v28
	v_subb_co_u32_e32 v5, vcc, v5, v32, vcc
	v_subrev_co_u32_e32 v28, vcc, s19, v4
	v_subbrev_co_u32_e32 v29, vcc, 0, v5, vcc
	v_subrev_co_u32_e32 v30, vcc, s19, v28
	v_subbrev_co_u32_e32 v32, vcc, 0, v29, vcc
	v_cmp_lt_u32_e32 vcc, s20, v28
	v_cndmask_b32_e64 v33, 0, -1, vcc
	v_cmp_eq_u32_e32 vcc, 0, v29
	v_cndmask_b32_e32 v33, -1, v33, vcc
	v_cmp_ne_u32_e32 vcc, 0, v33
	v_cmp_lt_u32_e64 s[4:5], s20, v4
	v_cndmask_b32_e32 v29, v29, v32, vcc
	v_cndmask_b32_e64 v32, 0, -1, s[4:5]
	v_cmp_eq_u32_e64 s[4:5], 0, v5
	v_cndmask_b32_e64 v32, -1, v32, s[4:5]
	v_cmp_ne_u32_e64 s[4:5], 0, v32
	v_cndmask_b32_e32 v28, v28, v30, vcc
	v_cndmask_b32_e64 v5, v5, v29, s[4:5]
	v_cndmask_b32_e64 v4, v4, v28, s[4:5]
	s_branch .LBB29_434
.LBB29_437:
	s_or_b64 exec, exec, s[10:11]
	s_movk_i32 s4, 0x401
	s_add_u32 s4, 0x402, s4
	v_mov_b32_e32 v5, 0xfffff800
	s_addc_u32 s5, 0, 0
	v_add_co_u32_e32 v5, vcc, s4, v5
	s_cmp_lg_u64 vcc, 0
	v_readfirstlane_b32 s10, v5
	s_addc_u32 s4, s5, 1
	s_mul_hi_u32 s11, s10, 0x80000001
	s_mul_i32 s5, s4, 0x80000001
	s_sub_i32 s11, s11, s10
	s_add_i32 s11, s11, s5
	s_mul_i32 s15, s10, 0x80000001
	s_mul_hi_u32 s5, s10, s11
	s_mul_i32 s14, s10, s11
	s_mul_hi_u32 s10, s10, s15
	s_add_u32 s10, s10, s14
	s_addc_u32 s5, 0, s5
	s_mul_hi_u32 s16, s4, s15
	s_mul_i32 s15, s4, s15
	s_add_u32 s10, s10, s15
	s_mul_hi_u32 s14, s4, s11
	s_addc_u32 s5, s5, s16
	s_addc_u32 s10, s14, 0
	s_mul_i32 s11, s4, s11
	s_add_u32 s5, s5, s11
	s_addc_u32 s10, 0, s10
	v_add_co_u32_e32 v5, vcc, s5, v5
	s_cmp_lg_u64 vcc, 0
	s_addc_u32 s10, s4, s10
	v_mad_u64_u32 v[6:7], s[4:5], v8, s10, 0
	v_mul_hi_u32 v26, v8, v5
	v_add_co_u32_e32 v28, vcc, v26, v6
	v_addc_co_u32_e32 v29, vcc, 0, v7, vcc
	v_mad_u64_u32 v[26:27], s[4:5], v9, v5, 0
	v_add_co_u32_e32 v5, vcc, v28, v26
	v_mad_u64_u32 v[6:7], s[4:5], v9, s10, 0
	v_addc_co_u32_e32 v5, vcc, v29, v27, vcc
	v_addc_co_u32_e32 v7, vcc, 0, v7, vcc
	v_add_co_u32_e32 v5, vcc, v5, v6
	s_brev_b32 s10, -2
	v_addc_co_u32_e32 v27, vcc, 0, v7, vcc
	v_mad_u64_u32 v[6:7], s[4:5], v5, s10, 0
	v_mov_b32_e32 v26, v7
	v_mad_u64_u32 v[26:27], s[4:5], v27, s10, v[26:27]
	v_sub_co_u32_e32 v5, vcc, v8, v6
	v_subb_co_u32_e32 v6, vcc, v9, v26, vcc
	v_subrev_co_u32_e32 v7, vcc, 0x7fffffff, v5
	v_subbrev_co_u32_e32 v8, vcc, 0, v6, vcc
	s_mov_b32 s4, 0x7ffffffe
	v_cmp_lt_u32_e32 vcc, s4, v7
	v_cndmask_b32_e64 v9, 0, -1, vcc
	v_cmp_eq_u32_e32 vcc, 0, v8
	v_cndmask_b32_e32 v8, -1, v9, vcc
	v_add_u32_e32 v9, 0x80000001, v7
	v_cmp_ne_u32_e32 vcc, 0, v8
	v_cndmask_b32_e32 v7, v7, v9, vcc
	v_cmp_lt_u32_e32 vcc, s4, v5
	v_cndmask_b32_e64 v8, 0, -1, vcc
	v_cmp_eq_u32_e32 vcc, 0, v6
	v_cndmask_b32_e32 v6, -1, v8, vcc
	v_cmp_ne_u32_e32 vcc, 0, v6
	v_cndmask_b32_e32 v7, v5, v7, vcc
.LBB29_438:
	s_or_b64 exec, exec, s[8:9]
	s_movk_i32 s8, 0x1388
	v_mov_b32_e32 v26, 0
	s_mov_b32 s9, 0xbc8f1391
	s_mov_b32 s10, 0xbc8f
	s_brev_b32 s11, 12
	s_mov_b32 s14, 0xf800000
	v_mov_b32_e32 v5, 0x260
.LBB29_439:                             ; =>This Inner Loop Header: Depth=1
	v_mul_hi_u32 v6, v7, s9
	v_lshrrev_b32_e32 v6, 15, v6
	v_mul_u32_u24_e32 v9, 0xadc8, v6
	v_sub_u32_e32 v7, v7, v9
	v_mul_u32_u24_e32 v6, 0xd47, v6
	v_mul_lo_u32 v7, v7, s10
	v_xor_b32_e32 v9, 0x7fffffff, v6
	v_sub_u32_e32 v27, 0, v6
	v_cmp_lt_u32_e32 vcc, v7, v6
	v_cndmask_b32_e32 v6, v27, v9, vcc
	v_add_u32_e32 v6, v6, v7
	v_mul_hi_u32 v9, v6, s9
	v_lshrrev_b32_e32 v9, 15, v9
	v_mul_u32_u24_e32 v27, 0xadc8, v9
	v_add_u32_e32 v7, -1, v6
	v_sub_u32_e32 v6, v6, v27
	v_mul_u32_u24_e32 v9, 0xd47, v9
	v_mul_lo_u32 v6, v6, s10
	v_xor_b32_e32 v27, 0x7fffffff, v9
	v_sub_u32_e32 v28, 0, v9
	v_cmp_lt_u32_e32 vcc, v6, v9
	v_cndmask_b32_e32 v9, v28, v27, vcc
	v_add_u32_e32 v6, v9, v6
	v_mul_hi_u32 v27, v6, s9
	v_add_u32_e32 v9, -1, v6
	v_lshrrev_b32_e32 v27, 15, v27
	v_cvt_f32_u32_e32 v9, v9
	v_mul_u32_u24_e32 v28, 0xadc8, v27
	v_cvt_f32_u32_e32 v7, v7
	v_sub_u32_e32 v6, v6, v28
	v_mul_u32_u24_e32 v27, 0xd47, v27
	v_mul_lo_u32 v6, v6, s10
	v_xor_b32_e32 v28, 0x7fffffff, v27
	v_sub_u32_e32 v29, 0, v27
	v_cmp_lt_u32_e32 vcc, v6, v27
	v_fma_f32 v9, v9, s11, 0
	v_cndmask_b32_e32 v27, v29, v28, vcc
	v_fma_f32 v7, v7, s11, 0
	v_mul_f32_e32 v9, v9, v9
	v_add_u32_e32 v6, v27, v6
	v_fmac_f32_e32 v9, v7, v7
	v_mul_hi_u32 v27, v6, s9
	v_add_u32_e32 v7, -1, v6
	v_mul_f32_e32 v28, 0x4f800000, v9
	v_lshrrev_b32_e32 v27, 15, v27
	v_cmp_gt_f32_e32 vcc, s14, v9
	v_cvt_f32_u32_e32 v7, v7
	v_cndmask_b32_e32 v9, v9, v28, vcc
	v_mul_u32_u24_e32 v28, 0xadc8, v27
	v_sqrt_f32_e32 v29, v9
	v_sub_u32_e32 v6, v6, v28
	v_mul_u32_u24_e32 v27, 0xd47, v27
	v_mul_lo_u32 v6, v6, s10
	v_xor_b32_e32 v28, 0x7fffffff, v27
	v_sub_u32_e32 v30, 0, v27
	v_cmp_lt_u32_e64 s[4:5], v6, v27
	v_fma_f32 v31, v7, s11, 0
	v_cndmask_b32_e64 v7, v30, v28, s[4:5]
	v_add_u32_e32 v7, v7, v6
	v_add_u32_e32 v6, -1, v29
	v_add_u32_e32 v27, 1, v29
	v_add_u32_e32 v28, -1, v7
	v_fma_f32 v30, -v6, v29, v9
	v_fma_f32 v32, -v27, v29, v9
	v_cvt_f32_u32_e32 v28, v28
	v_cmp_ge_f32_e64 s[4:5], 0, v30
	v_cndmask_b32_e64 v6, v29, v6, s[4:5]
	v_cmp_lt_f32_e64 s[4:5], 0, v32
	v_cndmask_b32_e64 v6, v6, v27, s[4:5]
	v_mul_f32_e32 v27, 0x37800000, v6
	v_cndmask_b32_e32 v6, v6, v27, vcc
	v_fma_f32 v27, v28, s11, 0
	v_cmp_class_f32_e32 vcc, v9, v5
	v_cndmask_b32_e32 v6, v6, v9, vcc
	v_mul_f32_e32 v9, v27, v27
	v_add_f32_e32 v8, 1.0, v26
	v_cmp_nge_f32_e32 vcc, 1.0, v6
	v_fmac_f32_e32 v9, v31, v31
	v_cndmask_b32_e32 v6, v8, v26, vcc
	v_mul_f32_e32 v8, 0x4f800000, v9
	v_cmp_gt_f32_e32 vcc, s14, v9
	v_cndmask_b32_e32 v8, v9, v8, vcc
	v_sqrt_f32_e32 v9, v8
	s_add_i32 s8, s8, -2
	v_add_f32_e32 v26, 1.0, v6
	s_cmp_lg_u32 s8, 0
	v_add_u32_e32 v27, -1, v9
	v_add_u32_e32 v28, 1, v9
	v_fma_f32 v29, -v27, v9, v8
	v_fma_f32 v30, -v28, v9, v8
	v_cmp_ge_f32_e64 s[4:5], 0, v29
	v_cndmask_b32_e64 v9, v9, v27, s[4:5]
	v_cmp_lt_f32_e64 s[4:5], 0, v30
	v_cndmask_b32_e64 v9, v9, v28, s[4:5]
	v_mul_f32_e32 v27, 0x37800000, v9
	v_cndmask_b32_e32 v9, v9, v27, vcc
	v_cmp_class_f32_e32 vcc, v8, v5
	v_cndmask_b32_e32 v8, v9, v8, vcc
	v_cmp_nge_f32_e32 vcc, 1.0, v8
	v_cndmask_b32_e32 v26, v26, v6, vcc
	s_cbranch_scc1 .LBB29_439
; %bb.440:
	v_add_u32_e32 v6, 0x927c00, v4
	v_cmp_ne_u32_e32 vcc, 0, v6
	v_mov_b32_e32 v7, 1
	s_and_saveexec_b64 s[8:9], vcc
	s_cbranch_execz .LBB29_460
; %bb.441:
	v_mov_b32_e32 v8, 1
	v_mov_b32_e32 v7, 0
	s_mov_b64 s[14:15], 0xbc8f
	s_mov_b64 s[10:11], 0
	v_mov_b32_e32 v9, 0
	s_brev_b32 s19, -2
	s_mov_b32 s20, 0x7ffffffe
	v_mov_b32_e32 v5, 0xfffff800
	s_movk_i32 s21, 0x401
	s_branch .LBB29_443
.LBB29_442:                             ;   in Loop: Header=BB29_443 Depth=1
	s_or_b64 exec, exec, s[16:17]
	s_mul_i32 s4, s14, s15
	s_mul_hi_u32 s5, s14, s14
	s_add_i32 s5, s5, s4
	s_add_i32 s4, s5, s4
	s_mul_i32 s5, s14, s14
	s_add_u32 s14, 0x402, s21
	s_addc_u32 s15, 0, 0
	v_add_co_u32_e32 v27, vcc, s14, v5
	s_cmp_lg_u64 vcc, 0
	v_readfirstlane_b32 s16, v27
	s_addc_u32 s14, s15, 1
	s_mul_hi_u32 s17, s16, 0x80000001
	s_mul_i32 s15, s14, 0x80000001
	s_sub_i32 s17, s17, s16
	s_add_i32 s17, s17, s15
	s_mul_i32 s23, s16, 0x80000001
	s_mul_hi_u32 s15, s16, s17
	s_mul_i32 s22, s16, s17
	s_mul_hi_u32 s16, s16, s23
	s_add_u32 s16, s16, s22
	s_addc_u32 s15, 0, s15
	s_mul_hi_u32 s24, s14, s23
	s_mul_i32 s23, s14, s23
	s_add_u32 s16, s16, s23
	s_mul_hi_u32 s22, s14, s17
	s_addc_u32 s15, s15, s24
	s_addc_u32 s16, s22, 0
	s_mul_i32 s17, s14, s17
	s_add_u32 s15, s15, s17
	s_addc_u32 s16, 0, s16
	v_add_co_u32_e32 v27, vcc, s15, v27
	s_cmp_lg_u64 vcc, 0
	s_addc_u32 s14, s14, s16
	v_readfirstlane_b32 s17, v27
	s_mul_i32 s16, s5, s14
	s_mul_hi_u32 s22, s5, s17
	s_mul_hi_u32 s15, s5, s14
	s_add_u32 s16, s22, s16
	s_addc_u32 s15, 0, s15
	s_mul_hi_u32 s23, s4, s17
	s_mul_i32 s17, s4, s17
	s_add_u32 s16, s16, s17
	s_mul_hi_u32 s22, s4, s14
	s_addc_u32 s15, s15, s23
	s_addc_u32 s16, s22, 0
	s_mul_i32 s14, s4, s14
	s_add_u32 s14, s15, s14
	s_addc_u32 s15, 0, s16
	s_mul_hi_u32 s16, s14, 0x7fffffff
	s_mul_i32 s14, s14, 0x7fffffff
	s_mul_i32 s15, s15, 0x7fffffff
	v_mov_b32_e32 v27, s14
	s_add_i32 s16, s16, s15
	v_sub_co_u32_e32 v27, vcc, s5, v27
	s_cmp_lg_u64 vcc, 0
	s_subb_u32 s4, s4, s16
	v_subrev_co_u32_e32 v30, vcc, s19, v27
	s_cmp_lg_u64 vcc, 0
	s_subb_u32 s5, s4, 0
	v_subrev_co_u32_e32 v31, vcc, s19, v30
	s_cmp_lg_u64 vcc, 0
	s_subb_u32 s14, s5, 0
	v_readfirstlane_b32 s15, v30
	s_cmp_gt_u32 s15, 0x7ffffffe
	s_cselect_b32 s16, -1, 0
	s_cmp_eq_u32 s5, 0
	s_cselect_b32 s16, s16, -1
	s_cmp_lg_u32 s16, 0
	s_cselect_b32 s5, s14, s5
	v_readfirstlane_b32 s14, v31
	v_readfirstlane_b32 s16, v27
	s_cselect_b32 s14, s14, s15
	s_cmp_gt_u32 s16, 0x7ffffffe
	s_cselect_b32 s15, -1, 0
	s_cmp_eq_u32 s4, 0
	s_cselect_b32 s15, s15, -1
	v_lshrrev_b64 v[28:29], 1, v[6:7]
	s_cmp_lg_u32 s15, 0
	v_cmp_gt_u64_e32 vcc, 2, v[6:7]
	s_cselect_b32 s15, s5, s4
	s_cselect_b32 s14, s14, s16
	s_or_b64 s[10:11], vcc, s[10:11]
	v_pk_mov_b32 v[6:7], v[28:29], v[28:29] op_sel:[0,1]
	s_andn2_b64 exec, exec, s[10:11]
	s_cbranch_execz .LBB29_459
.LBB29_443:                             ; =>This Inner Loop Header: Depth=1
	v_and_b32_e32 v27, 1, v6
	v_cmp_eq_u32_e32 vcc, 1, v27
	s_and_saveexec_b64 s[16:17], vcc
	s_cbranch_execz .LBB29_442
; %bb.444:                              ;   in Loop: Header=BB29_443 Depth=1
	v_mul_lo_u32 v27, s15, v8
	v_mul_lo_u32 v28, s14, v9
	v_mad_u64_u32 v[8:9], s[4:5], s14, v8, 0
	s_add_u32 s4, 0x402, s21
	v_add3_u32 v9, v9, v28, v27
	s_addc_u32 s5, 0, 0
	v_add_co_u32_e32 v27, vcc, s4, v5
	s_cmp_lg_u64 vcc, 0
	v_readfirstlane_b32 s22, v27
	s_addc_u32 s4, s5, 1
	s_mul_hi_u32 s23, s22, 0x80000001
	s_mul_i32 s5, s4, 0x80000001
	s_sub_i32 s23, s23, s22
	s_add_i32 s23, s23, s5
	s_mul_i32 s25, s22, 0x80000001
	s_mul_hi_u32 s5, s22, s23
	s_mul_i32 s24, s22, s23
	s_mul_hi_u32 s22, s22, s25
	s_add_u32 s22, s22, s24
	s_addc_u32 s5, 0, s5
	s_mul_hi_u32 s26, s4, s25
	s_mul_i32 s25, s4, s25
	s_add_u32 s22, s22, s25
	s_mul_hi_u32 s24, s4, s23
	s_addc_u32 s5, s5, s26
	s_addc_u32 s22, s24, 0
	s_mul_i32 s23, s4, s23
	s_add_u32 s5, s5, s23
	s_addc_u32 s22, 0, s22
	v_add_co_u32_e32 v27, vcc, s5, v27
	s_cmp_lg_u64 vcc, 0
	s_addc_u32 s22, s4, s22
	v_mad_u64_u32 v[28:29], s[4:5], v8, s22, 0
	v_mul_hi_u32 v30, v8, v27
	v_add_co_u32_e32 v32, vcc, v30, v28
	v_addc_co_u32_e32 v33, vcc, 0, v29, vcc
	v_mad_u64_u32 v[30:31], s[4:5], v9, v27, 0
	v_add_co_u32_e32 v27, vcc, v32, v30
	v_mad_u64_u32 v[28:29], s[4:5], v9, s22, 0
	v_addc_co_u32_e32 v27, vcc, v33, v31, vcc
	v_addc_co_u32_e32 v29, vcc, 0, v29, vcc
	v_add_co_u32_e32 v27, vcc, v27, v28
	v_addc_co_u32_e32 v31, vcc, 0, v29, vcc
	v_mad_u64_u32 v[28:29], s[4:5], v27, s19, 0
	v_mov_b32_e32 v30, v29
	v_mad_u64_u32 v[30:31], s[4:5], v31, s19, v[30:31]
	v_sub_co_u32_e32 v8, vcc, v8, v28
	v_subb_co_u32_e32 v9, vcc, v9, v30, vcc
	v_subrev_co_u32_e32 v27, vcc, s19, v8
	v_subbrev_co_u32_e32 v28, vcc, 0, v9, vcc
	v_subrev_co_u32_e32 v29, vcc, s19, v27
	v_subbrev_co_u32_e32 v30, vcc, 0, v28, vcc
	v_cmp_lt_u32_e32 vcc, s20, v27
	v_cndmask_b32_e64 v31, 0, -1, vcc
	v_cmp_eq_u32_e32 vcc, 0, v28
	v_cndmask_b32_e32 v31, -1, v31, vcc
	v_cmp_ne_u32_e32 vcc, 0, v31
	v_cmp_lt_u32_e64 s[4:5], s20, v8
	v_cndmask_b32_e32 v28, v28, v30, vcc
	v_cndmask_b32_e64 v30, 0, -1, s[4:5]
	v_cmp_eq_u32_e64 s[4:5], 0, v9
	v_cndmask_b32_e64 v30, -1, v30, s[4:5]
	v_cmp_ne_u32_e64 s[4:5], 0, v30
	v_cndmask_b32_e32 v27, v27, v29, vcc
	v_cndmask_b32_e64 v9, v9, v28, s[4:5]
	v_cndmask_b32_e64 v8, v8, v27, s[4:5]
	s_branch .LBB29_442
.LBB29_445:
	s_or_b64 exec, exec, s[10:11]
	s_movk_i32 s4, 0x401
	s_add_u32 s4, 0x402, s4
	v_mov_b32_e32 v2, 0xfffff800
	s_addc_u32 s5, 0, 0
	v_add_co_u32_e32 v2, vcc, s4, v2
	s_cmp_lg_u64 vcc, 0
	v_readfirstlane_b32 s10, v2
	s_addc_u32 s4, s5, 1
	s_mul_hi_u32 s11, s10, 0x80000001
	s_mul_i32 s5, s4, 0x80000001
	s_sub_i32 s11, s11, s10
	s_add_i32 s11, s11, s5
	s_mul_i32 s15, s10, 0x80000001
	s_mul_hi_u32 s5, s10, s11
	s_mul_i32 s14, s10, s11
	s_mul_hi_u32 s10, s10, s15
	s_add_u32 s10, s10, s14
	s_addc_u32 s5, 0, s5
	s_mul_hi_u32 s16, s4, s15
	s_mul_i32 s15, s4, s15
	s_add_u32 s10, s10, s15
	s_mul_hi_u32 s14, s4, s11
	s_addc_u32 s5, s5, s16
	s_addc_u32 s10, s14, 0
	s_mul_i32 s11, s4, s11
	s_add_u32 s5, s5, s11
	s_addc_u32 s10, 0, s10
	v_add_co_u32_e32 v7, vcc, s5, v2
	s_cmp_lg_u64 vcc, 0
	s_addc_u32 s10, s4, s10
	v_mad_u64_u32 v[2:3], s[4:5], v4, s10, 0
	v_mul_hi_u32 v28, v4, v7
	v_add_co_u32_e32 v30, vcc, v28, v2
	v_addc_co_u32_e32 v32, vcc, 0, v3, vcc
	v_mad_u64_u32 v[28:29], s[4:5], v5, v7, 0
	v_add_co_u32_e32 v7, vcc, v30, v28
	v_mad_u64_u32 v[2:3], s[4:5], v5, s10, 0
	v_addc_co_u32_e32 v7, vcc, v32, v29, vcc
	v_addc_co_u32_e32 v3, vcc, 0, v3, vcc
	v_add_co_u32_e32 v2, vcc, v7, v2
	s_brev_b32 s10, -2
	v_addc_co_u32_e32 v7, vcc, 0, v3, vcc
	v_mad_u64_u32 v[2:3], s[4:5], v2, s10, 0
	v_mov_b32_e32 v28, v3
	v_mad_u64_u32 v[28:29], s[4:5], v7, s10, v[28:29]
	v_sub_co_u32_e32 v2, vcc, v4, v2
	v_subb_co_u32_e32 v3, vcc, v5, v28, vcc
	v_subrev_co_u32_e32 v4, vcc, 0x7fffffff, v2
	v_subbrev_co_u32_e32 v5, vcc, 0, v3, vcc
	s_mov_b32 s4, 0x7ffffffe
	v_cmp_lt_u32_e32 vcc, s4, v4
	v_cndmask_b32_e64 v7, 0, -1, vcc
	v_cmp_eq_u32_e32 vcc, 0, v5
	v_cndmask_b32_e32 v5, -1, v7, vcc
	v_add_u32_e32 v7, 0x80000001, v4
	v_cmp_ne_u32_e32 vcc, 0, v5
	v_cndmask_b32_e32 v4, v4, v7, vcc
	v_cmp_lt_u32_e32 vcc, s4, v2
	v_cndmask_b32_e64 v5, 0, -1, vcc
	v_cmp_eq_u32_e32 vcc, 0, v3
	v_cndmask_b32_e32 v3, -1, v5, vcc
	v_cmp_ne_u32_e32 vcc, 0, v3
	v_cndmask_b32_e32 v4, v2, v4, vcc
.LBB29_446:
	s_or_b64 exec, exec, s[8:9]
	s_movk_i32 s8, 0x1388
	v_mov_b32_e32 v2, 0
	s_mov_b32 s9, 0xbc8f1391
	s_mov_b32 s10, 0xbc8f
	s_brev_b32 s11, 12
	s_mov_b32 s14, 0xf800000
	v_mov_b32_e32 v3, 0x260
.LBB29_447:                             ; =>This Inner Loop Header: Depth=1
	v_mul_hi_u32 v5, v4, s9
	v_lshrrev_b32_e32 v5, 15, v5
	v_mul_u32_u24_e32 v28, 0xadc8, v5
	v_sub_u32_e32 v4, v4, v28
	v_mul_u32_u24_e32 v5, 0xd47, v5
	v_mul_lo_u32 v4, v4, s10
	v_xor_b32_e32 v28, 0x7fffffff, v5
	v_sub_u32_e32 v29, 0, v5
	v_cmp_lt_u32_e32 vcc, v4, v5
	v_cndmask_b32_e32 v5, v29, v28, vcc
	v_add_u32_e32 v4, v5, v4
	v_mul_hi_u32 v28, v4, s9
	v_lshrrev_b32_e32 v28, 15, v28
	v_mul_u32_u24_e32 v29, 0xadc8, v28
	v_add_u32_e32 v5, -1, v4
	v_sub_u32_e32 v4, v4, v29
	v_mul_u32_u24_e32 v28, 0xd47, v28
	v_mul_lo_u32 v4, v4, s10
	v_xor_b32_e32 v29, 0x7fffffff, v28
	v_sub_u32_e32 v30, 0, v28
	v_cmp_lt_u32_e32 vcc, v4, v28
	v_cndmask_b32_e32 v28, v30, v29, vcc
	v_add_u32_e32 v4, v28, v4
	v_mul_hi_u32 v29, v4, s9
	v_add_u32_e32 v28, -1, v4
	v_lshrrev_b32_e32 v29, 15, v29
	v_cvt_f32_u32_e32 v28, v28
	v_mul_u32_u24_e32 v30, 0xadc8, v29
	v_cvt_f32_u32_e32 v5, v5
	v_sub_u32_e32 v4, v4, v30
	v_mul_u32_u24_e32 v29, 0xd47, v29
	v_mul_lo_u32 v4, v4, s10
	v_xor_b32_e32 v30, 0x7fffffff, v29
	v_sub_u32_e32 v32, 0, v29
	v_cmp_lt_u32_e32 vcc, v4, v29
	v_fma_f32 v28, v28, s11, 0
	v_cndmask_b32_e32 v29, v32, v30, vcc
	v_fma_f32 v5, v5, s11, 0
	v_mul_f32_e32 v28, v28, v28
	v_add_u32_e32 v4, v29, v4
	v_fmac_f32_e32 v28, v5, v5
	v_mul_hi_u32 v29, v4, s9
	v_mul_f32_e32 v30, 0x4f800000, v28
	v_lshrrev_b32_e32 v29, 15, v29
	v_cmp_gt_f32_e32 vcc, s14, v28
	v_cndmask_b32_e32 v28, v28, v30, vcc
	v_mul_u32_u24_e32 v30, 0xadc8, v29
	v_add_u32_e32 v5, -1, v4
	v_sqrt_f32_e32 v32, v28
	v_sub_u32_e32 v4, v4, v30
	v_mul_u32_u24_e32 v29, 0xd47, v29
	v_mul_lo_u32 v4, v4, s10
	v_xor_b32_e32 v30, 0x7fffffff, v29
	v_sub_u32_e32 v33, 0, v29
	v_cmp_lt_u32_e64 s[4:5], v4, v29
	v_cndmask_b32_e64 v29, v33, v30, s[4:5]
	v_add_u32_e32 v4, v29, v4
	v_add_u32_e32 v29, -1, v32
	v_add_u32_e32 v30, 1, v32
	v_add_u32_e32 v33, -1, v4
	v_fma_f32 v34, -v29, v32, v28
	v_fma_f32 v35, -v30, v32, v28
	v_cvt_f32_u32_e32 v33, v33
	v_cmp_ge_f32_e64 s[4:5], 0, v34
	v_cvt_f32_u32_e32 v5, v5
	v_cndmask_b32_e64 v29, v32, v29, s[4:5]
	v_cmp_lt_f32_e64 s[4:5], 0, v35
	v_cndmask_b32_e64 v29, v29, v30, s[4:5]
	v_mul_f32_e32 v30, 0x37800000, v29
	v_cndmask_b32_e32 v29, v29, v30, vcc
	v_fma_f32 v30, v33, s11, 0
	v_cmp_class_f32_e32 vcc, v28, v3
	v_fma_f32 v5, v5, s11, 0
	v_cndmask_b32_e32 v28, v29, v28, vcc
	v_mul_f32_e32 v29, v30, v30
	v_add_f32_e32 v7, 1.0, v2
	v_cmp_nge_f32_e32 vcc, 1.0, v28
	v_fmac_f32_e32 v29, v5, v5
	v_cndmask_b32_e32 v2, v7, v2, vcc
	v_mul_f32_e32 v5, 0x4f800000, v29
	v_cmp_gt_f32_e32 vcc, s14, v29
	v_cndmask_b32_e32 v5, v29, v5, vcc
	v_sqrt_f32_e32 v28, v5
	s_add_i32 s8, s8, -2
	v_add_f32_e32 v7, 1.0, v2
	s_cmp_lg_u32 s8, 0
	v_add_u32_e32 v29, -1, v28
	v_add_u32_e32 v30, 1, v28
	v_fma_f32 v32, -v29, v28, v5
	v_fma_f32 v33, -v30, v28, v5
	v_cmp_ge_f32_e64 s[4:5], 0, v32
	v_cndmask_b32_e64 v28, v28, v29, s[4:5]
	v_cmp_lt_f32_e64 s[4:5], 0, v33
	v_cndmask_b32_e64 v28, v28, v30, s[4:5]
	v_mul_f32_e32 v29, 0x37800000, v28
	v_cndmask_b32_e32 v28, v28, v29, vcc
	v_cmp_class_f32_e32 vcc, v5, v3
	v_cndmask_b32_e32 v5, v28, v5, vcc
	v_cmp_nge_f32_e32 vcc, 1.0, v5
	v_cndmask_b32_e32 v2, v7, v2, vcc
	s_cbranch_scc1 .LBB29_447
; %bb.448:
	v_mul_f32_e32 v3, 4.0, v6
	s_mov_b32 s4, 0x459c4000
	v_div_scale_f32 v4, s[8:9], s4, s4, v3
	v_rcp_f32_e32 v5, v4
	v_mul_f32_e32 v23, 4.0, v23
	v_mul_f32_e32 v22, 4.0, v22
	;; [unrolled: 1-line block ×3, first 2 shown]
	v_fma_f32 v6, -v4, v5, 1.0
	v_fmac_f32_e32 v5, v6, v5
	v_div_scale_f32 v6, vcc, v3, s4, v3
	v_mul_f32_e32 v7, v6, v5
	v_fma_f32 v28, -v4, v7, v6
	v_fmac_f32_e32 v7, v28, v5
	v_fma_f32 v4, -v4, v7, v6
	v_mul_f32_e32 v6, 4.0, v25
	v_div_scale_f32 v25, s[8:9], s4, s4, v6
	v_rcp_f32_e32 v28, v25
	v_div_fmas_f32 v4, v4, v5, v7
	v_div_fixup_f32 v3, v4, s4, v3
	v_mul_f32_e32 v16, 4.0, v16
	v_fma_f32 v4, -v25, v28, 1.0
	v_fmac_f32_e32 v28, v4, v28
	v_div_scale_f32 v4, vcc, v6, s4, v6
	v_mul_f32_e32 v5, v4, v28
	v_fma_f32 v7, -v25, v5, v4
	v_fmac_f32_e32 v5, v7, v28
	v_mul_f32_e32 v7, 4.0, v24
	v_div_scale_f32 v24, s[8:9], s4, s4, v7
	v_fma_f32 v4, -v25, v5, v4
	v_rcp_f32_e32 v25, v24
	v_div_fmas_f32 v4, v4, v28, v5
	v_div_fixup_f32 v4, v4, s4, v6
	v_mul_f32_e32 v15, 4.0, v15
	v_fma_f32 v5, -v24, v25, 1.0
	v_fmac_f32_e32 v25, v5, v25
	v_div_scale_f32 v5, vcc, v7, s4, v7
	v_mul_f32_e32 v6, v5, v25
	v_fma_f32 v28, -v24, v6, v5
	v_fmac_f32_e32 v6, v28, v25
	v_fma_f32 v5, -v24, v6, v5
	v_div_scale_f32 v24, s[8:9], s4, s4, v23
	v_rcp_f32_e32 v28, v24
	v_div_fmas_f32 v5, v5, v25, v6
	v_div_fixup_f32 v5, v5, s4, v7
	v_mul_f32_e32 v14, 4.0, v14
	v_fma_f32 v6, -v24, v28, 1.0
	v_fmac_f32_e32 v28, v6, v28
	v_div_scale_f32 v6, vcc, v23, s4, v23
	v_mul_f32_e32 v7, v6, v28
	v_fma_f32 v25, -v24, v7, v6
	v_fmac_f32_e32 v7, v25, v28
	v_fma_f32 v6, -v24, v7, v6
	v_div_scale_f32 v24, s[8:9], s4, s4, v22
	;; [unrolled: 12-line block ×9, first 2 shown]
	v_rcp_f32_e32 v28, v24
	v_div_fmas_f32 v22, v22, v25, v23
	v_div_fixup_f32 v12, v22, s4, v12
	v_fma_f32 v22, -v24, v28, 1.0
	v_fmac_f32_e32 v28, v22, v28
	v_div_scale_f32 v22, vcc, v11, s4, v11
	v_mul_f32_e32 v23, v22, v28
	v_fma_f32 v25, -v24, v23, v22
	v_fmac_f32_e32 v23, v25, v28
	v_fma_f32 v22, -v24, v23, v22
	v_div_scale_f32 v24, s[8:9], s4, s4, v10
	v_rcp_f32_e32 v25, v24
	v_div_fmas_f32 v22, v22, v28, v23
	v_div_fixup_f32 v11, v22, s4, v11
	v_fma_f32 v22, -v24, v25, 1.0
	v_fmac_f32_e32 v25, v22, v25
	v_div_scale_f32 v22, vcc, v10, s4, v10
	v_mul_f32_e32 v23, v22, v25
	v_fma_f32 v28, -v24, v23, v22
	v_fmac_f32_e32 v23, v28, v25
	v_fma_f32 v22, -v24, v23, v22
	v_div_scale_f32 v24, s[8:9], s4, s4, v9
	;; [unrolled: 11-line block ×3, first 2 shown]
	v_rcp_f32_e32 v25, v24
	v_div_fmas_f32 v22, v22, v28, v23
	v_div_fixup_f32 v9, v22, s4, v9
	v_fma_f32 v22, -v24, v25, 1.0
	v_fmac_f32_e32 v25, v22, v25
	v_div_scale_f32 v22, vcc, v8, s4, v8
	v_mul_f32_e32 v23, v22, v25
	v_fma_f32 v28, -v24, v23, v22
	v_fmac_f32_e32 v23, v28, v25
	v_fma_f32 v22, -v24, v23, v22
	v_div_fmas_f32 v22, v22, v25, v23
	v_div_fixup_f32 v8, v22, s4, v8
	v_add_f32_e32 v8, v8, v9
	v_div_scale_f32 v24, s[8:9], s4, s4, v2
	v_add_f32_e32 v8, v8, v10
	v_rcp_f32_e32 v28, v24
	v_add_f32_e32 v8, v8, v11
	v_add_f32_e32 v8, v8, v12
	;; [unrolled: 1-line block ×4, first 2 shown]
	v_fma_f32 v22, -v24, v28, 1.0
	v_add_f32_e32 v8, v8, v15
	v_fmac_f32_e32 v28, v22, v28
	v_div_scale_f32 v22, vcc, v2, s4, v2
	v_add_f32_e32 v8, v8, v16
	v_mul_f32_e32 v23, v22, v28
	v_add_f32_e32 v8, v8, v17
	v_fma_f32 v25, -v24, v23, v22
	v_add_f32_e32 v7, v8, v7
	v_fmac_f32_e32 v23, v25, v28
	v_add_f32_e32 v6, v7, v6
	v_fma_f32 v22, -v24, v23, v22
	v_add_f32_e32 v5, v6, v5
	v_div_fmas_f32 v22, v22, v28, v23
	v_add_f32_e32 v4, v5, v4
	v_div_fixup_f32 v2, v22, s4, v2
	v_add_f32_e32 v3, v4, v3
	v_add_f32_e32 v3, v3, v2
	v_mbcnt_lo_u32_b32 v2, -1, 0
	v_mbcnt_hi_u32_b32 v2, -1, v2
	v_add_f32_dpp v3, v3, v3 quad_perm:[1,0,3,2] row_mask:0xf bank_mask:0xf bound_ctrl:1
	v_cmp_eq_u32_e32 vcc, 0, v2
	s_nop 0
	v_add_f32_dpp v3, v3, v3 quad_perm:[2,3,0,1] row_mask:0xf bank_mask:0xf bound_ctrl:1
	s_nop 1
	v_add_f32_dpp v3, v3, v3 row_ror:4 row_mask:0xf bank_mask:0xf bound_ctrl:1
	s_nop 1
	v_add_f32_dpp v3, v3, v3 row_ror:8 row_mask:0xf bank_mask:0xf bound_ctrl:1
	s_nop 1
	v_add_f32_dpp v3, v3, v3 row_bcast:15 row_mask:0xf bank_mask:0xf bound_ctrl:1
	s_nop 1
	v_add_f32_dpp v4, v3, v3 row_bcast:31 row_mask:0xf bank_mask:0xf bound_ctrl:1
	v_lshlrev_b32_e32 v3, 2, v2
	v_or_b32_e32 v5, 0xfc, v3
	ds_bpermute_b32 v4, v5, v4
	s_and_saveexec_b64 s[4:5], vcc
	s_cbranch_execz .LBB29_450
; %bb.449:
	v_lshrrev_b32_e32 v5, 4, v27
	v_and_b32_e32 v5, 60, v5
	s_waitcnt lgkmcnt(0)
	ds_write_b32 v5, v4
.LBB29_450:
	s_or_b64 exec, exec, s[4:5]
	v_cmp_gt_u32_e32 vcc, 64, v27
	s_waitcnt lgkmcnt(0)
	s_barrier
	s_and_saveexec_b64 s[4:5], vcc
	s_cbranch_execz .LBB29_452
; %bb.451:
	v_and_b32_e32 v2, 1, v2
	v_lshlrev_b32_e32 v2, 2, v2
	ds_read_b32 v2, v2
	v_or_b32_e32 v3, 4, v3
	s_waitcnt lgkmcnt(0)
	ds_bpermute_b32 v3, v3, v2
	s_waitcnt lgkmcnt(0)
	v_add_f32_e32 v4, v2, v3
.LBB29_452:
	s_or_b64 exec, exec, s[4:5]
                                        ; implicit-def: $vgpr29
	s_andn2_saveexec_b64 s[42:43], s[6:7]
	s_cbranch_execz .LBB29_23
.LBB29_453:
	v_subrev_u32_e32 v28, s18, v18
	v_cmp_lt_u32_e32 vcc, v27, v28
                                        ; implicit-def: $vgpr2_vgpr3_vgpr4_vgpr5_vgpr6_vgpr7_vgpr8_vgpr9_vgpr10_vgpr11_vgpr12_vgpr13_vgpr14_vgpr15_vgpr16_vgpr17
	s_and_saveexec_b64 s[6:7], vcc
	s_cbranch_execz .LBB29_644
; %bb.454:
	v_add_u32_e32 v2, v29, v27
	s_movk_i32 s4, 0x1388
	v_mul_lo_u32 v2, v2, s4
	v_cmp_ne_u32_e32 vcc, 0, v2
	v_mov_b32_e32 v4, 1
	s_and_saveexec_b64 s[8:9], vcc
	s_cbranch_execz .LBB29_641
; %bb.455:
	v_mov_b32_e32 v4, 1
	v_mov_b32_e32 v3, 0
	s_mov_b64 s[14:15], 0xbc8f
	s_mov_b64 s[10:11], 0
	v_mov_b32_e32 v5, 0
	s_brev_b32 s18, -2
	s_mov_b32 s19, 0x7ffffffe
	v_mov_b32_e32 v6, 0xfffff800
	s_movk_i32 s20, 0x401
	s_branch .LBB29_457
.LBB29_456:                             ;   in Loop: Header=BB29_457 Depth=1
	s_or_b64 exec, exec, s[16:17]
	s_mul_i32 s4, s14, s15
	s_mul_hi_u32 s5, s14, s14
	s_add_i32 s5, s5, s4
	s_add_i32 s4, s5, s4
	s_mul_i32 s5, s14, s14
	s_add_u32 s14, 0x402, s20
	s_addc_u32 s15, 0, 0
	v_add_co_u32_e32 v7, vcc, s14, v6
	s_cmp_lg_u64 vcc, 0
	v_readfirstlane_b32 s16, v7
	s_addc_u32 s14, s15, 1
	s_mul_hi_u32 s17, s16, 0x80000001
	s_mul_i32 s15, s14, 0x80000001
	s_sub_i32 s17, s17, s16
	s_add_i32 s17, s17, s15
	s_mul_i32 s22, s16, 0x80000001
	s_mul_hi_u32 s15, s16, s17
	s_mul_i32 s21, s16, s17
	s_mul_hi_u32 s16, s16, s22
	s_add_u32 s16, s16, s21
	s_addc_u32 s15, 0, s15
	s_mul_hi_u32 s23, s14, s22
	s_mul_i32 s22, s14, s22
	s_add_u32 s16, s16, s22
	s_mul_hi_u32 s21, s14, s17
	s_addc_u32 s15, s15, s23
	s_addc_u32 s16, s21, 0
	s_mul_i32 s17, s14, s17
	s_add_u32 s15, s15, s17
	s_addc_u32 s16, 0, s16
	v_add_co_u32_e32 v7, vcc, s15, v7
	s_cmp_lg_u64 vcc, 0
	s_addc_u32 s14, s14, s16
	v_readfirstlane_b32 s17, v7
	s_mul_i32 s16, s5, s14
	s_mul_hi_u32 s21, s5, s17
	s_mul_hi_u32 s15, s5, s14
	s_add_u32 s16, s21, s16
	s_addc_u32 s15, 0, s15
	s_mul_hi_u32 s22, s4, s17
	s_mul_i32 s17, s4, s17
	s_add_u32 s16, s16, s17
	s_mul_hi_u32 s21, s4, s14
	s_addc_u32 s15, s15, s22
	s_addc_u32 s16, s21, 0
	s_mul_i32 s14, s4, s14
	s_add_u32 s14, s15, s14
	s_addc_u32 s15, 0, s16
	s_mul_hi_u32 s16, s14, 0x7fffffff
	s_mul_i32 s14, s14, 0x7fffffff
	s_mul_i32 s15, s15, 0x7fffffff
	v_mov_b32_e32 v7, s14
	s_add_i32 s16, s16, s15
	v_sub_co_u32_e32 v7, vcc, s5, v7
	s_cmp_lg_u64 vcc, 0
	s_subb_u32 s4, s4, s16
	v_subrev_co_u32_e32 v10, vcc, s18, v7
	s_cmp_lg_u64 vcc, 0
	s_subb_u32 s5, s4, 0
	v_subrev_co_u32_e32 v11, vcc, s18, v10
	s_cmp_lg_u64 vcc, 0
	s_subb_u32 s14, s5, 0
	v_readfirstlane_b32 s15, v10
	s_cmp_gt_u32 s15, 0x7ffffffe
	s_cselect_b32 s16, -1, 0
	s_cmp_eq_u32 s5, 0
	s_cselect_b32 s16, s16, -1
	s_cmp_lg_u32 s16, 0
	s_cselect_b32 s5, s14, s5
	v_readfirstlane_b32 s14, v11
	v_readfirstlane_b32 s16, v7
	s_cselect_b32 s14, s14, s15
	s_cmp_gt_u32 s16, 0x7ffffffe
	s_cselect_b32 s15, -1, 0
	s_cmp_eq_u32 s4, 0
	s_cselect_b32 s15, s15, -1
	v_lshrrev_b64 v[8:9], 1, v[2:3]
	s_cmp_lg_u32 s15, 0
	v_cmp_gt_u64_e32 vcc, 2, v[2:3]
	s_cselect_b32 s15, s5, s4
	s_cselect_b32 s14, s14, s16
	s_or_b64 s[10:11], vcc, s[10:11]
	v_pk_mov_b32 v[2:3], v[8:9], v[8:9] op_sel:[0,1]
	s_andn2_b64 exec, exec, s[10:11]
	s_cbranch_execz .LBB29_640
.LBB29_457:                             ; =>This Inner Loop Header: Depth=1
	v_and_b32_e32 v7, 1, v2
	v_cmp_eq_u32_e32 vcc, 1, v7
	s_and_saveexec_b64 s[16:17], vcc
	s_cbranch_execz .LBB29_456
; %bb.458:                              ;   in Loop: Header=BB29_457 Depth=1
	v_mul_lo_u32 v7, s15, v4
	v_mul_lo_u32 v8, s14, v5
	v_mad_u64_u32 v[4:5], s[4:5], s14, v4, 0
	s_add_u32 s4, 0x402, s20
	v_add3_u32 v5, v5, v8, v7
	s_addc_u32 s5, 0, 0
	v_add_co_u32_e32 v7, vcc, s4, v6
	s_cmp_lg_u64 vcc, 0
	v_readfirstlane_b32 s21, v7
	s_addc_u32 s4, s5, 1
	s_mul_hi_u32 s22, s21, 0x80000001
	s_mul_i32 s5, s4, 0x80000001
	s_sub_i32 s22, s22, s21
	s_add_i32 s22, s22, s5
	s_mul_i32 s24, s21, 0x80000001
	s_mul_hi_u32 s5, s21, s22
	s_mul_i32 s23, s21, s22
	s_mul_hi_u32 s21, s21, s24
	s_add_u32 s21, s21, s23
	s_addc_u32 s5, 0, s5
	s_mul_hi_u32 s25, s4, s24
	s_mul_i32 s24, s4, s24
	s_add_u32 s21, s21, s24
	s_mul_hi_u32 s23, s4, s22
	s_addc_u32 s5, s5, s25
	s_addc_u32 s21, s23, 0
	s_mul_i32 s22, s4, s22
	s_add_u32 s5, s5, s22
	s_addc_u32 s21, 0, s21
	v_add_co_u32_e32 v7, vcc, s5, v7
	s_cmp_lg_u64 vcc, 0
	s_addc_u32 s21, s4, s21
	v_mad_u64_u32 v[8:9], s[4:5], v4, s21, 0
	v_mul_hi_u32 v10, v4, v7
	v_add_co_u32_e32 v12, vcc, v10, v8
	v_addc_co_u32_e32 v13, vcc, 0, v9, vcc
	v_mad_u64_u32 v[10:11], s[4:5], v5, v7, 0
	v_add_co_u32_e32 v7, vcc, v12, v10
	v_mad_u64_u32 v[8:9], s[4:5], v5, s21, 0
	v_addc_co_u32_e32 v7, vcc, v13, v11, vcc
	v_addc_co_u32_e32 v9, vcc, 0, v9, vcc
	v_add_co_u32_e32 v7, vcc, v7, v8
	v_addc_co_u32_e32 v11, vcc, 0, v9, vcc
	v_mad_u64_u32 v[8:9], s[4:5], v7, s18, 0
	v_mov_b32_e32 v10, v9
	v_mad_u64_u32 v[10:11], s[4:5], v11, s18, v[10:11]
	v_sub_co_u32_e32 v4, vcc, v4, v8
	v_subb_co_u32_e32 v5, vcc, v5, v10, vcc
	v_subrev_co_u32_e32 v7, vcc, s18, v4
	v_subbrev_co_u32_e32 v8, vcc, 0, v5, vcc
	v_subrev_co_u32_e32 v9, vcc, s18, v7
	v_subbrev_co_u32_e32 v10, vcc, 0, v8, vcc
	v_cmp_lt_u32_e32 vcc, s19, v7
	v_cndmask_b32_e64 v11, 0, -1, vcc
	v_cmp_eq_u32_e32 vcc, 0, v8
	v_cndmask_b32_e32 v11, -1, v11, vcc
	v_cmp_ne_u32_e32 vcc, 0, v11
	v_cmp_lt_u32_e64 s[4:5], s19, v4
	v_cndmask_b32_e32 v8, v8, v10, vcc
	v_cndmask_b32_e64 v10, 0, -1, s[4:5]
	v_cmp_eq_u32_e64 s[4:5], 0, v5
	v_cndmask_b32_e64 v10, -1, v10, s[4:5]
	v_cmp_ne_u32_e64 s[4:5], 0, v10
	v_cndmask_b32_e32 v7, v7, v9, vcc
	v_cndmask_b32_e64 v5, v5, v8, s[4:5]
	v_cndmask_b32_e64 v4, v4, v7, s[4:5]
	s_branch .LBB29_456
.LBB29_459:
	s_or_b64 exec, exec, s[10:11]
	s_movk_i32 s4, 0x401
	s_add_u32 s4, 0x402, s4
	v_mov_b32_e32 v5, 0xfffff800
	s_addc_u32 s5, 0, 0
	v_add_co_u32_e32 v5, vcc, s4, v5
	s_cmp_lg_u64 vcc, 0
	v_readfirstlane_b32 s10, v5
	s_addc_u32 s4, s5, 1
	s_mul_hi_u32 s11, s10, 0x80000001
	s_mul_i32 s5, s4, 0x80000001
	s_sub_i32 s11, s11, s10
	s_add_i32 s11, s11, s5
	s_mul_i32 s15, s10, 0x80000001
	s_mul_hi_u32 s5, s10, s11
	s_mul_i32 s14, s10, s11
	s_mul_hi_u32 s10, s10, s15
	s_add_u32 s10, s10, s14
	s_addc_u32 s5, 0, s5
	s_mul_hi_u32 s16, s4, s15
	s_mul_i32 s15, s4, s15
	s_add_u32 s10, s10, s15
	s_mul_hi_u32 s14, s4, s11
	s_addc_u32 s5, s5, s16
	s_addc_u32 s10, s14, 0
	s_mul_i32 s11, s4, s11
	s_add_u32 s5, s5, s11
	s_addc_u32 s10, 0, s10
	v_add_co_u32_e32 v5, vcc, s5, v5
	s_cmp_lg_u64 vcc, 0
	s_addc_u32 s10, s4, s10
	v_mad_u64_u32 v[6:7], s[4:5], v8, s10, 0
	v_mul_hi_u32 v27, v8, v5
	v_add_co_u32_e32 v27, vcc, v27, v6
	v_addc_co_u32_e32 v30, vcc, 0, v7, vcc
	v_mad_u64_u32 v[28:29], s[4:5], v9, v5, 0
	v_add_co_u32_e32 v5, vcc, v27, v28
	v_mad_u64_u32 v[6:7], s[4:5], v9, s10, 0
	v_addc_co_u32_e32 v5, vcc, v30, v29, vcc
	v_addc_co_u32_e32 v7, vcc, 0, v7, vcc
	v_add_co_u32_e32 v5, vcc, v5, v6
	s_brev_b32 s10, -2
	v_addc_co_u32_e32 v27, vcc, 0, v7, vcc
	v_mad_u64_u32 v[6:7], s[4:5], v5, s10, 0
	v_mov_b32_e32 v28, v7
	v_mad_u64_u32 v[28:29], s[4:5], v27, s10, v[28:29]
	v_sub_co_u32_e32 v5, vcc, v8, v6
	v_subb_co_u32_e32 v6, vcc, v9, v28, vcc
	v_subrev_co_u32_e32 v7, vcc, 0x7fffffff, v5
	v_subbrev_co_u32_e32 v8, vcc, 0, v6, vcc
	s_mov_b32 s4, 0x7ffffffe
	v_cmp_lt_u32_e32 vcc, s4, v7
	v_cndmask_b32_e64 v9, 0, -1, vcc
	v_cmp_eq_u32_e32 vcc, 0, v8
	v_cndmask_b32_e32 v8, -1, v9, vcc
	v_add_u32_e32 v9, 0x80000001, v7
	v_cmp_ne_u32_e32 vcc, 0, v8
	v_cndmask_b32_e32 v7, v7, v9, vcc
	v_cmp_lt_u32_e32 vcc, s4, v5
	v_cndmask_b32_e64 v8, 0, -1, vcc
	v_cmp_eq_u32_e32 vcc, 0, v6
	v_cndmask_b32_e32 v6, -1, v8, vcc
	v_cmp_ne_u32_e32 vcc, 0, v6
	v_cndmask_b32_e32 v7, v5, v7, vcc
.LBB29_460:
	s_or_b64 exec, exec, s[8:9]
	s_movk_i32 s8, 0x1388
	v_mov_b32_e32 v27, 0
	s_mov_b32 s9, 0xbc8f1391
	s_mov_b32 s10, 0xbc8f
	s_brev_b32 s11, 12
	s_mov_b32 s14, 0xf800000
	v_mov_b32_e32 v5, 0x260
.LBB29_461:                             ; =>This Inner Loop Header: Depth=1
	v_mul_hi_u32 v6, v7, s9
	v_lshrrev_b32_e32 v6, 15, v6
	v_mul_u32_u24_e32 v9, 0xadc8, v6
	v_sub_u32_e32 v7, v7, v9
	v_mul_u32_u24_e32 v6, 0xd47, v6
	v_mul_lo_u32 v7, v7, s10
	v_xor_b32_e32 v9, 0x7fffffff, v6
	v_sub_u32_e32 v28, 0, v6
	v_cmp_lt_u32_e32 vcc, v7, v6
	v_cndmask_b32_e32 v6, v28, v9, vcc
	v_add_u32_e32 v6, v6, v7
	v_mul_hi_u32 v9, v6, s9
	v_lshrrev_b32_e32 v9, 15, v9
	v_mul_u32_u24_e32 v28, 0xadc8, v9
	v_add_u32_e32 v7, -1, v6
	v_sub_u32_e32 v6, v6, v28
	v_mul_u32_u24_e32 v9, 0xd47, v9
	v_mul_lo_u32 v6, v6, s10
	v_xor_b32_e32 v28, 0x7fffffff, v9
	v_sub_u32_e32 v29, 0, v9
	v_cmp_lt_u32_e32 vcc, v6, v9
	v_cndmask_b32_e32 v9, v29, v28, vcc
	v_add_u32_e32 v6, v9, v6
	v_mul_hi_u32 v28, v6, s9
	v_add_u32_e32 v9, -1, v6
	v_lshrrev_b32_e32 v28, 15, v28
	v_cvt_f32_u32_e32 v9, v9
	v_mul_u32_u24_e32 v29, 0xadc8, v28
	v_cvt_f32_u32_e32 v7, v7
	v_sub_u32_e32 v6, v6, v29
	v_mul_u32_u24_e32 v28, 0xd47, v28
	v_mul_lo_u32 v6, v6, s10
	v_xor_b32_e32 v29, 0x7fffffff, v28
	v_sub_u32_e32 v30, 0, v28
	v_cmp_lt_u32_e32 vcc, v6, v28
	v_fma_f32 v9, v9, s11, 0
	v_cndmask_b32_e32 v28, v30, v29, vcc
	v_fma_f32 v7, v7, s11, 0
	v_mul_f32_e32 v9, v9, v9
	v_add_u32_e32 v6, v28, v6
	v_fmac_f32_e32 v9, v7, v7
	v_mul_hi_u32 v28, v6, s9
	v_add_u32_e32 v7, -1, v6
	v_mul_f32_e32 v29, 0x4f800000, v9
	v_lshrrev_b32_e32 v28, 15, v28
	v_cmp_gt_f32_e32 vcc, s14, v9
	v_cvt_f32_u32_e32 v7, v7
	v_cndmask_b32_e32 v9, v9, v29, vcc
	v_mul_u32_u24_e32 v29, 0xadc8, v28
	v_sqrt_f32_e32 v30, v9
	v_sub_u32_e32 v6, v6, v29
	v_mul_u32_u24_e32 v28, 0xd47, v28
	v_mul_lo_u32 v6, v6, s10
	v_xor_b32_e32 v29, 0x7fffffff, v28
	v_sub_u32_e32 v31, 0, v28
	v_cmp_lt_u32_e64 s[4:5], v6, v28
	v_fma_f32 v32, v7, s11, 0
	v_cndmask_b32_e64 v7, v31, v29, s[4:5]
	v_add_u32_e32 v7, v7, v6
	v_add_u32_e32 v6, -1, v30
	v_add_u32_e32 v28, 1, v30
	v_add_u32_e32 v29, -1, v7
	v_fma_f32 v31, -v6, v30, v9
	v_fma_f32 v33, -v28, v30, v9
	v_cvt_f32_u32_e32 v29, v29
	v_cmp_ge_f32_e64 s[4:5], 0, v31
	v_cndmask_b32_e64 v6, v30, v6, s[4:5]
	v_cmp_lt_f32_e64 s[4:5], 0, v33
	v_cndmask_b32_e64 v6, v6, v28, s[4:5]
	v_mul_f32_e32 v28, 0x37800000, v6
	v_cndmask_b32_e32 v6, v6, v28, vcc
	v_fma_f32 v28, v29, s11, 0
	v_cmp_class_f32_e32 vcc, v9, v5
	v_cndmask_b32_e32 v6, v6, v9, vcc
	v_mul_f32_e32 v9, v28, v28
	v_add_f32_e32 v8, 1.0, v27
	v_cmp_nge_f32_e32 vcc, 1.0, v6
	v_fmac_f32_e32 v9, v32, v32
	v_cndmask_b32_e32 v6, v8, v27, vcc
	v_mul_f32_e32 v8, 0x4f800000, v9
	v_cmp_gt_f32_e32 vcc, s14, v9
	v_cndmask_b32_e32 v8, v9, v8, vcc
	v_sqrt_f32_e32 v9, v8
	s_add_i32 s8, s8, -2
	v_add_f32_e32 v27, 1.0, v6
	s_cmp_lg_u32 s8, 0
	v_add_u32_e32 v28, -1, v9
	v_add_u32_e32 v29, 1, v9
	v_fma_f32 v30, -v28, v9, v8
	v_fma_f32 v31, -v29, v9, v8
	v_cmp_ge_f32_e64 s[4:5], 0, v30
	v_cndmask_b32_e64 v9, v9, v28, s[4:5]
	v_cmp_lt_f32_e64 s[4:5], 0, v31
	v_cndmask_b32_e64 v9, v9, v29, s[4:5]
	v_mul_f32_e32 v28, 0x37800000, v9
	v_cndmask_b32_e32 v9, v9, v28, vcc
	v_cmp_class_f32_e32 vcc, v8, v5
	v_cndmask_b32_e32 v8, v9, v8, vcc
	v_cmp_nge_f32_e32 vcc, 1.0, v8
	v_cndmask_b32_e32 v27, v27, v6, vcc
	s_cbranch_scc1 .LBB29_461
; %bb.462:
	v_add_u32_e32 v6, 0x9c4000, v4
	v_cmp_ne_u32_e32 vcc, 0, v6
	v_mov_b32_e32 v7, 1
	s_and_saveexec_b64 s[8:9], vcc
	s_cbranch_execz .LBB29_468
; %bb.463:
	v_mov_b32_e32 v8, 1
	v_mov_b32_e32 v7, 0
	s_mov_b64 s[14:15], 0xbc8f
	s_mov_b64 s[10:11], 0
	v_mov_b32_e32 v9, 0
	s_brev_b32 s19, -2
	s_mov_b32 s20, 0x7ffffffe
	v_mov_b32_e32 v5, 0xfffff800
	s_movk_i32 s21, 0x401
	s_branch .LBB29_465
.LBB29_464:                             ;   in Loop: Header=BB29_465 Depth=1
	s_or_b64 exec, exec, s[16:17]
	s_mul_i32 s4, s14, s15
	s_mul_hi_u32 s5, s14, s14
	s_add_i32 s5, s5, s4
	s_add_i32 s4, s5, s4
	s_mul_i32 s5, s14, s14
	s_add_u32 s14, 0x402, s21
	s_addc_u32 s15, 0, 0
	v_add_co_u32_e32 v30, vcc, s14, v5
	s_cmp_lg_u64 vcc, 0
	v_readfirstlane_b32 s16, v30
	s_addc_u32 s14, s15, 1
	s_mul_hi_u32 s17, s16, 0x80000001
	s_mul_i32 s15, s14, 0x80000001
	s_sub_i32 s17, s17, s16
	s_add_i32 s17, s17, s15
	s_mul_i32 s23, s16, 0x80000001
	s_mul_hi_u32 s15, s16, s17
	s_mul_i32 s22, s16, s17
	s_mul_hi_u32 s16, s16, s23
	s_add_u32 s16, s16, s22
	s_addc_u32 s15, 0, s15
	s_mul_hi_u32 s24, s14, s23
	s_mul_i32 s23, s14, s23
	s_add_u32 s16, s16, s23
	s_mul_hi_u32 s22, s14, s17
	s_addc_u32 s15, s15, s24
	s_addc_u32 s16, s22, 0
	s_mul_i32 s17, s14, s17
	s_add_u32 s15, s15, s17
	s_addc_u32 s16, 0, s16
	v_add_co_u32_e32 v30, vcc, s15, v30
	s_cmp_lg_u64 vcc, 0
	s_addc_u32 s14, s14, s16
	v_readfirstlane_b32 s17, v30
	s_mul_i32 s16, s5, s14
	s_mul_hi_u32 s22, s5, s17
	s_mul_hi_u32 s15, s5, s14
	s_add_u32 s16, s22, s16
	s_addc_u32 s15, 0, s15
	s_mul_hi_u32 s23, s4, s17
	s_mul_i32 s17, s4, s17
	s_add_u32 s16, s16, s17
	s_mul_hi_u32 s22, s4, s14
	s_addc_u32 s15, s15, s23
	s_addc_u32 s16, s22, 0
	s_mul_i32 s14, s4, s14
	s_add_u32 s14, s15, s14
	s_addc_u32 s15, 0, s16
	s_mul_hi_u32 s16, s14, 0x7fffffff
	s_mul_i32 s14, s14, 0x7fffffff
	s_mul_i32 s15, s15, 0x7fffffff
	v_mov_b32_e32 v30, s14
	s_add_i32 s16, s16, s15
	v_sub_co_u32_e32 v30, vcc, s5, v30
	s_cmp_lg_u64 vcc, 0
	s_subb_u32 s4, s4, s16
	v_subrev_co_u32_e32 v31, vcc, s19, v30
	s_cmp_lg_u64 vcc, 0
	s_subb_u32 s5, s4, 0
	v_subrev_co_u32_e32 v32, vcc, s19, v31
	s_cmp_lg_u64 vcc, 0
	s_subb_u32 s14, s5, 0
	v_readfirstlane_b32 s15, v31
	s_cmp_gt_u32 s15, 0x7ffffffe
	s_cselect_b32 s16, -1, 0
	s_cmp_eq_u32 s5, 0
	s_cselect_b32 s16, s16, -1
	s_cmp_lg_u32 s16, 0
	s_cselect_b32 s5, s14, s5
	v_readfirstlane_b32 s14, v32
	v_readfirstlane_b32 s16, v30
	s_cselect_b32 s14, s14, s15
	s_cmp_gt_u32 s16, 0x7ffffffe
	s_cselect_b32 s15, -1, 0
	s_cmp_eq_u32 s4, 0
	s_cselect_b32 s15, s15, -1
	v_lshrrev_b64 v[28:29], 1, v[6:7]
	s_cmp_lg_u32 s15, 0
	v_cmp_gt_u64_e32 vcc, 2, v[6:7]
	s_cselect_b32 s15, s5, s4
	s_cselect_b32 s14, s14, s16
	s_or_b64 s[10:11], vcc, s[10:11]
	v_pk_mov_b32 v[6:7], v[28:29], v[28:29] op_sel:[0,1]
	s_andn2_b64 exec, exec, s[10:11]
	s_cbranch_execz .LBB29_467
.LBB29_465:                             ; =>This Inner Loop Header: Depth=1
	v_and_b32_e32 v28, 1, v6
	v_cmp_eq_u32_e32 vcc, 1, v28
	s_and_saveexec_b64 s[16:17], vcc
	s_cbranch_execz .LBB29_464
; %bb.466:                              ;   in Loop: Header=BB29_465 Depth=1
	v_mul_lo_u32 v28, s15, v8
	v_mul_lo_u32 v29, s14, v9
	v_mad_u64_u32 v[8:9], s[4:5], s14, v8, 0
	s_add_u32 s4, 0x402, s21
	v_add3_u32 v9, v9, v29, v28
	s_addc_u32 s5, 0, 0
	v_add_co_u32_e32 v28, vcc, s4, v5
	s_cmp_lg_u64 vcc, 0
	v_readfirstlane_b32 s22, v28
	s_addc_u32 s4, s5, 1
	s_mul_hi_u32 s23, s22, 0x80000001
	s_mul_i32 s5, s4, 0x80000001
	s_sub_i32 s23, s23, s22
	s_add_i32 s23, s23, s5
	s_mul_i32 s25, s22, 0x80000001
	s_mul_hi_u32 s5, s22, s23
	s_mul_i32 s24, s22, s23
	s_mul_hi_u32 s22, s22, s25
	s_add_u32 s22, s22, s24
	s_addc_u32 s5, 0, s5
	s_mul_hi_u32 s26, s4, s25
	s_mul_i32 s25, s4, s25
	s_add_u32 s22, s22, s25
	s_mul_hi_u32 s24, s4, s23
	s_addc_u32 s5, s5, s26
	s_addc_u32 s22, s24, 0
	s_mul_i32 s23, s4, s23
	s_add_u32 s5, s5, s23
	s_addc_u32 s22, 0, s22
	v_add_co_u32_e32 v30, vcc, s5, v28
	s_cmp_lg_u64 vcc, 0
	s_addc_u32 s22, s4, s22
	v_mad_u64_u32 v[28:29], s[4:5], v8, s22, 0
	v_mul_hi_u32 v31, v8, v30
	v_add_co_u32_e32 v32, vcc, v31, v28
	v_addc_co_u32_e32 v33, vcc, 0, v29, vcc
	v_mad_u64_u32 v[30:31], s[4:5], v9, v30, 0
	v_add_co_u32_e32 v30, vcc, v32, v30
	v_mad_u64_u32 v[28:29], s[4:5], v9, s22, 0
	v_addc_co_u32_e32 v30, vcc, v33, v31, vcc
	v_addc_co_u32_e32 v29, vcc, 0, v29, vcc
	v_add_co_u32_e32 v28, vcc, v30, v28
	v_addc_co_u32_e32 v31, vcc, 0, v29, vcc
	v_mad_u64_u32 v[28:29], s[4:5], v28, s19, 0
	v_mov_b32_e32 v30, v29
	v_mad_u64_u32 v[30:31], s[4:5], v31, s19, v[30:31]
	v_sub_co_u32_e32 v8, vcc, v8, v28
	v_subb_co_u32_e32 v9, vcc, v9, v30, vcc
	v_subrev_co_u32_e32 v28, vcc, s19, v8
	v_subbrev_co_u32_e32 v29, vcc, 0, v9, vcc
	v_subrev_co_u32_e32 v30, vcc, s19, v28
	v_subbrev_co_u32_e32 v31, vcc, 0, v29, vcc
	v_cmp_lt_u32_e32 vcc, s20, v28
	v_cndmask_b32_e64 v32, 0, -1, vcc
	v_cmp_eq_u32_e32 vcc, 0, v29
	v_cndmask_b32_e32 v32, -1, v32, vcc
	v_cmp_ne_u32_e32 vcc, 0, v32
	v_cmp_lt_u32_e64 s[4:5], s20, v8
	v_cndmask_b32_e32 v29, v29, v31, vcc
	v_cndmask_b32_e64 v31, 0, -1, s[4:5]
	v_cmp_eq_u32_e64 s[4:5], 0, v9
	v_cndmask_b32_e64 v31, -1, v31, s[4:5]
	v_cmp_ne_u32_e64 s[4:5], 0, v31
	v_cndmask_b32_e32 v28, v28, v30, vcc
	v_cndmask_b32_e64 v9, v9, v29, s[4:5]
	v_cndmask_b32_e64 v8, v8, v28, s[4:5]
	s_branch .LBB29_464
.LBB29_467:
	s_or_b64 exec, exec, s[10:11]
	s_movk_i32 s4, 0x401
	s_add_u32 s4, 0x402, s4
	v_mov_b32_e32 v5, 0xfffff800
	s_addc_u32 s5, 0, 0
	v_add_co_u32_e32 v5, vcc, s4, v5
	s_cmp_lg_u64 vcc, 0
	v_readfirstlane_b32 s10, v5
	s_addc_u32 s4, s5, 1
	s_mul_hi_u32 s11, s10, 0x80000001
	s_mul_i32 s5, s4, 0x80000001
	s_sub_i32 s11, s11, s10
	s_add_i32 s11, s11, s5
	s_mul_i32 s15, s10, 0x80000001
	s_mul_hi_u32 s5, s10, s11
	s_mul_i32 s14, s10, s11
	s_mul_hi_u32 s10, s10, s15
	s_add_u32 s10, s10, s14
	s_addc_u32 s5, 0, s5
	s_mul_hi_u32 s16, s4, s15
	s_mul_i32 s15, s4, s15
	s_add_u32 s10, s10, s15
	s_mul_hi_u32 s14, s4, s11
	s_addc_u32 s5, s5, s16
	s_addc_u32 s10, s14, 0
	s_mul_i32 s11, s4, s11
	s_add_u32 s5, s5, s11
	s_addc_u32 s10, 0, s10
	v_add_co_u32_e32 v5, vcc, s5, v5
	s_cmp_lg_u64 vcc, 0
	s_addc_u32 s10, s4, s10
	v_mad_u64_u32 v[6:7], s[4:5], v8, s10, 0
	v_mul_hi_u32 v28, v8, v5
	v_add_co_u32_e32 v30, vcc, v28, v6
	v_addc_co_u32_e32 v31, vcc, 0, v7, vcc
	v_mad_u64_u32 v[28:29], s[4:5], v9, v5, 0
	v_add_co_u32_e32 v5, vcc, v30, v28
	v_mad_u64_u32 v[6:7], s[4:5], v9, s10, 0
	v_addc_co_u32_e32 v5, vcc, v31, v29, vcc
	v_addc_co_u32_e32 v7, vcc, 0, v7, vcc
	v_add_co_u32_e32 v5, vcc, v5, v6
	s_brev_b32 s10, -2
	v_addc_co_u32_e32 v29, vcc, 0, v7, vcc
	v_mad_u64_u32 v[6:7], s[4:5], v5, s10, 0
	v_mov_b32_e32 v28, v7
	v_mad_u64_u32 v[28:29], s[4:5], v29, s10, v[28:29]
	v_sub_co_u32_e32 v5, vcc, v8, v6
	v_subb_co_u32_e32 v6, vcc, v9, v28, vcc
	v_subrev_co_u32_e32 v7, vcc, 0x7fffffff, v5
	v_subbrev_co_u32_e32 v8, vcc, 0, v6, vcc
	s_mov_b32 s4, 0x7ffffffe
	v_cmp_lt_u32_e32 vcc, s4, v7
	v_cndmask_b32_e64 v9, 0, -1, vcc
	v_cmp_eq_u32_e32 vcc, 0, v8
	v_cndmask_b32_e32 v8, -1, v9, vcc
	v_add_u32_e32 v9, 0x80000001, v7
	v_cmp_ne_u32_e32 vcc, 0, v8
	v_cndmask_b32_e32 v7, v7, v9, vcc
	v_cmp_lt_u32_e32 vcc, s4, v5
	v_cndmask_b32_e64 v8, 0, -1, vcc
	v_cmp_eq_u32_e32 vcc, 0, v6
	v_cndmask_b32_e32 v6, -1, v8, vcc
	v_cmp_ne_u32_e32 vcc, 0, v6
	v_cndmask_b32_e32 v7, v5, v7, vcc
.LBB29_468:
	s_or_b64 exec, exec, s[8:9]
	s_movk_i32 s8, 0x1388
	v_mov_b32_e32 v28, 0
	s_mov_b32 s9, 0xbc8f1391
	s_mov_b32 s10, 0xbc8f
	s_brev_b32 s11, 12
	s_mov_b32 s14, 0xf800000
	v_mov_b32_e32 v5, 0x260
.LBB29_469:                             ; =>This Inner Loop Header: Depth=1
	v_mul_hi_u32 v6, v7, s9
	v_lshrrev_b32_e32 v6, 15, v6
	v_mul_u32_u24_e32 v9, 0xadc8, v6
	v_sub_u32_e32 v7, v7, v9
	v_mul_u32_u24_e32 v6, 0xd47, v6
	v_mul_lo_u32 v7, v7, s10
	v_xor_b32_e32 v9, 0x7fffffff, v6
	v_sub_u32_e32 v29, 0, v6
	v_cmp_lt_u32_e32 vcc, v7, v6
	v_cndmask_b32_e32 v6, v29, v9, vcc
	v_add_u32_e32 v6, v6, v7
	v_mul_hi_u32 v9, v6, s9
	v_lshrrev_b32_e32 v9, 15, v9
	v_mul_u32_u24_e32 v29, 0xadc8, v9
	v_add_u32_e32 v7, -1, v6
	v_sub_u32_e32 v6, v6, v29
	v_mul_u32_u24_e32 v9, 0xd47, v9
	v_mul_lo_u32 v6, v6, s10
	v_xor_b32_e32 v29, 0x7fffffff, v9
	v_sub_u32_e32 v30, 0, v9
	v_cmp_lt_u32_e32 vcc, v6, v9
	v_cndmask_b32_e32 v9, v30, v29, vcc
	v_add_u32_e32 v6, v9, v6
	v_mul_hi_u32 v29, v6, s9
	v_add_u32_e32 v9, -1, v6
	v_lshrrev_b32_e32 v29, 15, v29
	v_cvt_f32_u32_e32 v9, v9
	v_mul_u32_u24_e32 v30, 0xadc8, v29
	v_cvt_f32_u32_e32 v7, v7
	v_sub_u32_e32 v6, v6, v30
	v_mul_u32_u24_e32 v29, 0xd47, v29
	v_mul_lo_u32 v6, v6, s10
	v_xor_b32_e32 v30, 0x7fffffff, v29
	v_sub_u32_e32 v31, 0, v29
	v_cmp_lt_u32_e32 vcc, v6, v29
	v_fma_f32 v9, v9, s11, 0
	v_cndmask_b32_e32 v29, v31, v30, vcc
	v_fma_f32 v7, v7, s11, 0
	v_mul_f32_e32 v9, v9, v9
	v_add_u32_e32 v6, v29, v6
	v_fmac_f32_e32 v9, v7, v7
	v_mul_hi_u32 v29, v6, s9
	v_add_u32_e32 v7, -1, v6
	v_mul_f32_e32 v30, 0x4f800000, v9
	v_lshrrev_b32_e32 v29, 15, v29
	v_cmp_gt_f32_e32 vcc, s14, v9
	v_cvt_f32_u32_e32 v7, v7
	v_cndmask_b32_e32 v9, v9, v30, vcc
	v_mul_u32_u24_e32 v30, 0xadc8, v29
	v_sqrt_f32_e32 v31, v9
	v_sub_u32_e32 v6, v6, v30
	v_mul_u32_u24_e32 v29, 0xd47, v29
	v_mul_lo_u32 v6, v6, s10
	v_xor_b32_e32 v30, 0x7fffffff, v29
	v_sub_u32_e32 v32, 0, v29
	v_cmp_lt_u32_e64 s[4:5], v6, v29
	v_fma_f32 v33, v7, s11, 0
	v_cndmask_b32_e64 v7, v32, v30, s[4:5]
	v_add_u32_e32 v7, v7, v6
	v_add_u32_e32 v6, -1, v31
	v_add_u32_e32 v29, 1, v31
	v_add_u32_e32 v30, -1, v7
	v_fma_f32 v32, -v6, v31, v9
	v_fma_f32 v34, -v29, v31, v9
	v_cvt_f32_u32_e32 v30, v30
	v_cmp_ge_f32_e64 s[4:5], 0, v32
	v_cndmask_b32_e64 v6, v31, v6, s[4:5]
	v_cmp_lt_f32_e64 s[4:5], 0, v34
	v_cndmask_b32_e64 v6, v6, v29, s[4:5]
	v_mul_f32_e32 v29, 0x37800000, v6
	v_cndmask_b32_e32 v6, v6, v29, vcc
	v_fma_f32 v29, v30, s11, 0
	v_cmp_class_f32_e32 vcc, v9, v5
	v_cndmask_b32_e32 v6, v6, v9, vcc
	v_mul_f32_e32 v9, v29, v29
	v_add_f32_e32 v8, 1.0, v28
	v_cmp_nge_f32_e32 vcc, 1.0, v6
	v_fmac_f32_e32 v9, v33, v33
	v_cndmask_b32_e32 v6, v8, v28, vcc
	v_mul_f32_e32 v8, 0x4f800000, v9
	v_cmp_gt_f32_e32 vcc, s14, v9
	v_cndmask_b32_e32 v8, v9, v8, vcc
	v_sqrt_f32_e32 v9, v8
	s_add_i32 s8, s8, -2
	v_add_f32_e32 v28, 1.0, v6
	s_cmp_lg_u32 s8, 0
	v_add_u32_e32 v29, -1, v9
	v_add_u32_e32 v30, 1, v9
	v_fma_f32 v31, -v29, v9, v8
	v_fma_f32 v32, -v30, v9, v8
	v_cmp_ge_f32_e64 s[4:5], 0, v31
	v_cndmask_b32_e64 v9, v9, v29, s[4:5]
	v_cmp_lt_f32_e64 s[4:5], 0, v32
	v_cndmask_b32_e64 v9, v9, v30, s[4:5]
	v_mul_f32_e32 v29, 0x37800000, v9
	v_cndmask_b32_e32 v9, v9, v29, vcc
	v_cmp_class_f32_e32 vcc, v8, v5
	v_cndmask_b32_e32 v8, v9, v8, vcc
	v_cmp_nge_f32_e32 vcc, 1.0, v8
	v_cndmask_b32_e32 v28, v28, v6, vcc
	s_cbranch_scc1 .LBB29_469
; %bb.470:
	v_add_u32_e32 v6, 0xa60400, v4
	v_cmp_ne_u32_e32 vcc, 0, v6
	v_mov_b32_e32 v7, 1
	s_and_saveexec_b64 s[8:9], vcc
	s_cbranch_execz .LBB29_476
; %bb.471:
	v_mov_b32_e32 v8, 1
	v_mov_b32_e32 v7, 0
	s_mov_b64 s[14:15], 0xbc8f
	s_mov_b64 s[10:11], 0
	v_mov_b32_e32 v9, 0
	s_brev_b32 s19, -2
	s_mov_b32 s20, 0x7ffffffe
	v_mov_b32_e32 v5, 0xfffff800
	s_movk_i32 s21, 0x401
	s_branch .LBB29_473
.LBB29_472:                             ;   in Loop: Header=BB29_473 Depth=1
	s_or_b64 exec, exec, s[16:17]
	s_mul_i32 s4, s14, s15
	s_mul_hi_u32 s5, s14, s14
	s_add_i32 s5, s5, s4
	s_add_i32 s4, s5, s4
	s_mul_i32 s5, s14, s14
	s_add_u32 s14, 0x402, s21
	s_addc_u32 s15, 0, 0
	v_add_co_u32_e32 v29, vcc, s14, v5
	s_cmp_lg_u64 vcc, 0
	v_readfirstlane_b32 s16, v29
	s_addc_u32 s14, s15, 1
	s_mul_hi_u32 s17, s16, 0x80000001
	s_mul_i32 s15, s14, 0x80000001
	s_sub_i32 s17, s17, s16
	s_add_i32 s17, s17, s15
	s_mul_i32 s23, s16, 0x80000001
	s_mul_hi_u32 s15, s16, s17
	s_mul_i32 s22, s16, s17
	s_mul_hi_u32 s16, s16, s23
	s_add_u32 s16, s16, s22
	s_addc_u32 s15, 0, s15
	s_mul_hi_u32 s24, s14, s23
	s_mul_i32 s23, s14, s23
	s_add_u32 s16, s16, s23
	s_mul_hi_u32 s22, s14, s17
	s_addc_u32 s15, s15, s24
	s_addc_u32 s16, s22, 0
	s_mul_i32 s17, s14, s17
	s_add_u32 s15, s15, s17
	s_addc_u32 s16, 0, s16
	v_add_co_u32_e32 v29, vcc, s15, v29
	s_cmp_lg_u64 vcc, 0
	s_addc_u32 s14, s14, s16
	v_readfirstlane_b32 s17, v29
	s_mul_i32 s16, s5, s14
	s_mul_hi_u32 s22, s5, s17
	s_mul_hi_u32 s15, s5, s14
	s_add_u32 s16, s22, s16
	s_addc_u32 s15, 0, s15
	s_mul_hi_u32 s23, s4, s17
	s_mul_i32 s17, s4, s17
	s_add_u32 s16, s16, s17
	s_mul_hi_u32 s22, s4, s14
	s_addc_u32 s15, s15, s23
	s_addc_u32 s16, s22, 0
	s_mul_i32 s14, s4, s14
	s_add_u32 s14, s15, s14
	s_addc_u32 s15, 0, s16
	s_mul_hi_u32 s16, s14, 0x7fffffff
	s_mul_i32 s14, s14, 0x7fffffff
	s_mul_i32 s15, s15, 0x7fffffff
	v_mov_b32_e32 v29, s14
	s_add_i32 s16, s16, s15
	v_sub_co_u32_e32 v29, vcc, s5, v29
	s_cmp_lg_u64 vcc, 0
	s_subb_u32 s4, s4, s16
	v_subrev_co_u32_e32 v32, vcc, s19, v29
	s_cmp_lg_u64 vcc, 0
	s_subb_u32 s5, s4, 0
	v_subrev_co_u32_e32 v33, vcc, s19, v32
	s_cmp_lg_u64 vcc, 0
	s_subb_u32 s14, s5, 0
	v_readfirstlane_b32 s15, v32
	s_cmp_gt_u32 s15, 0x7ffffffe
	s_cselect_b32 s16, -1, 0
	s_cmp_eq_u32 s5, 0
	s_cselect_b32 s16, s16, -1
	s_cmp_lg_u32 s16, 0
	s_cselect_b32 s5, s14, s5
	v_readfirstlane_b32 s14, v33
	v_readfirstlane_b32 s16, v29
	s_cselect_b32 s14, s14, s15
	s_cmp_gt_u32 s16, 0x7ffffffe
	s_cselect_b32 s15, -1, 0
	s_cmp_eq_u32 s4, 0
	s_cselect_b32 s15, s15, -1
	v_lshrrev_b64 v[30:31], 1, v[6:7]
	s_cmp_lg_u32 s15, 0
	v_cmp_gt_u64_e32 vcc, 2, v[6:7]
	s_cselect_b32 s15, s5, s4
	s_cselect_b32 s14, s14, s16
	s_or_b64 s[10:11], vcc, s[10:11]
	v_pk_mov_b32 v[6:7], v[30:31], v[30:31] op_sel:[0,1]
	s_andn2_b64 exec, exec, s[10:11]
	s_cbranch_execz .LBB29_475
.LBB29_473:                             ; =>This Inner Loop Header: Depth=1
	v_and_b32_e32 v29, 1, v6
	v_cmp_eq_u32_e32 vcc, 1, v29
	s_and_saveexec_b64 s[16:17], vcc
	s_cbranch_execz .LBB29_472
; %bb.474:                              ;   in Loop: Header=BB29_473 Depth=1
	v_mul_lo_u32 v29, s15, v8
	v_mul_lo_u32 v30, s14, v9
	v_mad_u64_u32 v[8:9], s[4:5], s14, v8, 0
	s_add_u32 s4, 0x402, s21
	v_add3_u32 v9, v9, v30, v29
	s_addc_u32 s5, 0, 0
	v_add_co_u32_e32 v29, vcc, s4, v5
	s_cmp_lg_u64 vcc, 0
	v_readfirstlane_b32 s22, v29
	s_addc_u32 s4, s5, 1
	s_mul_hi_u32 s23, s22, 0x80000001
	s_mul_i32 s5, s4, 0x80000001
	s_sub_i32 s23, s23, s22
	s_add_i32 s23, s23, s5
	s_mul_i32 s25, s22, 0x80000001
	s_mul_hi_u32 s5, s22, s23
	s_mul_i32 s24, s22, s23
	s_mul_hi_u32 s22, s22, s25
	s_add_u32 s22, s22, s24
	s_addc_u32 s5, 0, s5
	s_mul_hi_u32 s26, s4, s25
	s_mul_i32 s25, s4, s25
	s_add_u32 s22, s22, s25
	s_mul_hi_u32 s24, s4, s23
	s_addc_u32 s5, s5, s26
	s_addc_u32 s22, s24, 0
	s_mul_i32 s23, s4, s23
	s_add_u32 s5, s5, s23
	s_addc_u32 s22, 0, s22
	v_add_co_u32_e32 v29, vcc, s5, v29
	s_cmp_lg_u64 vcc, 0
	s_addc_u32 s22, s4, s22
	v_mad_u64_u32 v[30:31], s[4:5], v8, s22, 0
	v_mul_hi_u32 v32, v8, v29
	v_add_co_u32_e32 v34, vcc, v32, v30
	v_addc_co_u32_e32 v35, vcc, 0, v31, vcc
	v_mad_u64_u32 v[32:33], s[4:5], v9, v29, 0
	v_add_co_u32_e32 v29, vcc, v34, v32
	v_mad_u64_u32 v[30:31], s[4:5], v9, s22, 0
	v_addc_co_u32_e32 v29, vcc, v35, v33, vcc
	v_addc_co_u32_e32 v31, vcc, 0, v31, vcc
	v_add_co_u32_e32 v29, vcc, v29, v30
	v_addc_co_u32_e32 v33, vcc, 0, v31, vcc
	v_mad_u64_u32 v[30:31], s[4:5], v29, s19, 0
	v_mov_b32_e32 v32, v31
	v_mad_u64_u32 v[32:33], s[4:5], v33, s19, v[32:33]
	v_sub_co_u32_e32 v8, vcc, v8, v30
	v_subb_co_u32_e32 v9, vcc, v9, v32, vcc
	v_subrev_co_u32_e32 v29, vcc, s19, v8
	v_subbrev_co_u32_e32 v30, vcc, 0, v9, vcc
	v_subrev_co_u32_e32 v31, vcc, s19, v29
	v_subbrev_co_u32_e32 v32, vcc, 0, v30, vcc
	v_cmp_lt_u32_e32 vcc, s20, v29
	v_cndmask_b32_e64 v33, 0, -1, vcc
	v_cmp_eq_u32_e32 vcc, 0, v30
	v_cndmask_b32_e32 v33, -1, v33, vcc
	v_cmp_ne_u32_e32 vcc, 0, v33
	v_cmp_lt_u32_e64 s[4:5], s20, v8
	v_cndmask_b32_e32 v30, v30, v32, vcc
	v_cndmask_b32_e64 v32, 0, -1, s[4:5]
	v_cmp_eq_u32_e64 s[4:5], 0, v9
	v_cndmask_b32_e64 v32, -1, v32, s[4:5]
	v_cmp_ne_u32_e64 s[4:5], 0, v32
	v_cndmask_b32_e32 v29, v29, v31, vcc
	v_cndmask_b32_e64 v9, v9, v30, s[4:5]
	v_cndmask_b32_e64 v8, v8, v29, s[4:5]
	s_branch .LBB29_472
.LBB29_475:
	s_or_b64 exec, exec, s[10:11]
	s_movk_i32 s4, 0x401
	s_add_u32 s4, 0x402, s4
	v_mov_b32_e32 v5, 0xfffff800
	s_addc_u32 s5, 0, 0
	v_add_co_u32_e32 v5, vcc, s4, v5
	s_cmp_lg_u64 vcc, 0
	v_readfirstlane_b32 s10, v5
	s_addc_u32 s4, s5, 1
	s_mul_hi_u32 s11, s10, 0x80000001
	s_mul_i32 s5, s4, 0x80000001
	s_sub_i32 s11, s11, s10
	s_add_i32 s11, s11, s5
	s_mul_i32 s15, s10, 0x80000001
	s_mul_hi_u32 s5, s10, s11
	s_mul_i32 s14, s10, s11
	s_mul_hi_u32 s10, s10, s15
	s_add_u32 s10, s10, s14
	s_addc_u32 s5, 0, s5
	s_mul_hi_u32 s16, s4, s15
	s_mul_i32 s15, s4, s15
	s_add_u32 s10, s10, s15
	s_mul_hi_u32 s14, s4, s11
	s_addc_u32 s5, s5, s16
	s_addc_u32 s10, s14, 0
	s_mul_i32 s11, s4, s11
	s_add_u32 s5, s5, s11
	s_addc_u32 s10, 0, s10
	v_add_co_u32_e32 v5, vcc, s5, v5
	s_cmp_lg_u64 vcc, 0
	s_addc_u32 s10, s4, s10
	v_mad_u64_u32 v[6:7], s[4:5], v8, s10, 0
	v_mul_hi_u32 v29, v8, v5
	v_add_co_u32_e32 v29, vcc, v29, v6
	v_addc_co_u32_e32 v32, vcc, 0, v7, vcc
	v_mad_u64_u32 v[30:31], s[4:5], v9, v5, 0
	v_add_co_u32_e32 v5, vcc, v29, v30
	v_mad_u64_u32 v[6:7], s[4:5], v9, s10, 0
	v_addc_co_u32_e32 v5, vcc, v32, v31, vcc
	v_addc_co_u32_e32 v7, vcc, 0, v7, vcc
	v_add_co_u32_e32 v5, vcc, v5, v6
	s_brev_b32 s10, -2
	v_addc_co_u32_e32 v29, vcc, 0, v7, vcc
	v_mad_u64_u32 v[6:7], s[4:5], v5, s10, 0
	v_mov_b32_e32 v30, v7
	v_mad_u64_u32 v[30:31], s[4:5], v29, s10, v[30:31]
	v_sub_co_u32_e32 v5, vcc, v8, v6
	v_subb_co_u32_e32 v6, vcc, v9, v30, vcc
	v_subrev_co_u32_e32 v7, vcc, 0x7fffffff, v5
	v_subbrev_co_u32_e32 v8, vcc, 0, v6, vcc
	s_mov_b32 s4, 0x7ffffffe
	v_cmp_lt_u32_e32 vcc, s4, v7
	v_cndmask_b32_e64 v9, 0, -1, vcc
	v_cmp_eq_u32_e32 vcc, 0, v8
	v_cndmask_b32_e32 v8, -1, v9, vcc
	v_add_u32_e32 v9, 0x80000001, v7
	v_cmp_ne_u32_e32 vcc, 0, v8
	v_cndmask_b32_e32 v7, v7, v9, vcc
	v_cmp_lt_u32_e32 vcc, s4, v5
	v_cndmask_b32_e64 v8, 0, -1, vcc
	v_cmp_eq_u32_e32 vcc, 0, v6
	v_cndmask_b32_e32 v6, -1, v8, vcc
	v_cmp_ne_u32_e32 vcc, 0, v6
	v_cndmask_b32_e32 v7, v5, v7, vcc
.LBB29_476:
	s_or_b64 exec, exec, s[8:9]
	s_movk_i32 s8, 0x1388
	v_mov_b32_e32 v29, 0
	s_mov_b32 s9, 0xbc8f1391
	s_mov_b32 s10, 0xbc8f
	s_brev_b32 s11, 12
	s_mov_b32 s14, 0xf800000
	v_mov_b32_e32 v5, 0x260
.LBB29_477:                             ; =>This Inner Loop Header: Depth=1
	v_mul_hi_u32 v6, v7, s9
	v_lshrrev_b32_e32 v6, 15, v6
	v_mul_u32_u24_e32 v9, 0xadc8, v6
	v_sub_u32_e32 v7, v7, v9
	v_mul_u32_u24_e32 v6, 0xd47, v6
	v_mul_lo_u32 v7, v7, s10
	v_xor_b32_e32 v9, 0x7fffffff, v6
	v_sub_u32_e32 v30, 0, v6
	v_cmp_lt_u32_e32 vcc, v7, v6
	v_cndmask_b32_e32 v6, v30, v9, vcc
	v_add_u32_e32 v6, v6, v7
	v_mul_hi_u32 v9, v6, s9
	v_lshrrev_b32_e32 v9, 15, v9
	v_mul_u32_u24_e32 v30, 0xadc8, v9
	v_add_u32_e32 v7, -1, v6
	v_sub_u32_e32 v6, v6, v30
	v_mul_u32_u24_e32 v9, 0xd47, v9
	v_mul_lo_u32 v6, v6, s10
	v_xor_b32_e32 v30, 0x7fffffff, v9
	v_sub_u32_e32 v31, 0, v9
	v_cmp_lt_u32_e32 vcc, v6, v9
	v_cndmask_b32_e32 v9, v31, v30, vcc
	v_add_u32_e32 v6, v9, v6
	v_mul_hi_u32 v30, v6, s9
	v_add_u32_e32 v9, -1, v6
	v_lshrrev_b32_e32 v30, 15, v30
	v_cvt_f32_u32_e32 v9, v9
	v_mul_u32_u24_e32 v31, 0xadc8, v30
	v_cvt_f32_u32_e32 v7, v7
	v_sub_u32_e32 v6, v6, v31
	v_mul_u32_u24_e32 v30, 0xd47, v30
	v_mul_lo_u32 v6, v6, s10
	v_xor_b32_e32 v31, 0x7fffffff, v30
	v_sub_u32_e32 v32, 0, v30
	v_cmp_lt_u32_e32 vcc, v6, v30
	v_fma_f32 v9, v9, s11, 0
	v_cndmask_b32_e32 v30, v32, v31, vcc
	v_fma_f32 v7, v7, s11, 0
	v_mul_f32_e32 v9, v9, v9
	v_add_u32_e32 v6, v30, v6
	v_fmac_f32_e32 v9, v7, v7
	v_mul_hi_u32 v30, v6, s9
	v_add_u32_e32 v7, -1, v6
	v_mul_f32_e32 v31, 0x4f800000, v9
	v_lshrrev_b32_e32 v30, 15, v30
	v_cmp_gt_f32_e32 vcc, s14, v9
	v_cvt_f32_u32_e32 v7, v7
	v_cndmask_b32_e32 v9, v9, v31, vcc
	v_mul_u32_u24_e32 v31, 0xadc8, v30
	v_sqrt_f32_e32 v32, v9
	v_sub_u32_e32 v6, v6, v31
	v_mul_u32_u24_e32 v30, 0xd47, v30
	v_mul_lo_u32 v6, v6, s10
	v_xor_b32_e32 v31, 0x7fffffff, v30
	v_sub_u32_e32 v33, 0, v30
	v_cmp_lt_u32_e64 s[4:5], v6, v30
	v_fma_f32 v34, v7, s11, 0
	v_cndmask_b32_e64 v7, v33, v31, s[4:5]
	v_add_u32_e32 v7, v7, v6
	v_add_u32_e32 v6, -1, v32
	v_add_u32_e32 v30, 1, v32
	v_add_u32_e32 v31, -1, v7
	v_fma_f32 v33, -v6, v32, v9
	v_fma_f32 v35, -v30, v32, v9
	v_cvt_f32_u32_e32 v31, v31
	v_cmp_ge_f32_e64 s[4:5], 0, v33
	v_cndmask_b32_e64 v6, v32, v6, s[4:5]
	v_cmp_lt_f32_e64 s[4:5], 0, v35
	v_cndmask_b32_e64 v6, v6, v30, s[4:5]
	v_mul_f32_e32 v30, 0x37800000, v6
	v_cndmask_b32_e32 v6, v6, v30, vcc
	v_fma_f32 v30, v31, s11, 0
	v_cmp_class_f32_e32 vcc, v9, v5
	v_cndmask_b32_e32 v6, v6, v9, vcc
	v_mul_f32_e32 v9, v30, v30
	v_add_f32_e32 v8, 1.0, v29
	v_cmp_nge_f32_e32 vcc, 1.0, v6
	v_fmac_f32_e32 v9, v34, v34
	v_cndmask_b32_e32 v6, v8, v29, vcc
	v_mul_f32_e32 v8, 0x4f800000, v9
	v_cmp_gt_f32_e32 vcc, s14, v9
	v_cndmask_b32_e32 v8, v9, v8, vcc
	v_sqrt_f32_e32 v9, v8
	s_add_i32 s8, s8, -2
	v_add_f32_e32 v29, 1.0, v6
	s_cmp_lg_u32 s8, 0
	v_add_u32_e32 v30, -1, v9
	v_add_u32_e32 v31, 1, v9
	v_fma_f32 v32, -v30, v9, v8
	v_fma_f32 v33, -v31, v9, v8
	v_cmp_ge_f32_e64 s[4:5], 0, v32
	v_cndmask_b32_e64 v9, v9, v30, s[4:5]
	v_cmp_lt_f32_e64 s[4:5], 0, v33
	v_cndmask_b32_e64 v9, v9, v31, s[4:5]
	v_mul_f32_e32 v30, 0x37800000, v9
	v_cndmask_b32_e32 v9, v9, v30, vcc
	v_cmp_class_f32_e32 vcc, v8, v5
	v_cndmask_b32_e32 v8, v9, v8, vcc
	v_cmp_nge_f32_e32 vcc, 1.0, v8
	v_cndmask_b32_e32 v29, v29, v6, vcc
	s_cbranch_scc1 .LBB29_477
; %bb.478:
	v_add_u32_e32 v6, 0xafc800, v4
	v_cmp_ne_u32_e32 vcc, 0, v6
	v_mov_b32_e32 v7, 1
	s_and_saveexec_b64 s[8:9], vcc
	s_cbranch_execz .LBB29_484
; %bb.479:
	v_mov_b32_e32 v8, 1
	v_mov_b32_e32 v7, 0
	s_mov_b64 s[14:15], 0xbc8f
	s_mov_b64 s[10:11], 0
	v_mov_b32_e32 v9, 0
	s_brev_b32 s19, -2
	s_mov_b32 s20, 0x7ffffffe
	v_mov_b32_e32 v5, 0xfffff800
	s_movk_i32 s21, 0x401
	s_branch .LBB29_481
.LBB29_480:                             ;   in Loop: Header=BB29_481 Depth=1
	s_or_b64 exec, exec, s[16:17]
	s_mul_i32 s4, s14, s15
	s_mul_hi_u32 s5, s14, s14
	s_add_i32 s5, s5, s4
	s_add_i32 s4, s5, s4
	s_mul_i32 s5, s14, s14
	s_add_u32 s14, 0x402, s21
	s_addc_u32 s15, 0, 0
	v_add_co_u32_e32 v32, vcc, s14, v5
	s_cmp_lg_u64 vcc, 0
	v_readfirstlane_b32 s16, v32
	s_addc_u32 s14, s15, 1
	s_mul_hi_u32 s17, s16, 0x80000001
	s_mul_i32 s15, s14, 0x80000001
	s_sub_i32 s17, s17, s16
	s_add_i32 s17, s17, s15
	s_mul_i32 s23, s16, 0x80000001
	s_mul_hi_u32 s15, s16, s17
	s_mul_i32 s22, s16, s17
	s_mul_hi_u32 s16, s16, s23
	s_add_u32 s16, s16, s22
	s_addc_u32 s15, 0, s15
	s_mul_hi_u32 s24, s14, s23
	s_mul_i32 s23, s14, s23
	s_add_u32 s16, s16, s23
	s_mul_hi_u32 s22, s14, s17
	s_addc_u32 s15, s15, s24
	s_addc_u32 s16, s22, 0
	s_mul_i32 s17, s14, s17
	s_add_u32 s15, s15, s17
	s_addc_u32 s16, 0, s16
	v_add_co_u32_e32 v32, vcc, s15, v32
	s_cmp_lg_u64 vcc, 0
	s_addc_u32 s14, s14, s16
	v_readfirstlane_b32 s17, v32
	s_mul_i32 s16, s5, s14
	s_mul_hi_u32 s22, s5, s17
	s_mul_hi_u32 s15, s5, s14
	s_add_u32 s16, s22, s16
	s_addc_u32 s15, 0, s15
	s_mul_hi_u32 s23, s4, s17
	s_mul_i32 s17, s4, s17
	s_add_u32 s16, s16, s17
	s_mul_hi_u32 s22, s4, s14
	s_addc_u32 s15, s15, s23
	s_addc_u32 s16, s22, 0
	s_mul_i32 s14, s4, s14
	s_add_u32 s14, s15, s14
	s_addc_u32 s15, 0, s16
	s_mul_hi_u32 s16, s14, 0x7fffffff
	s_mul_i32 s14, s14, 0x7fffffff
	s_mul_i32 s15, s15, 0x7fffffff
	v_mov_b32_e32 v32, s14
	s_add_i32 s16, s16, s15
	v_sub_co_u32_e32 v32, vcc, s5, v32
	s_cmp_lg_u64 vcc, 0
	s_subb_u32 s4, s4, s16
	v_subrev_co_u32_e32 v33, vcc, s19, v32
	s_cmp_lg_u64 vcc, 0
	s_subb_u32 s5, s4, 0
	v_subrev_co_u32_e32 v34, vcc, s19, v33
	s_cmp_lg_u64 vcc, 0
	s_subb_u32 s14, s5, 0
	v_readfirstlane_b32 s15, v33
	s_cmp_gt_u32 s15, 0x7ffffffe
	s_cselect_b32 s16, -1, 0
	s_cmp_eq_u32 s5, 0
	s_cselect_b32 s16, s16, -1
	s_cmp_lg_u32 s16, 0
	s_cselect_b32 s5, s14, s5
	v_readfirstlane_b32 s14, v34
	v_readfirstlane_b32 s16, v32
	s_cselect_b32 s14, s14, s15
	s_cmp_gt_u32 s16, 0x7ffffffe
	s_cselect_b32 s15, -1, 0
	s_cmp_eq_u32 s4, 0
	s_cselect_b32 s15, s15, -1
	v_lshrrev_b64 v[30:31], 1, v[6:7]
	s_cmp_lg_u32 s15, 0
	v_cmp_gt_u64_e32 vcc, 2, v[6:7]
	s_cselect_b32 s15, s5, s4
	s_cselect_b32 s14, s14, s16
	s_or_b64 s[10:11], vcc, s[10:11]
	v_pk_mov_b32 v[6:7], v[30:31], v[30:31] op_sel:[0,1]
	s_andn2_b64 exec, exec, s[10:11]
	s_cbranch_execz .LBB29_483
.LBB29_481:                             ; =>This Inner Loop Header: Depth=1
	v_and_b32_e32 v30, 1, v6
	v_cmp_eq_u32_e32 vcc, 1, v30
	s_and_saveexec_b64 s[16:17], vcc
	s_cbranch_execz .LBB29_480
; %bb.482:                              ;   in Loop: Header=BB29_481 Depth=1
	v_mul_lo_u32 v30, s15, v8
	v_mul_lo_u32 v31, s14, v9
	v_mad_u64_u32 v[8:9], s[4:5], s14, v8, 0
	s_add_u32 s4, 0x402, s21
	v_add3_u32 v9, v9, v31, v30
	s_addc_u32 s5, 0, 0
	v_add_co_u32_e32 v30, vcc, s4, v5
	s_cmp_lg_u64 vcc, 0
	v_readfirstlane_b32 s22, v30
	s_addc_u32 s4, s5, 1
	s_mul_hi_u32 s23, s22, 0x80000001
	s_mul_i32 s5, s4, 0x80000001
	s_sub_i32 s23, s23, s22
	s_add_i32 s23, s23, s5
	s_mul_i32 s25, s22, 0x80000001
	s_mul_hi_u32 s5, s22, s23
	s_mul_i32 s24, s22, s23
	s_mul_hi_u32 s22, s22, s25
	s_add_u32 s22, s22, s24
	s_addc_u32 s5, 0, s5
	s_mul_hi_u32 s26, s4, s25
	s_mul_i32 s25, s4, s25
	s_add_u32 s22, s22, s25
	s_mul_hi_u32 s24, s4, s23
	s_addc_u32 s5, s5, s26
	s_addc_u32 s22, s24, 0
	s_mul_i32 s23, s4, s23
	s_add_u32 s5, s5, s23
	s_addc_u32 s22, 0, s22
	v_add_co_u32_e32 v32, vcc, s5, v30
	s_cmp_lg_u64 vcc, 0
	s_addc_u32 s22, s4, s22
	v_mad_u64_u32 v[30:31], s[4:5], v8, s22, 0
	v_mul_hi_u32 v33, v8, v32
	v_add_co_u32_e32 v34, vcc, v33, v30
	v_addc_co_u32_e32 v35, vcc, 0, v31, vcc
	v_mad_u64_u32 v[32:33], s[4:5], v9, v32, 0
	v_add_co_u32_e32 v32, vcc, v34, v32
	v_mad_u64_u32 v[30:31], s[4:5], v9, s22, 0
	v_addc_co_u32_e32 v32, vcc, v35, v33, vcc
	v_addc_co_u32_e32 v31, vcc, 0, v31, vcc
	v_add_co_u32_e32 v30, vcc, v32, v30
	v_addc_co_u32_e32 v33, vcc, 0, v31, vcc
	v_mad_u64_u32 v[30:31], s[4:5], v30, s19, 0
	v_mov_b32_e32 v32, v31
	v_mad_u64_u32 v[32:33], s[4:5], v33, s19, v[32:33]
	v_sub_co_u32_e32 v8, vcc, v8, v30
	v_subb_co_u32_e32 v9, vcc, v9, v32, vcc
	v_subrev_co_u32_e32 v30, vcc, s19, v8
	v_subbrev_co_u32_e32 v31, vcc, 0, v9, vcc
	v_subrev_co_u32_e32 v32, vcc, s19, v30
	v_subbrev_co_u32_e32 v33, vcc, 0, v31, vcc
	v_cmp_lt_u32_e32 vcc, s20, v30
	v_cndmask_b32_e64 v34, 0, -1, vcc
	v_cmp_eq_u32_e32 vcc, 0, v31
	v_cndmask_b32_e32 v34, -1, v34, vcc
	v_cmp_ne_u32_e32 vcc, 0, v34
	v_cmp_lt_u32_e64 s[4:5], s20, v8
	v_cndmask_b32_e32 v31, v31, v33, vcc
	v_cndmask_b32_e64 v33, 0, -1, s[4:5]
	v_cmp_eq_u32_e64 s[4:5], 0, v9
	v_cndmask_b32_e64 v33, -1, v33, s[4:5]
	v_cmp_ne_u32_e64 s[4:5], 0, v33
	v_cndmask_b32_e32 v30, v30, v32, vcc
	v_cndmask_b32_e64 v9, v9, v31, s[4:5]
	v_cndmask_b32_e64 v8, v8, v30, s[4:5]
	s_branch .LBB29_480
.LBB29_483:
	s_or_b64 exec, exec, s[10:11]
	s_movk_i32 s4, 0x401
	s_add_u32 s4, 0x402, s4
	v_mov_b32_e32 v5, 0xfffff800
	s_addc_u32 s5, 0, 0
	v_add_co_u32_e32 v5, vcc, s4, v5
	s_cmp_lg_u64 vcc, 0
	v_readfirstlane_b32 s10, v5
	s_addc_u32 s4, s5, 1
	s_mul_hi_u32 s11, s10, 0x80000001
	s_mul_i32 s5, s4, 0x80000001
	s_sub_i32 s11, s11, s10
	s_add_i32 s11, s11, s5
	s_mul_i32 s15, s10, 0x80000001
	s_mul_hi_u32 s5, s10, s11
	s_mul_i32 s14, s10, s11
	s_mul_hi_u32 s10, s10, s15
	s_add_u32 s10, s10, s14
	s_addc_u32 s5, 0, s5
	s_mul_hi_u32 s16, s4, s15
	s_mul_i32 s15, s4, s15
	s_add_u32 s10, s10, s15
	s_mul_hi_u32 s14, s4, s11
	s_addc_u32 s5, s5, s16
	s_addc_u32 s10, s14, 0
	s_mul_i32 s11, s4, s11
	s_add_u32 s5, s5, s11
	s_addc_u32 s10, 0, s10
	v_add_co_u32_e32 v5, vcc, s5, v5
	s_cmp_lg_u64 vcc, 0
	s_addc_u32 s10, s4, s10
	v_mad_u64_u32 v[6:7], s[4:5], v8, s10, 0
	v_mul_hi_u32 v30, v8, v5
	v_add_co_u32_e32 v32, vcc, v30, v6
	v_addc_co_u32_e32 v33, vcc, 0, v7, vcc
	v_mad_u64_u32 v[30:31], s[4:5], v9, v5, 0
	v_add_co_u32_e32 v5, vcc, v32, v30
	v_mad_u64_u32 v[6:7], s[4:5], v9, s10, 0
	v_addc_co_u32_e32 v5, vcc, v33, v31, vcc
	v_addc_co_u32_e32 v7, vcc, 0, v7, vcc
	v_add_co_u32_e32 v5, vcc, v5, v6
	s_brev_b32 s10, -2
	v_addc_co_u32_e32 v31, vcc, 0, v7, vcc
	v_mad_u64_u32 v[6:7], s[4:5], v5, s10, 0
	v_mov_b32_e32 v30, v7
	v_mad_u64_u32 v[30:31], s[4:5], v31, s10, v[30:31]
	v_sub_co_u32_e32 v5, vcc, v8, v6
	v_subb_co_u32_e32 v6, vcc, v9, v30, vcc
	v_subrev_co_u32_e32 v7, vcc, 0x7fffffff, v5
	v_subbrev_co_u32_e32 v8, vcc, 0, v6, vcc
	s_mov_b32 s4, 0x7ffffffe
	v_cmp_lt_u32_e32 vcc, s4, v7
	v_cndmask_b32_e64 v9, 0, -1, vcc
	v_cmp_eq_u32_e32 vcc, 0, v8
	v_cndmask_b32_e32 v8, -1, v9, vcc
	v_add_u32_e32 v9, 0x80000001, v7
	v_cmp_ne_u32_e32 vcc, 0, v8
	v_cndmask_b32_e32 v7, v7, v9, vcc
	v_cmp_lt_u32_e32 vcc, s4, v5
	v_cndmask_b32_e64 v8, 0, -1, vcc
	v_cmp_eq_u32_e32 vcc, 0, v6
	v_cndmask_b32_e32 v6, -1, v8, vcc
	v_cmp_ne_u32_e32 vcc, 0, v6
	v_cndmask_b32_e32 v7, v5, v7, vcc
.LBB29_484:
	s_or_b64 exec, exec, s[8:9]
	s_movk_i32 s8, 0x1388
	v_mov_b32_e32 v30, 0
	s_mov_b32 s9, 0xbc8f1391
	s_mov_b32 s10, 0xbc8f
	s_brev_b32 s11, 12
	s_mov_b32 s14, 0xf800000
	v_mov_b32_e32 v5, 0x260
.LBB29_485:                             ; =>This Inner Loop Header: Depth=1
	v_mul_hi_u32 v6, v7, s9
	v_lshrrev_b32_e32 v6, 15, v6
	v_mul_u32_u24_e32 v9, 0xadc8, v6
	v_sub_u32_e32 v7, v7, v9
	v_mul_u32_u24_e32 v6, 0xd47, v6
	v_mul_lo_u32 v7, v7, s10
	v_xor_b32_e32 v9, 0x7fffffff, v6
	v_sub_u32_e32 v31, 0, v6
	v_cmp_lt_u32_e32 vcc, v7, v6
	v_cndmask_b32_e32 v6, v31, v9, vcc
	v_add_u32_e32 v6, v6, v7
	v_mul_hi_u32 v9, v6, s9
	v_lshrrev_b32_e32 v9, 15, v9
	v_mul_u32_u24_e32 v31, 0xadc8, v9
	v_add_u32_e32 v7, -1, v6
	v_sub_u32_e32 v6, v6, v31
	v_mul_u32_u24_e32 v9, 0xd47, v9
	v_mul_lo_u32 v6, v6, s10
	v_xor_b32_e32 v31, 0x7fffffff, v9
	v_sub_u32_e32 v32, 0, v9
	v_cmp_lt_u32_e32 vcc, v6, v9
	v_cndmask_b32_e32 v9, v32, v31, vcc
	v_add_u32_e32 v6, v9, v6
	v_mul_hi_u32 v31, v6, s9
	v_add_u32_e32 v9, -1, v6
	v_lshrrev_b32_e32 v31, 15, v31
	v_cvt_f32_u32_e32 v9, v9
	v_mul_u32_u24_e32 v32, 0xadc8, v31
	v_cvt_f32_u32_e32 v7, v7
	v_sub_u32_e32 v6, v6, v32
	v_mul_u32_u24_e32 v31, 0xd47, v31
	v_mul_lo_u32 v6, v6, s10
	v_xor_b32_e32 v32, 0x7fffffff, v31
	v_sub_u32_e32 v33, 0, v31
	v_cmp_lt_u32_e32 vcc, v6, v31
	v_fma_f32 v9, v9, s11, 0
	v_cndmask_b32_e32 v31, v33, v32, vcc
	v_fma_f32 v7, v7, s11, 0
	v_mul_f32_e32 v9, v9, v9
	v_add_u32_e32 v6, v31, v6
	v_fmac_f32_e32 v9, v7, v7
	v_mul_hi_u32 v31, v6, s9
	v_add_u32_e32 v7, -1, v6
	v_mul_f32_e32 v32, 0x4f800000, v9
	v_lshrrev_b32_e32 v31, 15, v31
	v_cmp_gt_f32_e32 vcc, s14, v9
	v_cvt_f32_u32_e32 v7, v7
	v_cndmask_b32_e32 v9, v9, v32, vcc
	v_mul_u32_u24_e32 v32, 0xadc8, v31
	v_sqrt_f32_e32 v33, v9
	v_sub_u32_e32 v6, v6, v32
	v_mul_u32_u24_e32 v31, 0xd47, v31
	v_mul_lo_u32 v6, v6, s10
	v_xor_b32_e32 v32, 0x7fffffff, v31
	v_sub_u32_e32 v34, 0, v31
	v_cmp_lt_u32_e64 s[4:5], v6, v31
	v_fma_f32 v35, v7, s11, 0
	v_cndmask_b32_e64 v7, v34, v32, s[4:5]
	v_add_u32_e32 v7, v7, v6
	v_add_u32_e32 v6, -1, v33
	v_add_u32_e32 v31, 1, v33
	v_add_u32_e32 v32, -1, v7
	v_fma_f32 v34, -v6, v33, v9
	v_fma_f32 v36, -v31, v33, v9
	v_cvt_f32_u32_e32 v32, v32
	v_cmp_ge_f32_e64 s[4:5], 0, v34
	v_cndmask_b32_e64 v6, v33, v6, s[4:5]
	v_cmp_lt_f32_e64 s[4:5], 0, v36
	v_cndmask_b32_e64 v6, v6, v31, s[4:5]
	v_mul_f32_e32 v31, 0x37800000, v6
	v_cndmask_b32_e32 v6, v6, v31, vcc
	v_fma_f32 v31, v32, s11, 0
	v_cmp_class_f32_e32 vcc, v9, v5
	v_cndmask_b32_e32 v6, v6, v9, vcc
	v_mul_f32_e32 v9, v31, v31
	v_add_f32_e32 v8, 1.0, v30
	v_cmp_nge_f32_e32 vcc, 1.0, v6
	v_fmac_f32_e32 v9, v35, v35
	v_cndmask_b32_e32 v6, v8, v30, vcc
	v_mul_f32_e32 v8, 0x4f800000, v9
	v_cmp_gt_f32_e32 vcc, s14, v9
	v_cndmask_b32_e32 v8, v9, v8, vcc
	v_sqrt_f32_e32 v9, v8
	s_add_i32 s8, s8, -2
	v_add_f32_e32 v30, 1.0, v6
	s_cmp_lg_u32 s8, 0
	v_add_u32_e32 v31, -1, v9
	v_add_u32_e32 v32, 1, v9
	v_fma_f32 v33, -v31, v9, v8
	v_fma_f32 v34, -v32, v9, v8
	v_cmp_ge_f32_e64 s[4:5], 0, v33
	v_cndmask_b32_e64 v9, v9, v31, s[4:5]
	v_cmp_lt_f32_e64 s[4:5], 0, v34
	v_cndmask_b32_e64 v9, v9, v32, s[4:5]
	v_mul_f32_e32 v31, 0x37800000, v9
	v_cndmask_b32_e32 v9, v9, v31, vcc
	v_cmp_class_f32_e32 vcc, v8, v5
	v_cndmask_b32_e32 v8, v9, v8, vcc
	v_cmp_nge_f32_e32 vcc, 1.0, v8
	v_cndmask_b32_e32 v30, v30, v6, vcc
	s_cbranch_scc1 .LBB29_485
; %bb.486:
	v_add_u32_e32 v6, 0xb98c00, v4
	v_cmp_ne_u32_e32 vcc, 0, v6
	v_mov_b32_e32 v7, 1
	s_and_saveexec_b64 s[8:9], vcc
	s_cbranch_execz .LBB29_492
; %bb.487:
	v_mov_b32_e32 v8, 1
	v_mov_b32_e32 v7, 0
	s_mov_b64 s[14:15], 0xbc8f
	s_mov_b64 s[10:11], 0
	v_mov_b32_e32 v9, 0
	s_brev_b32 s19, -2
	s_mov_b32 s20, 0x7ffffffe
	v_mov_b32_e32 v5, 0xfffff800
	s_movk_i32 s21, 0x401
	s_branch .LBB29_489
.LBB29_488:                             ;   in Loop: Header=BB29_489 Depth=1
	s_or_b64 exec, exec, s[16:17]
	s_mul_i32 s4, s14, s15
	s_mul_hi_u32 s5, s14, s14
	s_add_i32 s5, s5, s4
	s_add_i32 s4, s5, s4
	s_mul_i32 s5, s14, s14
	s_add_u32 s14, 0x402, s21
	s_addc_u32 s15, 0, 0
	v_add_co_u32_e32 v31, vcc, s14, v5
	s_cmp_lg_u64 vcc, 0
	v_readfirstlane_b32 s16, v31
	s_addc_u32 s14, s15, 1
	s_mul_hi_u32 s17, s16, 0x80000001
	s_mul_i32 s15, s14, 0x80000001
	s_sub_i32 s17, s17, s16
	s_add_i32 s17, s17, s15
	s_mul_i32 s23, s16, 0x80000001
	s_mul_hi_u32 s15, s16, s17
	s_mul_i32 s22, s16, s17
	s_mul_hi_u32 s16, s16, s23
	s_add_u32 s16, s16, s22
	s_addc_u32 s15, 0, s15
	s_mul_hi_u32 s24, s14, s23
	s_mul_i32 s23, s14, s23
	s_add_u32 s16, s16, s23
	s_mul_hi_u32 s22, s14, s17
	s_addc_u32 s15, s15, s24
	s_addc_u32 s16, s22, 0
	s_mul_i32 s17, s14, s17
	s_add_u32 s15, s15, s17
	s_addc_u32 s16, 0, s16
	v_add_co_u32_e32 v31, vcc, s15, v31
	s_cmp_lg_u64 vcc, 0
	s_addc_u32 s14, s14, s16
	v_readfirstlane_b32 s17, v31
	s_mul_i32 s16, s5, s14
	s_mul_hi_u32 s22, s5, s17
	s_mul_hi_u32 s15, s5, s14
	s_add_u32 s16, s22, s16
	s_addc_u32 s15, 0, s15
	s_mul_hi_u32 s23, s4, s17
	s_mul_i32 s17, s4, s17
	s_add_u32 s16, s16, s17
	s_mul_hi_u32 s22, s4, s14
	s_addc_u32 s15, s15, s23
	s_addc_u32 s16, s22, 0
	s_mul_i32 s14, s4, s14
	s_add_u32 s14, s15, s14
	s_addc_u32 s15, 0, s16
	s_mul_hi_u32 s16, s14, 0x7fffffff
	s_mul_i32 s14, s14, 0x7fffffff
	s_mul_i32 s15, s15, 0x7fffffff
	v_mov_b32_e32 v31, s14
	s_add_i32 s16, s16, s15
	v_sub_co_u32_e32 v31, vcc, s5, v31
	s_cmp_lg_u64 vcc, 0
	s_subb_u32 s4, s4, s16
	v_subrev_co_u32_e32 v34, vcc, s19, v31
	s_cmp_lg_u64 vcc, 0
	s_subb_u32 s5, s4, 0
	v_subrev_co_u32_e32 v35, vcc, s19, v34
	s_cmp_lg_u64 vcc, 0
	s_subb_u32 s14, s5, 0
	v_readfirstlane_b32 s15, v34
	s_cmp_gt_u32 s15, 0x7ffffffe
	s_cselect_b32 s16, -1, 0
	s_cmp_eq_u32 s5, 0
	s_cselect_b32 s16, s16, -1
	s_cmp_lg_u32 s16, 0
	s_cselect_b32 s5, s14, s5
	v_readfirstlane_b32 s14, v35
	v_readfirstlane_b32 s16, v31
	s_cselect_b32 s14, s14, s15
	s_cmp_gt_u32 s16, 0x7ffffffe
	s_cselect_b32 s15, -1, 0
	s_cmp_eq_u32 s4, 0
	s_cselect_b32 s15, s15, -1
	v_lshrrev_b64 v[32:33], 1, v[6:7]
	s_cmp_lg_u32 s15, 0
	v_cmp_gt_u64_e32 vcc, 2, v[6:7]
	s_cselect_b32 s15, s5, s4
	s_cselect_b32 s14, s14, s16
	s_or_b64 s[10:11], vcc, s[10:11]
	v_pk_mov_b32 v[6:7], v[32:33], v[32:33] op_sel:[0,1]
	s_andn2_b64 exec, exec, s[10:11]
	s_cbranch_execz .LBB29_491
.LBB29_489:                             ; =>This Inner Loop Header: Depth=1
	v_and_b32_e32 v31, 1, v6
	v_cmp_eq_u32_e32 vcc, 1, v31
	s_and_saveexec_b64 s[16:17], vcc
	s_cbranch_execz .LBB29_488
; %bb.490:                              ;   in Loop: Header=BB29_489 Depth=1
	v_mul_lo_u32 v31, s15, v8
	v_mul_lo_u32 v32, s14, v9
	v_mad_u64_u32 v[8:9], s[4:5], s14, v8, 0
	s_add_u32 s4, 0x402, s21
	v_add3_u32 v9, v9, v32, v31
	s_addc_u32 s5, 0, 0
	v_add_co_u32_e32 v31, vcc, s4, v5
	s_cmp_lg_u64 vcc, 0
	v_readfirstlane_b32 s22, v31
	s_addc_u32 s4, s5, 1
	s_mul_hi_u32 s23, s22, 0x80000001
	s_mul_i32 s5, s4, 0x80000001
	s_sub_i32 s23, s23, s22
	s_add_i32 s23, s23, s5
	s_mul_i32 s25, s22, 0x80000001
	s_mul_hi_u32 s5, s22, s23
	s_mul_i32 s24, s22, s23
	s_mul_hi_u32 s22, s22, s25
	s_add_u32 s22, s22, s24
	s_addc_u32 s5, 0, s5
	s_mul_hi_u32 s26, s4, s25
	s_mul_i32 s25, s4, s25
	s_add_u32 s22, s22, s25
	s_mul_hi_u32 s24, s4, s23
	s_addc_u32 s5, s5, s26
	s_addc_u32 s22, s24, 0
	s_mul_i32 s23, s4, s23
	s_add_u32 s5, s5, s23
	s_addc_u32 s22, 0, s22
	v_add_co_u32_e32 v31, vcc, s5, v31
	s_cmp_lg_u64 vcc, 0
	s_addc_u32 s22, s4, s22
	v_mad_u64_u32 v[32:33], s[4:5], v8, s22, 0
	v_mul_hi_u32 v34, v8, v31
	v_add_co_u32_e32 v36, vcc, v34, v32
	v_addc_co_u32_e32 v37, vcc, 0, v33, vcc
	v_mad_u64_u32 v[34:35], s[4:5], v9, v31, 0
	v_add_co_u32_e32 v31, vcc, v36, v34
	v_mad_u64_u32 v[32:33], s[4:5], v9, s22, 0
	v_addc_co_u32_e32 v31, vcc, v37, v35, vcc
	v_addc_co_u32_e32 v33, vcc, 0, v33, vcc
	v_add_co_u32_e32 v31, vcc, v31, v32
	v_addc_co_u32_e32 v35, vcc, 0, v33, vcc
	v_mad_u64_u32 v[32:33], s[4:5], v31, s19, 0
	v_mov_b32_e32 v34, v33
	v_mad_u64_u32 v[34:35], s[4:5], v35, s19, v[34:35]
	v_sub_co_u32_e32 v8, vcc, v8, v32
	v_subb_co_u32_e32 v9, vcc, v9, v34, vcc
	v_subrev_co_u32_e32 v31, vcc, s19, v8
	v_subbrev_co_u32_e32 v32, vcc, 0, v9, vcc
	v_subrev_co_u32_e32 v33, vcc, s19, v31
	v_subbrev_co_u32_e32 v34, vcc, 0, v32, vcc
	v_cmp_lt_u32_e32 vcc, s20, v31
	v_cndmask_b32_e64 v35, 0, -1, vcc
	v_cmp_eq_u32_e32 vcc, 0, v32
	v_cndmask_b32_e32 v35, -1, v35, vcc
	v_cmp_ne_u32_e32 vcc, 0, v35
	v_cmp_lt_u32_e64 s[4:5], s20, v8
	v_cndmask_b32_e32 v32, v32, v34, vcc
	v_cndmask_b32_e64 v34, 0, -1, s[4:5]
	v_cmp_eq_u32_e64 s[4:5], 0, v9
	v_cndmask_b32_e64 v34, -1, v34, s[4:5]
	v_cmp_ne_u32_e64 s[4:5], 0, v34
	v_cndmask_b32_e32 v31, v31, v33, vcc
	v_cndmask_b32_e64 v9, v9, v32, s[4:5]
	v_cndmask_b32_e64 v8, v8, v31, s[4:5]
	s_branch .LBB29_488
.LBB29_491:
	s_or_b64 exec, exec, s[10:11]
	s_movk_i32 s4, 0x401
	s_add_u32 s4, 0x402, s4
	v_mov_b32_e32 v5, 0xfffff800
	s_addc_u32 s5, 0, 0
	v_add_co_u32_e32 v5, vcc, s4, v5
	s_cmp_lg_u64 vcc, 0
	v_readfirstlane_b32 s10, v5
	s_addc_u32 s4, s5, 1
	s_mul_hi_u32 s11, s10, 0x80000001
	s_mul_i32 s5, s4, 0x80000001
	s_sub_i32 s11, s11, s10
	s_add_i32 s11, s11, s5
	s_mul_i32 s15, s10, 0x80000001
	s_mul_hi_u32 s5, s10, s11
	s_mul_i32 s14, s10, s11
	s_mul_hi_u32 s10, s10, s15
	s_add_u32 s10, s10, s14
	s_addc_u32 s5, 0, s5
	s_mul_hi_u32 s16, s4, s15
	s_mul_i32 s15, s4, s15
	s_add_u32 s10, s10, s15
	s_mul_hi_u32 s14, s4, s11
	s_addc_u32 s5, s5, s16
	s_addc_u32 s10, s14, 0
	s_mul_i32 s11, s4, s11
	s_add_u32 s5, s5, s11
	s_addc_u32 s10, 0, s10
	v_add_co_u32_e32 v5, vcc, s5, v5
	s_cmp_lg_u64 vcc, 0
	s_addc_u32 s10, s4, s10
	v_mad_u64_u32 v[6:7], s[4:5], v8, s10, 0
	v_mul_hi_u32 v31, v8, v5
	v_add_co_u32_e32 v31, vcc, v31, v6
	v_addc_co_u32_e32 v34, vcc, 0, v7, vcc
	v_mad_u64_u32 v[32:33], s[4:5], v9, v5, 0
	v_add_co_u32_e32 v5, vcc, v31, v32
	v_mad_u64_u32 v[6:7], s[4:5], v9, s10, 0
	v_addc_co_u32_e32 v5, vcc, v34, v33, vcc
	v_addc_co_u32_e32 v7, vcc, 0, v7, vcc
	v_add_co_u32_e32 v5, vcc, v5, v6
	s_brev_b32 s10, -2
	v_addc_co_u32_e32 v31, vcc, 0, v7, vcc
	v_mad_u64_u32 v[6:7], s[4:5], v5, s10, 0
	v_mov_b32_e32 v32, v7
	v_mad_u64_u32 v[32:33], s[4:5], v31, s10, v[32:33]
	v_sub_co_u32_e32 v5, vcc, v8, v6
	v_subb_co_u32_e32 v6, vcc, v9, v32, vcc
	v_subrev_co_u32_e32 v7, vcc, 0x7fffffff, v5
	v_subbrev_co_u32_e32 v8, vcc, 0, v6, vcc
	s_mov_b32 s4, 0x7ffffffe
	v_cmp_lt_u32_e32 vcc, s4, v7
	v_cndmask_b32_e64 v9, 0, -1, vcc
	v_cmp_eq_u32_e32 vcc, 0, v8
	v_cndmask_b32_e32 v8, -1, v9, vcc
	v_add_u32_e32 v9, 0x80000001, v7
	v_cmp_ne_u32_e32 vcc, 0, v8
	v_cndmask_b32_e32 v7, v7, v9, vcc
	v_cmp_lt_u32_e32 vcc, s4, v5
	v_cndmask_b32_e64 v8, 0, -1, vcc
	v_cmp_eq_u32_e32 vcc, 0, v6
	v_cndmask_b32_e32 v6, -1, v8, vcc
	v_cmp_ne_u32_e32 vcc, 0, v6
	v_cndmask_b32_e32 v7, v5, v7, vcc
.LBB29_492:
	s_or_b64 exec, exec, s[8:9]
	s_movk_i32 s8, 0x1388
	v_mov_b32_e32 v31, 0
	s_mov_b32 s9, 0xbc8f1391
	s_mov_b32 s10, 0xbc8f
	s_brev_b32 s11, 12
	s_mov_b32 s14, 0xf800000
	v_mov_b32_e32 v5, 0x260
.LBB29_493:                             ; =>This Inner Loop Header: Depth=1
	v_mul_hi_u32 v6, v7, s9
	v_lshrrev_b32_e32 v6, 15, v6
	v_mul_u32_u24_e32 v9, 0xadc8, v6
	v_sub_u32_e32 v7, v7, v9
	v_mul_u32_u24_e32 v6, 0xd47, v6
	v_mul_lo_u32 v7, v7, s10
	v_xor_b32_e32 v9, 0x7fffffff, v6
	v_sub_u32_e32 v32, 0, v6
	v_cmp_lt_u32_e32 vcc, v7, v6
	v_cndmask_b32_e32 v6, v32, v9, vcc
	v_add_u32_e32 v6, v6, v7
	v_mul_hi_u32 v9, v6, s9
	v_lshrrev_b32_e32 v9, 15, v9
	v_mul_u32_u24_e32 v32, 0xadc8, v9
	v_add_u32_e32 v7, -1, v6
	v_sub_u32_e32 v6, v6, v32
	v_mul_u32_u24_e32 v9, 0xd47, v9
	v_mul_lo_u32 v6, v6, s10
	v_xor_b32_e32 v32, 0x7fffffff, v9
	v_sub_u32_e32 v33, 0, v9
	v_cmp_lt_u32_e32 vcc, v6, v9
	v_cndmask_b32_e32 v9, v33, v32, vcc
	v_add_u32_e32 v6, v9, v6
	v_mul_hi_u32 v32, v6, s9
	v_add_u32_e32 v9, -1, v6
	v_lshrrev_b32_e32 v32, 15, v32
	v_cvt_f32_u32_e32 v9, v9
	v_mul_u32_u24_e32 v33, 0xadc8, v32
	v_cvt_f32_u32_e32 v7, v7
	v_sub_u32_e32 v6, v6, v33
	v_mul_u32_u24_e32 v32, 0xd47, v32
	v_mul_lo_u32 v6, v6, s10
	v_xor_b32_e32 v33, 0x7fffffff, v32
	v_sub_u32_e32 v34, 0, v32
	v_cmp_lt_u32_e32 vcc, v6, v32
	v_fma_f32 v9, v9, s11, 0
	v_cndmask_b32_e32 v32, v34, v33, vcc
	v_fma_f32 v7, v7, s11, 0
	v_mul_f32_e32 v9, v9, v9
	v_add_u32_e32 v6, v32, v6
	v_fmac_f32_e32 v9, v7, v7
	v_mul_hi_u32 v32, v6, s9
	v_add_u32_e32 v7, -1, v6
	v_mul_f32_e32 v33, 0x4f800000, v9
	v_lshrrev_b32_e32 v32, 15, v32
	v_cmp_gt_f32_e32 vcc, s14, v9
	v_cvt_f32_u32_e32 v7, v7
	v_cndmask_b32_e32 v9, v9, v33, vcc
	v_mul_u32_u24_e32 v33, 0xadc8, v32
	v_sqrt_f32_e32 v34, v9
	v_sub_u32_e32 v6, v6, v33
	v_mul_u32_u24_e32 v32, 0xd47, v32
	v_mul_lo_u32 v6, v6, s10
	v_xor_b32_e32 v33, 0x7fffffff, v32
	v_sub_u32_e32 v35, 0, v32
	v_cmp_lt_u32_e64 s[4:5], v6, v32
	v_fma_f32 v36, v7, s11, 0
	v_cndmask_b32_e64 v7, v35, v33, s[4:5]
	v_add_u32_e32 v7, v7, v6
	v_add_u32_e32 v6, -1, v34
	v_add_u32_e32 v32, 1, v34
	v_add_u32_e32 v33, -1, v7
	v_fma_f32 v35, -v6, v34, v9
	v_fma_f32 v37, -v32, v34, v9
	v_cvt_f32_u32_e32 v33, v33
	v_cmp_ge_f32_e64 s[4:5], 0, v35
	v_cndmask_b32_e64 v6, v34, v6, s[4:5]
	v_cmp_lt_f32_e64 s[4:5], 0, v37
	v_cndmask_b32_e64 v6, v6, v32, s[4:5]
	v_mul_f32_e32 v32, 0x37800000, v6
	v_cndmask_b32_e32 v6, v6, v32, vcc
	v_fma_f32 v32, v33, s11, 0
	v_cmp_class_f32_e32 vcc, v9, v5
	v_cndmask_b32_e32 v6, v6, v9, vcc
	v_mul_f32_e32 v9, v32, v32
	v_add_f32_e32 v8, 1.0, v31
	v_cmp_nge_f32_e32 vcc, 1.0, v6
	v_fmac_f32_e32 v9, v36, v36
	v_cndmask_b32_e32 v6, v8, v31, vcc
	v_mul_f32_e32 v8, 0x4f800000, v9
	v_cmp_gt_f32_e32 vcc, s14, v9
	v_cndmask_b32_e32 v8, v9, v8, vcc
	v_sqrt_f32_e32 v9, v8
	s_add_i32 s8, s8, -2
	v_add_f32_e32 v31, 1.0, v6
	s_cmp_lg_u32 s8, 0
	v_add_u32_e32 v32, -1, v9
	v_add_u32_e32 v33, 1, v9
	v_fma_f32 v34, -v32, v9, v8
	v_fma_f32 v35, -v33, v9, v8
	v_cmp_ge_f32_e64 s[4:5], 0, v34
	v_cndmask_b32_e64 v9, v9, v32, s[4:5]
	v_cmp_lt_f32_e64 s[4:5], 0, v35
	v_cndmask_b32_e64 v9, v9, v33, s[4:5]
	v_mul_f32_e32 v32, 0x37800000, v9
	v_cndmask_b32_e32 v9, v9, v32, vcc
	v_cmp_class_f32_e32 vcc, v8, v5
	v_cndmask_b32_e32 v8, v9, v8, vcc
	v_cmp_nge_f32_e32 vcc, 1.0, v8
	v_cndmask_b32_e32 v31, v31, v6, vcc
	s_cbranch_scc1 .LBB29_493
; %bb.494:
	v_add_u32_e32 v6, 0xc35000, v4
	v_cmp_ne_u32_e32 vcc, 0, v6
	v_mov_b32_e32 v7, 1
	s_and_saveexec_b64 s[8:9], vcc
	s_cbranch_execz .LBB29_500
; %bb.495:
	v_mov_b32_e32 v8, 1
	v_mov_b32_e32 v7, 0
	s_mov_b64 s[14:15], 0xbc8f
	s_mov_b64 s[10:11], 0
	v_mov_b32_e32 v9, 0
	s_brev_b32 s19, -2
	s_mov_b32 s20, 0x7ffffffe
	v_mov_b32_e32 v5, 0xfffff800
	s_movk_i32 s21, 0x401
	s_branch .LBB29_497
.LBB29_496:                             ;   in Loop: Header=BB29_497 Depth=1
	s_or_b64 exec, exec, s[16:17]
	s_mul_i32 s4, s14, s15
	s_mul_hi_u32 s5, s14, s14
	s_add_i32 s5, s5, s4
	s_add_i32 s4, s5, s4
	s_mul_i32 s5, s14, s14
	s_add_u32 s14, 0x402, s21
	s_addc_u32 s15, 0, 0
	v_add_co_u32_e32 v34, vcc, s14, v5
	s_cmp_lg_u64 vcc, 0
	v_readfirstlane_b32 s16, v34
	s_addc_u32 s14, s15, 1
	s_mul_hi_u32 s17, s16, 0x80000001
	s_mul_i32 s15, s14, 0x80000001
	s_sub_i32 s17, s17, s16
	s_add_i32 s17, s17, s15
	s_mul_i32 s23, s16, 0x80000001
	s_mul_hi_u32 s15, s16, s17
	s_mul_i32 s22, s16, s17
	s_mul_hi_u32 s16, s16, s23
	s_add_u32 s16, s16, s22
	s_addc_u32 s15, 0, s15
	s_mul_hi_u32 s24, s14, s23
	s_mul_i32 s23, s14, s23
	s_add_u32 s16, s16, s23
	s_mul_hi_u32 s22, s14, s17
	s_addc_u32 s15, s15, s24
	s_addc_u32 s16, s22, 0
	s_mul_i32 s17, s14, s17
	s_add_u32 s15, s15, s17
	s_addc_u32 s16, 0, s16
	v_add_co_u32_e32 v34, vcc, s15, v34
	s_cmp_lg_u64 vcc, 0
	s_addc_u32 s14, s14, s16
	v_readfirstlane_b32 s17, v34
	s_mul_i32 s16, s5, s14
	s_mul_hi_u32 s22, s5, s17
	s_mul_hi_u32 s15, s5, s14
	s_add_u32 s16, s22, s16
	s_addc_u32 s15, 0, s15
	s_mul_hi_u32 s23, s4, s17
	s_mul_i32 s17, s4, s17
	s_add_u32 s16, s16, s17
	s_mul_hi_u32 s22, s4, s14
	s_addc_u32 s15, s15, s23
	s_addc_u32 s16, s22, 0
	s_mul_i32 s14, s4, s14
	s_add_u32 s14, s15, s14
	s_addc_u32 s15, 0, s16
	s_mul_hi_u32 s16, s14, 0x7fffffff
	s_mul_i32 s14, s14, 0x7fffffff
	s_mul_i32 s15, s15, 0x7fffffff
	v_mov_b32_e32 v34, s14
	s_add_i32 s16, s16, s15
	v_sub_co_u32_e32 v34, vcc, s5, v34
	s_cmp_lg_u64 vcc, 0
	s_subb_u32 s4, s4, s16
	v_subrev_co_u32_e32 v35, vcc, s19, v34
	s_cmp_lg_u64 vcc, 0
	s_subb_u32 s5, s4, 0
	v_subrev_co_u32_e32 v36, vcc, s19, v35
	s_cmp_lg_u64 vcc, 0
	s_subb_u32 s14, s5, 0
	v_readfirstlane_b32 s15, v35
	s_cmp_gt_u32 s15, 0x7ffffffe
	s_cselect_b32 s16, -1, 0
	s_cmp_eq_u32 s5, 0
	s_cselect_b32 s16, s16, -1
	s_cmp_lg_u32 s16, 0
	s_cselect_b32 s5, s14, s5
	v_readfirstlane_b32 s14, v36
	v_readfirstlane_b32 s16, v34
	s_cselect_b32 s14, s14, s15
	s_cmp_gt_u32 s16, 0x7ffffffe
	s_cselect_b32 s15, -1, 0
	s_cmp_eq_u32 s4, 0
	s_cselect_b32 s15, s15, -1
	v_lshrrev_b64 v[32:33], 1, v[6:7]
	s_cmp_lg_u32 s15, 0
	v_cmp_gt_u64_e32 vcc, 2, v[6:7]
	s_cselect_b32 s15, s5, s4
	s_cselect_b32 s14, s14, s16
	s_or_b64 s[10:11], vcc, s[10:11]
	v_pk_mov_b32 v[6:7], v[32:33], v[32:33] op_sel:[0,1]
	s_andn2_b64 exec, exec, s[10:11]
	s_cbranch_execz .LBB29_499
.LBB29_497:                             ; =>This Inner Loop Header: Depth=1
	v_and_b32_e32 v32, 1, v6
	v_cmp_eq_u32_e32 vcc, 1, v32
	s_and_saveexec_b64 s[16:17], vcc
	s_cbranch_execz .LBB29_496
; %bb.498:                              ;   in Loop: Header=BB29_497 Depth=1
	v_mul_lo_u32 v32, s15, v8
	v_mul_lo_u32 v33, s14, v9
	v_mad_u64_u32 v[8:9], s[4:5], s14, v8, 0
	s_add_u32 s4, 0x402, s21
	v_add3_u32 v9, v9, v33, v32
	s_addc_u32 s5, 0, 0
	v_add_co_u32_e32 v32, vcc, s4, v5
	s_cmp_lg_u64 vcc, 0
	v_readfirstlane_b32 s22, v32
	s_addc_u32 s4, s5, 1
	s_mul_hi_u32 s23, s22, 0x80000001
	s_mul_i32 s5, s4, 0x80000001
	s_sub_i32 s23, s23, s22
	s_add_i32 s23, s23, s5
	s_mul_i32 s25, s22, 0x80000001
	s_mul_hi_u32 s5, s22, s23
	s_mul_i32 s24, s22, s23
	s_mul_hi_u32 s22, s22, s25
	s_add_u32 s22, s22, s24
	s_addc_u32 s5, 0, s5
	s_mul_hi_u32 s26, s4, s25
	s_mul_i32 s25, s4, s25
	s_add_u32 s22, s22, s25
	s_mul_hi_u32 s24, s4, s23
	s_addc_u32 s5, s5, s26
	s_addc_u32 s22, s24, 0
	s_mul_i32 s23, s4, s23
	s_add_u32 s5, s5, s23
	s_addc_u32 s22, 0, s22
	v_add_co_u32_e32 v34, vcc, s5, v32
	s_cmp_lg_u64 vcc, 0
	s_addc_u32 s22, s4, s22
	v_mad_u64_u32 v[32:33], s[4:5], v8, s22, 0
	v_mul_hi_u32 v35, v8, v34
	v_add_co_u32_e32 v36, vcc, v35, v32
	v_addc_co_u32_e32 v37, vcc, 0, v33, vcc
	v_mad_u64_u32 v[34:35], s[4:5], v9, v34, 0
	v_add_co_u32_e32 v34, vcc, v36, v34
	v_mad_u64_u32 v[32:33], s[4:5], v9, s22, 0
	v_addc_co_u32_e32 v34, vcc, v37, v35, vcc
	v_addc_co_u32_e32 v33, vcc, 0, v33, vcc
	v_add_co_u32_e32 v32, vcc, v34, v32
	v_addc_co_u32_e32 v35, vcc, 0, v33, vcc
	v_mad_u64_u32 v[32:33], s[4:5], v32, s19, 0
	v_mov_b32_e32 v34, v33
	v_mad_u64_u32 v[34:35], s[4:5], v35, s19, v[34:35]
	v_sub_co_u32_e32 v8, vcc, v8, v32
	v_subb_co_u32_e32 v9, vcc, v9, v34, vcc
	v_subrev_co_u32_e32 v32, vcc, s19, v8
	v_subbrev_co_u32_e32 v33, vcc, 0, v9, vcc
	v_subrev_co_u32_e32 v34, vcc, s19, v32
	v_subbrev_co_u32_e32 v35, vcc, 0, v33, vcc
	v_cmp_lt_u32_e32 vcc, s20, v32
	v_cndmask_b32_e64 v36, 0, -1, vcc
	v_cmp_eq_u32_e32 vcc, 0, v33
	v_cndmask_b32_e32 v36, -1, v36, vcc
	v_cmp_ne_u32_e32 vcc, 0, v36
	v_cmp_lt_u32_e64 s[4:5], s20, v8
	v_cndmask_b32_e32 v33, v33, v35, vcc
	v_cndmask_b32_e64 v35, 0, -1, s[4:5]
	v_cmp_eq_u32_e64 s[4:5], 0, v9
	v_cndmask_b32_e64 v35, -1, v35, s[4:5]
	v_cmp_ne_u32_e64 s[4:5], 0, v35
	v_cndmask_b32_e32 v32, v32, v34, vcc
	v_cndmask_b32_e64 v9, v9, v33, s[4:5]
	v_cndmask_b32_e64 v8, v8, v32, s[4:5]
	s_branch .LBB29_496
.LBB29_499:
	s_or_b64 exec, exec, s[10:11]
	s_movk_i32 s4, 0x401
	s_add_u32 s4, 0x402, s4
	v_mov_b32_e32 v5, 0xfffff800
	s_addc_u32 s5, 0, 0
	v_add_co_u32_e32 v5, vcc, s4, v5
	s_cmp_lg_u64 vcc, 0
	v_readfirstlane_b32 s10, v5
	s_addc_u32 s4, s5, 1
	s_mul_hi_u32 s11, s10, 0x80000001
	s_mul_i32 s5, s4, 0x80000001
	s_sub_i32 s11, s11, s10
	s_add_i32 s11, s11, s5
	s_mul_i32 s15, s10, 0x80000001
	s_mul_hi_u32 s5, s10, s11
	s_mul_i32 s14, s10, s11
	s_mul_hi_u32 s10, s10, s15
	s_add_u32 s10, s10, s14
	s_addc_u32 s5, 0, s5
	s_mul_hi_u32 s16, s4, s15
	s_mul_i32 s15, s4, s15
	s_add_u32 s10, s10, s15
	s_mul_hi_u32 s14, s4, s11
	s_addc_u32 s5, s5, s16
	s_addc_u32 s10, s14, 0
	s_mul_i32 s11, s4, s11
	s_add_u32 s5, s5, s11
	s_addc_u32 s10, 0, s10
	v_add_co_u32_e32 v5, vcc, s5, v5
	s_cmp_lg_u64 vcc, 0
	s_addc_u32 s10, s4, s10
	v_mad_u64_u32 v[6:7], s[4:5], v8, s10, 0
	v_mul_hi_u32 v32, v8, v5
	v_add_co_u32_e32 v34, vcc, v32, v6
	v_addc_co_u32_e32 v35, vcc, 0, v7, vcc
	v_mad_u64_u32 v[32:33], s[4:5], v9, v5, 0
	v_add_co_u32_e32 v5, vcc, v34, v32
	v_mad_u64_u32 v[6:7], s[4:5], v9, s10, 0
	v_addc_co_u32_e32 v5, vcc, v35, v33, vcc
	v_addc_co_u32_e32 v7, vcc, 0, v7, vcc
	v_add_co_u32_e32 v5, vcc, v5, v6
	s_brev_b32 s10, -2
	v_addc_co_u32_e32 v33, vcc, 0, v7, vcc
	v_mad_u64_u32 v[6:7], s[4:5], v5, s10, 0
	v_mov_b32_e32 v32, v7
	v_mad_u64_u32 v[32:33], s[4:5], v33, s10, v[32:33]
	v_sub_co_u32_e32 v5, vcc, v8, v6
	v_subb_co_u32_e32 v6, vcc, v9, v32, vcc
	v_subrev_co_u32_e32 v7, vcc, 0x7fffffff, v5
	v_subbrev_co_u32_e32 v8, vcc, 0, v6, vcc
	s_mov_b32 s4, 0x7ffffffe
	v_cmp_lt_u32_e32 vcc, s4, v7
	v_cndmask_b32_e64 v9, 0, -1, vcc
	v_cmp_eq_u32_e32 vcc, 0, v8
	v_cndmask_b32_e32 v8, -1, v9, vcc
	v_add_u32_e32 v9, 0x80000001, v7
	v_cmp_ne_u32_e32 vcc, 0, v8
	v_cndmask_b32_e32 v7, v7, v9, vcc
	v_cmp_lt_u32_e32 vcc, s4, v5
	v_cndmask_b32_e64 v8, 0, -1, vcc
	v_cmp_eq_u32_e32 vcc, 0, v6
	v_cndmask_b32_e32 v6, -1, v8, vcc
	v_cmp_ne_u32_e32 vcc, 0, v6
	v_cndmask_b32_e32 v7, v5, v7, vcc
.LBB29_500:
	s_or_b64 exec, exec, s[8:9]
	s_movk_i32 s8, 0x1388
	v_mov_b32_e32 v32, 0
	s_mov_b32 s9, 0xbc8f1391
	s_mov_b32 s10, 0xbc8f
	s_brev_b32 s11, 12
	s_mov_b32 s14, 0xf800000
	v_mov_b32_e32 v5, 0x260
.LBB29_501:                             ; =>This Inner Loop Header: Depth=1
	v_mul_hi_u32 v6, v7, s9
	v_lshrrev_b32_e32 v6, 15, v6
	v_mul_u32_u24_e32 v9, 0xadc8, v6
	v_sub_u32_e32 v7, v7, v9
	v_mul_u32_u24_e32 v6, 0xd47, v6
	v_mul_lo_u32 v7, v7, s10
	v_xor_b32_e32 v9, 0x7fffffff, v6
	v_sub_u32_e32 v33, 0, v6
	v_cmp_lt_u32_e32 vcc, v7, v6
	v_cndmask_b32_e32 v6, v33, v9, vcc
	v_add_u32_e32 v6, v6, v7
	v_mul_hi_u32 v9, v6, s9
	v_lshrrev_b32_e32 v9, 15, v9
	v_mul_u32_u24_e32 v33, 0xadc8, v9
	v_add_u32_e32 v7, -1, v6
	v_sub_u32_e32 v6, v6, v33
	v_mul_u32_u24_e32 v9, 0xd47, v9
	v_mul_lo_u32 v6, v6, s10
	v_xor_b32_e32 v33, 0x7fffffff, v9
	v_sub_u32_e32 v34, 0, v9
	v_cmp_lt_u32_e32 vcc, v6, v9
	v_cndmask_b32_e32 v9, v34, v33, vcc
	v_add_u32_e32 v6, v9, v6
	v_mul_hi_u32 v33, v6, s9
	v_add_u32_e32 v9, -1, v6
	v_lshrrev_b32_e32 v33, 15, v33
	v_cvt_f32_u32_e32 v9, v9
	v_mul_u32_u24_e32 v34, 0xadc8, v33
	v_cvt_f32_u32_e32 v7, v7
	v_sub_u32_e32 v6, v6, v34
	v_mul_u32_u24_e32 v33, 0xd47, v33
	v_mul_lo_u32 v6, v6, s10
	v_xor_b32_e32 v34, 0x7fffffff, v33
	v_sub_u32_e32 v35, 0, v33
	v_cmp_lt_u32_e32 vcc, v6, v33
	v_fma_f32 v9, v9, s11, 0
	v_cndmask_b32_e32 v33, v35, v34, vcc
	v_fma_f32 v7, v7, s11, 0
	v_mul_f32_e32 v9, v9, v9
	v_add_u32_e32 v6, v33, v6
	v_fmac_f32_e32 v9, v7, v7
	v_mul_hi_u32 v33, v6, s9
	v_add_u32_e32 v7, -1, v6
	v_mul_f32_e32 v34, 0x4f800000, v9
	v_lshrrev_b32_e32 v33, 15, v33
	v_cmp_gt_f32_e32 vcc, s14, v9
	v_cvt_f32_u32_e32 v7, v7
	v_cndmask_b32_e32 v9, v9, v34, vcc
	v_mul_u32_u24_e32 v34, 0xadc8, v33
	v_sqrt_f32_e32 v35, v9
	v_sub_u32_e32 v6, v6, v34
	v_mul_u32_u24_e32 v33, 0xd47, v33
	v_mul_lo_u32 v6, v6, s10
	v_xor_b32_e32 v34, 0x7fffffff, v33
	v_sub_u32_e32 v36, 0, v33
	v_cmp_lt_u32_e64 s[4:5], v6, v33
	v_fma_f32 v37, v7, s11, 0
	v_cndmask_b32_e64 v7, v36, v34, s[4:5]
	v_add_u32_e32 v7, v7, v6
	v_add_u32_e32 v6, -1, v35
	v_add_u32_e32 v33, 1, v35
	v_add_u32_e32 v34, -1, v7
	v_fma_f32 v36, -v6, v35, v9
	v_fma_f32 v38, -v33, v35, v9
	v_cvt_f32_u32_e32 v34, v34
	v_cmp_ge_f32_e64 s[4:5], 0, v36
	v_cndmask_b32_e64 v6, v35, v6, s[4:5]
	v_cmp_lt_f32_e64 s[4:5], 0, v38
	v_cndmask_b32_e64 v6, v6, v33, s[4:5]
	v_mul_f32_e32 v33, 0x37800000, v6
	v_cndmask_b32_e32 v6, v6, v33, vcc
	v_fma_f32 v33, v34, s11, 0
	v_cmp_class_f32_e32 vcc, v9, v5
	v_cndmask_b32_e32 v6, v6, v9, vcc
	v_mul_f32_e32 v9, v33, v33
	v_add_f32_e32 v8, 1.0, v32
	v_cmp_nge_f32_e32 vcc, 1.0, v6
	v_fmac_f32_e32 v9, v37, v37
	v_cndmask_b32_e32 v6, v8, v32, vcc
	v_mul_f32_e32 v8, 0x4f800000, v9
	v_cmp_gt_f32_e32 vcc, s14, v9
	v_cndmask_b32_e32 v8, v9, v8, vcc
	v_sqrt_f32_e32 v9, v8
	s_add_i32 s8, s8, -2
	v_add_f32_e32 v32, 1.0, v6
	s_cmp_lg_u32 s8, 0
	v_add_u32_e32 v33, -1, v9
	v_add_u32_e32 v34, 1, v9
	v_fma_f32 v35, -v33, v9, v8
	v_fma_f32 v36, -v34, v9, v8
	v_cmp_ge_f32_e64 s[4:5], 0, v35
	v_cndmask_b32_e64 v9, v9, v33, s[4:5]
	v_cmp_lt_f32_e64 s[4:5], 0, v36
	v_cndmask_b32_e64 v9, v9, v34, s[4:5]
	v_mul_f32_e32 v33, 0x37800000, v9
	v_cndmask_b32_e32 v9, v9, v33, vcc
	v_cmp_class_f32_e32 vcc, v8, v5
	v_cndmask_b32_e32 v8, v9, v8, vcc
	v_cmp_nge_f32_e32 vcc, 1.0, v8
	v_cndmask_b32_e32 v32, v32, v6, vcc
	s_cbranch_scc1 .LBB29_501
; %bb.502:
	v_add_u32_e32 v6, 0xcd1400, v4
	v_cmp_ne_u32_e32 vcc, 0, v6
	v_mov_b32_e32 v7, 1
	s_and_saveexec_b64 s[8:9], vcc
	s_cbranch_execz .LBB29_508
; %bb.503:
	v_mov_b32_e32 v8, 1
	v_mov_b32_e32 v7, 0
	s_mov_b64 s[14:15], 0xbc8f
	s_mov_b64 s[10:11], 0
	v_mov_b32_e32 v9, 0
	s_brev_b32 s19, -2
	s_mov_b32 s20, 0x7ffffffe
	v_mov_b32_e32 v5, 0xfffff800
	s_movk_i32 s21, 0x401
	s_branch .LBB29_505
.LBB29_504:                             ;   in Loop: Header=BB29_505 Depth=1
	s_or_b64 exec, exec, s[16:17]
	s_mul_i32 s4, s14, s15
	s_mul_hi_u32 s5, s14, s14
	s_add_i32 s5, s5, s4
	s_add_i32 s4, s5, s4
	s_mul_i32 s5, s14, s14
	s_add_u32 s14, 0x402, s21
	s_addc_u32 s15, 0, 0
	v_add_co_u32_e32 v33, vcc, s14, v5
	s_cmp_lg_u64 vcc, 0
	v_readfirstlane_b32 s16, v33
	s_addc_u32 s14, s15, 1
	s_mul_hi_u32 s17, s16, 0x80000001
	s_mul_i32 s15, s14, 0x80000001
	s_sub_i32 s17, s17, s16
	s_add_i32 s17, s17, s15
	s_mul_i32 s23, s16, 0x80000001
	s_mul_hi_u32 s15, s16, s17
	s_mul_i32 s22, s16, s17
	s_mul_hi_u32 s16, s16, s23
	s_add_u32 s16, s16, s22
	s_addc_u32 s15, 0, s15
	s_mul_hi_u32 s24, s14, s23
	s_mul_i32 s23, s14, s23
	s_add_u32 s16, s16, s23
	s_mul_hi_u32 s22, s14, s17
	s_addc_u32 s15, s15, s24
	s_addc_u32 s16, s22, 0
	s_mul_i32 s17, s14, s17
	s_add_u32 s15, s15, s17
	s_addc_u32 s16, 0, s16
	v_add_co_u32_e32 v33, vcc, s15, v33
	s_cmp_lg_u64 vcc, 0
	s_addc_u32 s14, s14, s16
	v_readfirstlane_b32 s17, v33
	s_mul_i32 s16, s5, s14
	s_mul_hi_u32 s22, s5, s17
	s_mul_hi_u32 s15, s5, s14
	s_add_u32 s16, s22, s16
	s_addc_u32 s15, 0, s15
	s_mul_hi_u32 s23, s4, s17
	s_mul_i32 s17, s4, s17
	s_add_u32 s16, s16, s17
	s_mul_hi_u32 s22, s4, s14
	s_addc_u32 s15, s15, s23
	s_addc_u32 s16, s22, 0
	s_mul_i32 s14, s4, s14
	s_add_u32 s14, s15, s14
	s_addc_u32 s15, 0, s16
	s_mul_hi_u32 s16, s14, 0x7fffffff
	s_mul_i32 s14, s14, 0x7fffffff
	s_mul_i32 s15, s15, 0x7fffffff
	v_mov_b32_e32 v33, s14
	s_add_i32 s16, s16, s15
	v_sub_co_u32_e32 v33, vcc, s5, v33
	s_cmp_lg_u64 vcc, 0
	s_subb_u32 s4, s4, s16
	v_subrev_co_u32_e32 v36, vcc, s19, v33
	s_cmp_lg_u64 vcc, 0
	s_subb_u32 s5, s4, 0
	v_subrev_co_u32_e32 v37, vcc, s19, v36
	s_cmp_lg_u64 vcc, 0
	s_subb_u32 s14, s5, 0
	v_readfirstlane_b32 s15, v36
	s_cmp_gt_u32 s15, 0x7ffffffe
	s_cselect_b32 s16, -1, 0
	s_cmp_eq_u32 s5, 0
	s_cselect_b32 s16, s16, -1
	s_cmp_lg_u32 s16, 0
	s_cselect_b32 s5, s14, s5
	v_readfirstlane_b32 s14, v37
	v_readfirstlane_b32 s16, v33
	s_cselect_b32 s14, s14, s15
	s_cmp_gt_u32 s16, 0x7ffffffe
	s_cselect_b32 s15, -1, 0
	s_cmp_eq_u32 s4, 0
	s_cselect_b32 s15, s15, -1
	v_lshrrev_b64 v[34:35], 1, v[6:7]
	s_cmp_lg_u32 s15, 0
	v_cmp_gt_u64_e32 vcc, 2, v[6:7]
	s_cselect_b32 s15, s5, s4
	s_cselect_b32 s14, s14, s16
	s_or_b64 s[10:11], vcc, s[10:11]
	v_pk_mov_b32 v[6:7], v[34:35], v[34:35] op_sel:[0,1]
	s_andn2_b64 exec, exec, s[10:11]
	s_cbranch_execz .LBB29_507
.LBB29_505:                             ; =>This Inner Loop Header: Depth=1
	v_and_b32_e32 v33, 1, v6
	v_cmp_eq_u32_e32 vcc, 1, v33
	s_and_saveexec_b64 s[16:17], vcc
	s_cbranch_execz .LBB29_504
; %bb.506:                              ;   in Loop: Header=BB29_505 Depth=1
	v_mul_lo_u32 v33, s15, v8
	v_mul_lo_u32 v34, s14, v9
	v_mad_u64_u32 v[8:9], s[4:5], s14, v8, 0
	s_add_u32 s4, 0x402, s21
	v_add3_u32 v9, v9, v34, v33
	s_addc_u32 s5, 0, 0
	v_add_co_u32_e32 v33, vcc, s4, v5
	s_cmp_lg_u64 vcc, 0
	v_readfirstlane_b32 s22, v33
	s_addc_u32 s4, s5, 1
	s_mul_hi_u32 s23, s22, 0x80000001
	s_mul_i32 s5, s4, 0x80000001
	s_sub_i32 s23, s23, s22
	s_add_i32 s23, s23, s5
	s_mul_i32 s25, s22, 0x80000001
	s_mul_hi_u32 s5, s22, s23
	s_mul_i32 s24, s22, s23
	s_mul_hi_u32 s22, s22, s25
	s_add_u32 s22, s22, s24
	s_addc_u32 s5, 0, s5
	s_mul_hi_u32 s26, s4, s25
	s_mul_i32 s25, s4, s25
	s_add_u32 s22, s22, s25
	s_mul_hi_u32 s24, s4, s23
	s_addc_u32 s5, s5, s26
	s_addc_u32 s22, s24, 0
	s_mul_i32 s23, s4, s23
	s_add_u32 s5, s5, s23
	s_addc_u32 s22, 0, s22
	v_add_co_u32_e32 v33, vcc, s5, v33
	s_cmp_lg_u64 vcc, 0
	s_addc_u32 s22, s4, s22
	v_mad_u64_u32 v[34:35], s[4:5], v8, s22, 0
	v_mul_hi_u32 v36, v8, v33
	v_add_co_u32_e32 v38, vcc, v36, v34
	v_addc_co_u32_e32 v39, vcc, 0, v35, vcc
	v_mad_u64_u32 v[36:37], s[4:5], v9, v33, 0
	v_add_co_u32_e32 v33, vcc, v38, v36
	v_mad_u64_u32 v[34:35], s[4:5], v9, s22, 0
	v_addc_co_u32_e32 v33, vcc, v39, v37, vcc
	v_addc_co_u32_e32 v35, vcc, 0, v35, vcc
	v_add_co_u32_e32 v33, vcc, v33, v34
	v_addc_co_u32_e32 v37, vcc, 0, v35, vcc
	v_mad_u64_u32 v[34:35], s[4:5], v33, s19, 0
	v_mov_b32_e32 v36, v35
	v_mad_u64_u32 v[36:37], s[4:5], v37, s19, v[36:37]
	v_sub_co_u32_e32 v8, vcc, v8, v34
	v_subb_co_u32_e32 v9, vcc, v9, v36, vcc
	v_subrev_co_u32_e32 v33, vcc, s19, v8
	v_subbrev_co_u32_e32 v34, vcc, 0, v9, vcc
	v_subrev_co_u32_e32 v35, vcc, s19, v33
	v_subbrev_co_u32_e32 v36, vcc, 0, v34, vcc
	v_cmp_lt_u32_e32 vcc, s20, v33
	v_cndmask_b32_e64 v37, 0, -1, vcc
	v_cmp_eq_u32_e32 vcc, 0, v34
	v_cndmask_b32_e32 v37, -1, v37, vcc
	v_cmp_ne_u32_e32 vcc, 0, v37
	v_cmp_lt_u32_e64 s[4:5], s20, v8
	v_cndmask_b32_e32 v34, v34, v36, vcc
	v_cndmask_b32_e64 v36, 0, -1, s[4:5]
	v_cmp_eq_u32_e64 s[4:5], 0, v9
	v_cndmask_b32_e64 v36, -1, v36, s[4:5]
	v_cmp_ne_u32_e64 s[4:5], 0, v36
	v_cndmask_b32_e32 v33, v33, v35, vcc
	v_cndmask_b32_e64 v9, v9, v34, s[4:5]
	v_cndmask_b32_e64 v8, v8, v33, s[4:5]
	s_branch .LBB29_504
.LBB29_507:
	s_or_b64 exec, exec, s[10:11]
	s_movk_i32 s4, 0x401
	s_add_u32 s4, 0x402, s4
	v_mov_b32_e32 v5, 0xfffff800
	s_addc_u32 s5, 0, 0
	v_add_co_u32_e32 v5, vcc, s4, v5
	s_cmp_lg_u64 vcc, 0
	v_readfirstlane_b32 s10, v5
	s_addc_u32 s4, s5, 1
	s_mul_hi_u32 s11, s10, 0x80000001
	s_mul_i32 s5, s4, 0x80000001
	s_sub_i32 s11, s11, s10
	s_add_i32 s11, s11, s5
	s_mul_i32 s15, s10, 0x80000001
	s_mul_hi_u32 s5, s10, s11
	s_mul_i32 s14, s10, s11
	s_mul_hi_u32 s10, s10, s15
	s_add_u32 s10, s10, s14
	s_addc_u32 s5, 0, s5
	s_mul_hi_u32 s16, s4, s15
	s_mul_i32 s15, s4, s15
	s_add_u32 s10, s10, s15
	s_mul_hi_u32 s14, s4, s11
	s_addc_u32 s5, s5, s16
	s_addc_u32 s10, s14, 0
	s_mul_i32 s11, s4, s11
	s_add_u32 s5, s5, s11
	s_addc_u32 s10, 0, s10
	v_add_co_u32_e32 v5, vcc, s5, v5
	s_cmp_lg_u64 vcc, 0
	s_addc_u32 s10, s4, s10
	v_mad_u64_u32 v[6:7], s[4:5], v8, s10, 0
	v_mul_hi_u32 v33, v8, v5
	v_add_co_u32_e32 v33, vcc, v33, v6
	v_addc_co_u32_e32 v36, vcc, 0, v7, vcc
	v_mad_u64_u32 v[34:35], s[4:5], v9, v5, 0
	v_add_co_u32_e32 v5, vcc, v33, v34
	v_mad_u64_u32 v[6:7], s[4:5], v9, s10, 0
	v_addc_co_u32_e32 v5, vcc, v36, v35, vcc
	v_addc_co_u32_e32 v7, vcc, 0, v7, vcc
	v_add_co_u32_e32 v5, vcc, v5, v6
	s_brev_b32 s10, -2
	v_addc_co_u32_e32 v33, vcc, 0, v7, vcc
	v_mad_u64_u32 v[6:7], s[4:5], v5, s10, 0
	v_mov_b32_e32 v34, v7
	v_mad_u64_u32 v[34:35], s[4:5], v33, s10, v[34:35]
	v_sub_co_u32_e32 v5, vcc, v8, v6
	v_subb_co_u32_e32 v6, vcc, v9, v34, vcc
	v_subrev_co_u32_e32 v7, vcc, 0x7fffffff, v5
	v_subbrev_co_u32_e32 v8, vcc, 0, v6, vcc
	s_mov_b32 s4, 0x7ffffffe
	v_cmp_lt_u32_e32 vcc, s4, v7
	v_cndmask_b32_e64 v9, 0, -1, vcc
	v_cmp_eq_u32_e32 vcc, 0, v8
	v_cndmask_b32_e32 v8, -1, v9, vcc
	v_add_u32_e32 v9, 0x80000001, v7
	v_cmp_ne_u32_e32 vcc, 0, v8
	v_cndmask_b32_e32 v7, v7, v9, vcc
	v_cmp_lt_u32_e32 vcc, s4, v5
	v_cndmask_b32_e64 v8, 0, -1, vcc
	v_cmp_eq_u32_e32 vcc, 0, v6
	v_cndmask_b32_e32 v6, -1, v8, vcc
	v_cmp_ne_u32_e32 vcc, 0, v6
	v_cndmask_b32_e32 v7, v5, v7, vcc
.LBB29_508:
	s_or_b64 exec, exec, s[8:9]
	s_movk_i32 s8, 0x1388
	v_mov_b32_e32 v33, 0
	s_mov_b32 s9, 0xbc8f1391
	s_mov_b32 s10, 0xbc8f
	s_brev_b32 s11, 12
	s_mov_b32 s14, 0xf800000
	v_mov_b32_e32 v5, 0x260
.LBB29_509:                             ; =>This Inner Loop Header: Depth=1
	v_mul_hi_u32 v6, v7, s9
	v_lshrrev_b32_e32 v6, 15, v6
	v_mul_u32_u24_e32 v9, 0xadc8, v6
	v_sub_u32_e32 v7, v7, v9
	v_mul_u32_u24_e32 v6, 0xd47, v6
	v_mul_lo_u32 v7, v7, s10
	v_xor_b32_e32 v9, 0x7fffffff, v6
	v_sub_u32_e32 v34, 0, v6
	v_cmp_lt_u32_e32 vcc, v7, v6
	v_cndmask_b32_e32 v6, v34, v9, vcc
	v_add_u32_e32 v6, v6, v7
	v_mul_hi_u32 v9, v6, s9
	v_lshrrev_b32_e32 v9, 15, v9
	v_mul_u32_u24_e32 v34, 0xadc8, v9
	v_add_u32_e32 v7, -1, v6
	v_sub_u32_e32 v6, v6, v34
	v_mul_u32_u24_e32 v9, 0xd47, v9
	v_mul_lo_u32 v6, v6, s10
	v_xor_b32_e32 v34, 0x7fffffff, v9
	v_sub_u32_e32 v35, 0, v9
	v_cmp_lt_u32_e32 vcc, v6, v9
	v_cndmask_b32_e32 v9, v35, v34, vcc
	v_add_u32_e32 v6, v9, v6
	v_mul_hi_u32 v34, v6, s9
	v_add_u32_e32 v9, -1, v6
	v_lshrrev_b32_e32 v34, 15, v34
	v_cvt_f32_u32_e32 v9, v9
	v_mul_u32_u24_e32 v35, 0xadc8, v34
	v_cvt_f32_u32_e32 v7, v7
	v_sub_u32_e32 v6, v6, v35
	v_mul_u32_u24_e32 v34, 0xd47, v34
	v_mul_lo_u32 v6, v6, s10
	v_xor_b32_e32 v35, 0x7fffffff, v34
	v_sub_u32_e32 v36, 0, v34
	v_cmp_lt_u32_e32 vcc, v6, v34
	v_fma_f32 v9, v9, s11, 0
	v_cndmask_b32_e32 v34, v36, v35, vcc
	v_fma_f32 v7, v7, s11, 0
	v_mul_f32_e32 v9, v9, v9
	v_add_u32_e32 v6, v34, v6
	v_fmac_f32_e32 v9, v7, v7
	v_mul_hi_u32 v34, v6, s9
	v_add_u32_e32 v7, -1, v6
	v_mul_f32_e32 v35, 0x4f800000, v9
	v_lshrrev_b32_e32 v34, 15, v34
	v_cmp_gt_f32_e32 vcc, s14, v9
	v_cvt_f32_u32_e32 v7, v7
	v_cndmask_b32_e32 v9, v9, v35, vcc
	v_mul_u32_u24_e32 v35, 0xadc8, v34
	v_sqrt_f32_e32 v36, v9
	v_sub_u32_e32 v6, v6, v35
	v_mul_u32_u24_e32 v34, 0xd47, v34
	v_mul_lo_u32 v6, v6, s10
	v_xor_b32_e32 v35, 0x7fffffff, v34
	v_sub_u32_e32 v37, 0, v34
	v_cmp_lt_u32_e64 s[4:5], v6, v34
	v_fma_f32 v38, v7, s11, 0
	v_cndmask_b32_e64 v7, v37, v35, s[4:5]
	v_add_u32_e32 v7, v7, v6
	v_add_u32_e32 v6, -1, v36
	v_add_u32_e32 v34, 1, v36
	v_add_u32_e32 v35, -1, v7
	v_fma_f32 v37, -v6, v36, v9
	v_fma_f32 v39, -v34, v36, v9
	v_cvt_f32_u32_e32 v35, v35
	v_cmp_ge_f32_e64 s[4:5], 0, v37
	v_cndmask_b32_e64 v6, v36, v6, s[4:5]
	v_cmp_lt_f32_e64 s[4:5], 0, v39
	v_cndmask_b32_e64 v6, v6, v34, s[4:5]
	v_mul_f32_e32 v34, 0x37800000, v6
	v_cndmask_b32_e32 v6, v6, v34, vcc
	v_fma_f32 v34, v35, s11, 0
	v_cmp_class_f32_e32 vcc, v9, v5
	v_cndmask_b32_e32 v6, v6, v9, vcc
	v_mul_f32_e32 v9, v34, v34
	v_add_f32_e32 v8, 1.0, v33
	v_cmp_nge_f32_e32 vcc, 1.0, v6
	v_fmac_f32_e32 v9, v38, v38
	v_cndmask_b32_e32 v6, v8, v33, vcc
	v_mul_f32_e32 v8, 0x4f800000, v9
	v_cmp_gt_f32_e32 vcc, s14, v9
	v_cndmask_b32_e32 v8, v9, v8, vcc
	v_sqrt_f32_e32 v9, v8
	s_add_i32 s8, s8, -2
	v_add_f32_e32 v33, 1.0, v6
	s_cmp_lg_u32 s8, 0
	v_add_u32_e32 v34, -1, v9
	v_add_u32_e32 v35, 1, v9
	v_fma_f32 v36, -v34, v9, v8
	v_fma_f32 v37, -v35, v9, v8
	v_cmp_ge_f32_e64 s[4:5], 0, v36
	v_cndmask_b32_e64 v9, v9, v34, s[4:5]
	v_cmp_lt_f32_e64 s[4:5], 0, v37
	v_cndmask_b32_e64 v9, v9, v35, s[4:5]
	v_mul_f32_e32 v34, 0x37800000, v9
	v_cndmask_b32_e32 v9, v9, v34, vcc
	v_cmp_class_f32_e32 vcc, v8, v5
	v_cndmask_b32_e32 v8, v9, v8, vcc
	v_cmp_nge_f32_e32 vcc, 1.0, v8
	v_cndmask_b32_e32 v33, v33, v6, vcc
	s_cbranch_scc1 .LBB29_509
; %bb.510:
	v_add_u32_e32 v6, 0xd6d800, v4
	v_cmp_ne_u32_e32 vcc, 0, v6
	v_mov_b32_e32 v7, 1
	s_and_saveexec_b64 s[8:9], vcc
	s_cbranch_execz .LBB29_516
; %bb.511:
	v_mov_b32_e32 v8, 1
	v_mov_b32_e32 v7, 0
	s_mov_b64 s[14:15], 0xbc8f
	s_mov_b64 s[10:11], 0
	v_mov_b32_e32 v9, 0
	s_brev_b32 s19, -2
	s_mov_b32 s20, 0x7ffffffe
	v_mov_b32_e32 v5, 0xfffff800
	s_movk_i32 s21, 0x401
	s_branch .LBB29_513
.LBB29_512:                             ;   in Loop: Header=BB29_513 Depth=1
	s_or_b64 exec, exec, s[16:17]
	s_mul_i32 s4, s14, s15
	s_mul_hi_u32 s5, s14, s14
	s_add_i32 s5, s5, s4
	s_add_i32 s4, s5, s4
	s_mul_i32 s5, s14, s14
	s_add_u32 s14, 0x402, s21
	s_addc_u32 s15, 0, 0
	v_add_co_u32_e32 v36, vcc, s14, v5
	s_cmp_lg_u64 vcc, 0
	v_readfirstlane_b32 s16, v36
	s_addc_u32 s14, s15, 1
	s_mul_hi_u32 s17, s16, 0x80000001
	s_mul_i32 s15, s14, 0x80000001
	s_sub_i32 s17, s17, s16
	s_add_i32 s17, s17, s15
	s_mul_i32 s23, s16, 0x80000001
	s_mul_hi_u32 s15, s16, s17
	s_mul_i32 s22, s16, s17
	s_mul_hi_u32 s16, s16, s23
	s_add_u32 s16, s16, s22
	s_addc_u32 s15, 0, s15
	s_mul_hi_u32 s24, s14, s23
	s_mul_i32 s23, s14, s23
	s_add_u32 s16, s16, s23
	s_mul_hi_u32 s22, s14, s17
	s_addc_u32 s15, s15, s24
	s_addc_u32 s16, s22, 0
	s_mul_i32 s17, s14, s17
	s_add_u32 s15, s15, s17
	s_addc_u32 s16, 0, s16
	v_add_co_u32_e32 v36, vcc, s15, v36
	s_cmp_lg_u64 vcc, 0
	s_addc_u32 s14, s14, s16
	v_readfirstlane_b32 s17, v36
	s_mul_i32 s16, s5, s14
	s_mul_hi_u32 s22, s5, s17
	s_mul_hi_u32 s15, s5, s14
	s_add_u32 s16, s22, s16
	s_addc_u32 s15, 0, s15
	s_mul_hi_u32 s23, s4, s17
	s_mul_i32 s17, s4, s17
	s_add_u32 s16, s16, s17
	s_mul_hi_u32 s22, s4, s14
	s_addc_u32 s15, s15, s23
	s_addc_u32 s16, s22, 0
	s_mul_i32 s14, s4, s14
	s_add_u32 s14, s15, s14
	s_addc_u32 s15, 0, s16
	s_mul_hi_u32 s16, s14, 0x7fffffff
	s_mul_i32 s14, s14, 0x7fffffff
	s_mul_i32 s15, s15, 0x7fffffff
	v_mov_b32_e32 v36, s14
	s_add_i32 s16, s16, s15
	v_sub_co_u32_e32 v36, vcc, s5, v36
	s_cmp_lg_u64 vcc, 0
	s_subb_u32 s4, s4, s16
	v_subrev_co_u32_e32 v37, vcc, s19, v36
	s_cmp_lg_u64 vcc, 0
	s_subb_u32 s5, s4, 0
	v_subrev_co_u32_e32 v38, vcc, s19, v37
	s_cmp_lg_u64 vcc, 0
	s_subb_u32 s14, s5, 0
	v_readfirstlane_b32 s15, v37
	s_cmp_gt_u32 s15, 0x7ffffffe
	s_cselect_b32 s16, -1, 0
	s_cmp_eq_u32 s5, 0
	s_cselect_b32 s16, s16, -1
	s_cmp_lg_u32 s16, 0
	s_cselect_b32 s5, s14, s5
	v_readfirstlane_b32 s14, v38
	v_readfirstlane_b32 s16, v36
	s_cselect_b32 s14, s14, s15
	s_cmp_gt_u32 s16, 0x7ffffffe
	s_cselect_b32 s15, -1, 0
	s_cmp_eq_u32 s4, 0
	s_cselect_b32 s15, s15, -1
	v_lshrrev_b64 v[34:35], 1, v[6:7]
	s_cmp_lg_u32 s15, 0
	v_cmp_gt_u64_e32 vcc, 2, v[6:7]
	s_cselect_b32 s15, s5, s4
	s_cselect_b32 s14, s14, s16
	s_or_b64 s[10:11], vcc, s[10:11]
	v_pk_mov_b32 v[6:7], v[34:35], v[34:35] op_sel:[0,1]
	s_andn2_b64 exec, exec, s[10:11]
	s_cbranch_execz .LBB29_515
.LBB29_513:                             ; =>This Inner Loop Header: Depth=1
	v_and_b32_e32 v34, 1, v6
	v_cmp_eq_u32_e32 vcc, 1, v34
	s_and_saveexec_b64 s[16:17], vcc
	s_cbranch_execz .LBB29_512
; %bb.514:                              ;   in Loop: Header=BB29_513 Depth=1
	v_mul_lo_u32 v34, s15, v8
	v_mul_lo_u32 v35, s14, v9
	v_mad_u64_u32 v[8:9], s[4:5], s14, v8, 0
	s_add_u32 s4, 0x402, s21
	v_add3_u32 v9, v9, v35, v34
	s_addc_u32 s5, 0, 0
	v_add_co_u32_e32 v34, vcc, s4, v5
	s_cmp_lg_u64 vcc, 0
	v_readfirstlane_b32 s22, v34
	s_addc_u32 s4, s5, 1
	s_mul_hi_u32 s23, s22, 0x80000001
	s_mul_i32 s5, s4, 0x80000001
	s_sub_i32 s23, s23, s22
	s_add_i32 s23, s23, s5
	s_mul_i32 s25, s22, 0x80000001
	s_mul_hi_u32 s5, s22, s23
	s_mul_i32 s24, s22, s23
	s_mul_hi_u32 s22, s22, s25
	s_add_u32 s22, s22, s24
	s_addc_u32 s5, 0, s5
	s_mul_hi_u32 s26, s4, s25
	s_mul_i32 s25, s4, s25
	s_add_u32 s22, s22, s25
	s_mul_hi_u32 s24, s4, s23
	s_addc_u32 s5, s5, s26
	s_addc_u32 s22, s24, 0
	s_mul_i32 s23, s4, s23
	s_add_u32 s5, s5, s23
	s_addc_u32 s22, 0, s22
	v_add_co_u32_e32 v36, vcc, s5, v34
	s_cmp_lg_u64 vcc, 0
	s_addc_u32 s22, s4, s22
	v_mad_u64_u32 v[34:35], s[4:5], v8, s22, 0
	v_mul_hi_u32 v37, v8, v36
	v_add_co_u32_e32 v38, vcc, v37, v34
	v_addc_co_u32_e32 v39, vcc, 0, v35, vcc
	v_mad_u64_u32 v[36:37], s[4:5], v9, v36, 0
	v_add_co_u32_e32 v36, vcc, v38, v36
	v_mad_u64_u32 v[34:35], s[4:5], v9, s22, 0
	v_addc_co_u32_e32 v36, vcc, v39, v37, vcc
	v_addc_co_u32_e32 v35, vcc, 0, v35, vcc
	v_add_co_u32_e32 v34, vcc, v36, v34
	v_addc_co_u32_e32 v37, vcc, 0, v35, vcc
	v_mad_u64_u32 v[34:35], s[4:5], v34, s19, 0
	v_mov_b32_e32 v36, v35
	v_mad_u64_u32 v[36:37], s[4:5], v37, s19, v[36:37]
	v_sub_co_u32_e32 v8, vcc, v8, v34
	v_subb_co_u32_e32 v9, vcc, v9, v36, vcc
	v_subrev_co_u32_e32 v34, vcc, s19, v8
	v_subbrev_co_u32_e32 v35, vcc, 0, v9, vcc
	v_subrev_co_u32_e32 v36, vcc, s19, v34
	v_subbrev_co_u32_e32 v37, vcc, 0, v35, vcc
	v_cmp_lt_u32_e32 vcc, s20, v34
	v_cndmask_b32_e64 v38, 0, -1, vcc
	v_cmp_eq_u32_e32 vcc, 0, v35
	v_cndmask_b32_e32 v38, -1, v38, vcc
	v_cmp_ne_u32_e32 vcc, 0, v38
	v_cmp_lt_u32_e64 s[4:5], s20, v8
	v_cndmask_b32_e32 v35, v35, v37, vcc
	v_cndmask_b32_e64 v37, 0, -1, s[4:5]
	v_cmp_eq_u32_e64 s[4:5], 0, v9
	v_cndmask_b32_e64 v37, -1, v37, s[4:5]
	v_cmp_ne_u32_e64 s[4:5], 0, v37
	v_cndmask_b32_e32 v34, v34, v36, vcc
	v_cndmask_b32_e64 v9, v9, v35, s[4:5]
	v_cndmask_b32_e64 v8, v8, v34, s[4:5]
	s_branch .LBB29_512
.LBB29_515:
	s_or_b64 exec, exec, s[10:11]
	s_movk_i32 s4, 0x401
	s_add_u32 s4, 0x402, s4
	v_mov_b32_e32 v5, 0xfffff800
	s_addc_u32 s5, 0, 0
	v_add_co_u32_e32 v5, vcc, s4, v5
	s_cmp_lg_u64 vcc, 0
	v_readfirstlane_b32 s10, v5
	s_addc_u32 s4, s5, 1
	s_mul_hi_u32 s11, s10, 0x80000001
	s_mul_i32 s5, s4, 0x80000001
	s_sub_i32 s11, s11, s10
	s_add_i32 s11, s11, s5
	s_mul_i32 s15, s10, 0x80000001
	s_mul_hi_u32 s5, s10, s11
	s_mul_i32 s14, s10, s11
	s_mul_hi_u32 s10, s10, s15
	s_add_u32 s10, s10, s14
	s_addc_u32 s5, 0, s5
	s_mul_hi_u32 s16, s4, s15
	s_mul_i32 s15, s4, s15
	s_add_u32 s10, s10, s15
	s_mul_hi_u32 s14, s4, s11
	s_addc_u32 s5, s5, s16
	s_addc_u32 s10, s14, 0
	s_mul_i32 s11, s4, s11
	s_add_u32 s5, s5, s11
	s_addc_u32 s10, 0, s10
	v_add_co_u32_e32 v5, vcc, s5, v5
	s_cmp_lg_u64 vcc, 0
	s_addc_u32 s10, s4, s10
	v_mad_u64_u32 v[6:7], s[4:5], v8, s10, 0
	v_mul_hi_u32 v34, v8, v5
	v_add_co_u32_e32 v36, vcc, v34, v6
	v_addc_co_u32_e32 v37, vcc, 0, v7, vcc
	v_mad_u64_u32 v[34:35], s[4:5], v9, v5, 0
	v_add_co_u32_e32 v5, vcc, v36, v34
	v_mad_u64_u32 v[6:7], s[4:5], v9, s10, 0
	v_addc_co_u32_e32 v5, vcc, v37, v35, vcc
	v_addc_co_u32_e32 v7, vcc, 0, v7, vcc
	v_add_co_u32_e32 v5, vcc, v5, v6
	s_brev_b32 s10, -2
	v_addc_co_u32_e32 v35, vcc, 0, v7, vcc
	v_mad_u64_u32 v[6:7], s[4:5], v5, s10, 0
	v_mov_b32_e32 v34, v7
	v_mad_u64_u32 v[34:35], s[4:5], v35, s10, v[34:35]
	v_sub_co_u32_e32 v5, vcc, v8, v6
	v_subb_co_u32_e32 v6, vcc, v9, v34, vcc
	v_subrev_co_u32_e32 v7, vcc, 0x7fffffff, v5
	v_subbrev_co_u32_e32 v8, vcc, 0, v6, vcc
	s_mov_b32 s4, 0x7ffffffe
	v_cmp_lt_u32_e32 vcc, s4, v7
	v_cndmask_b32_e64 v9, 0, -1, vcc
	v_cmp_eq_u32_e32 vcc, 0, v8
	v_cndmask_b32_e32 v8, -1, v9, vcc
	v_add_u32_e32 v9, 0x80000001, v7
	v_cmp_ne_u32_e32 vcc, 0, v8
	v_cndmask_b32_e32 v7, v7, v9, vcc
	v_cmp_lt_u32_e32 vcc, s4, v5
	v_cndmask_b32_e64 v8, 0, -1, vcc
	v_cmp_eq_u32_e32 vcc, 0, v6
	v_cndmask_b32_e32 v6, -1, v8, vcc
	v_cmp_ne_u32_e32 vcc, 0, v6
	v_cndmask_b32_e32 v7, v5, v7, vcc
.LBB29_516:
	s_or_b64 exec, exec, s[8:9]
	s_movk_i32 s8, 0x1388
	v_mov_b32_e32 v34, 0
	s_mov_b32 s9, 0xbc8f1391
	s_mov_b32 s10, 0xbc8f
	s_brev_b32 s11, 12
	s_mov_b32 s14, 0xf800000
	v_mov_b32_e32 v5, 0x260
.LBB29_517:                             ; =>This Inner Loop Header: Depth=1
	v_mul_hi_u32 v6, v7, s9
	v_lshrrev_b32_e32 v6, 15, v6
	v_mul_u32_u24_e32 v9, 0xadc8, v6
	v_sub_u32_e32 v7, v7, v9
	v_mul_u32_u24_e32 v6, 0xd47, v6
	v_mul_lo_u32 v7, v7, s10
	v_xor_b32_e32 v9, 0x7fffffff, v6
	v_sub_u32_e32 v35, 0, v6
	v_cmp_lt_u32_e32 vcc, v7, v6
	v_cndmask_b32_e32 v6, v35, v9, vcc
	v_add_u32_e32 v6, v6, v7
	v_mul_hi_u32 v9, v6, s9
	v_lshrrev_b32_e32 v9, 15, v9
	v_mul_u32_u24_e32 v35, 0xadc8, v9
	v_add_u32_e32 v7, -1, v6
	v_sub_u32_e32 v6, v6, v35
	v_mul_u32_u24_e32 v9, 0xd47, v9
	v_mul_lo_u32 v6, v6, s10
	v_xor_b32_e32 v35, 0x7fffffff, v9
	v_sub_u32_e32 v36, 0, v9
	v_cmp_lt_u32_e32 vcc, v6, v9
	v_cndmask_b32_e32 v9, v36, v35, vcc
	v_add_u32_e32 v6, v9, v6
	v_mul_hi_u32 v35, v6, s9
	v_add_u32_e32 v9, -1, v6
	v_lshrrev_b32_e32 v35, 15, v35
	v_cvt_f32_u32_e32 v9, v9
	v_mul_u32_u24_e32 v36, 0xadc8, v35
	v_cvt_f32_u32_e32 v7, v7
	v_sub_u32_e32 v6, v6, v36
	v_mul_u32_u24_e32 v35, 0xd47, v35
	v_mul_lo_u32 v6, v6, s10
	v_xor_b32_e32 v36, 0x7fffffff, v35
	v_sub_u32_e32 v37, 0, v35
	v_cmp_lt_u32_e32 vcc, v6, v35
	v_fma_f32 v9, v9, s11, 0
	v_cndmask_b32_e32 v35, v37, v36, vcc
	v_fma_f32 v7, v7, s11, 0
	v_mul_f32_e32 v9, v9, v9
	v_add_u32_e32 v6, v35, v6
	v_fmac_f32_e32 v9, v7, v7
	v_mul_hi_u32 v35, v6, s9
	v_add_u32_e32 v7, -1, v6
	v_mul_f32_e32 v36, 0x4f800000, v9
	v_lshrrev_b32_e32 v35, 15, v35
	v_cmp_gt_f32_e32 vcc, s14, v9
	v_cvt_f32_u32_e32 v7, v7
	v_cndmask_b32_e32 v9, v9, v36, vcc
	v_mul_u32_u24_e32 v36, 0xadc8, v35
	v_sqrt_f32_e32 v37, v9
	v_sub_u32_e32 v6, v6, v36
	v_mul_u32_u24_e32 v35, 0xd47, v35
	v_mul_lo_u32 v6, v6, s10
	v_xor_b32_e32 v36, 0x7fffffff, v35
	v_sub_u32_e32 v38, 0, v35
	v_cmp_lt_u32_e64 s[4:5], v6, v35
	v_fma_f32 v39, v7, s11, 0
	v_cndmask_b32_e64 v7, v38, v36, s[4:5]
	v_add_u32_e32 v7, v7, v6
	v_add_u32_e32 v6, -1, v37
	v_add_u32_e32 v35, 1, v37
	v_add_u32_e32 v36, -1, v7
	v_fma_f32 v38, -v6, v37, v9
	v_fma_f32 v48, -v35, v37, v9
	v_cvt_f32_u32_e32 v36, v36
	v_cmp_ge_f32_e64 s[4:5], 0, v38
	v_cndmask_b32_e64 v6, v37, v6, s[4:5]
	v_cmp_lt_f32_e64 s[4:5], 0, v48
	v_cndmask_b32_e64 v6, v6, v35, s[4:5]
	v_mul_f32_e32 v35, 0x37800000, v6
	v_cndmask_b32_e32 v6, v6, v35, vcc
	v_fma_f32 v35, v36, s11, 0
	v_cmp_class_f32_e32 vcc, v9, v5
	v_cndmask_b32_e32 v6, v6, v9, vcc
	v_mul_f32_e32 v9, v35, v35
	v_add_f32_e32 v8, 1.0, v34
	v_cmp_nge_f32_e32 vcc, 1.0, v6
	v_fmac_f32_e32 v9, v39, v39
	v_cndmask_b32_e32 v6, v8, v34, vcc
	v_mul_f32_e32 v8, 0x4f800000, v9
	v_cmp_gt_f32_e32 vcc, s14, v9
	v_cndmask_b32_e32 v8, v9, v8, vcc
	v_sqrt_f32_e32 v9, v8
	s_add_i32 s8, s8, -2
	v_add_f32_e32 v34, 1.0, v6
	s_cmp_lg_u32 s8, 0
	v_add_u32_e32 v35, -1, v9
	v_add_u32_e32 v36, 1, v9
	v_fma_f32 v37, -v35, v9, v8
	v_fma_f32 v38, -v36, v9, v8
	v_cmp_ge_f32_e64 s[4:5], 0, v37
	v_cndmask_b32_e64 v9, v9, v35, s[4:5]
	v_cmp_lt_f32_e64 s[4:5], 0, v38
	v_cndmask_b32_e64 v9, v9, v36, s[4:5]
	v_mul_f32_e32 v35, 0x37800000, v9
	v_cndmask_b32_e32 v9, v9, v35, vcc
	v_cmp_class_f32_e32 vcc, v8, v5
	v_cndmask_b32_e32 v8, v9, v8, vcc
	v_cmp_nge_f32_e32 vcc, 1.0, v8
	v_cndmask_b32_e32 v34, v34, v6, vcc
	s_cbranch_scc1 .LBB29_517
; %bb.518:
	v_add_u32_e32 v6, 0xe09c00, v4
	v_cmp_ne_u32_e32 vcc, 0, v6
	v_mov_b32_e32 v7, 1
	s_and_saveexec_b64 s[8:9], vcc
	s_cbranch_execz .LBB29_524
; %bb.519:
	v_mov_b32_e32 v8, 1
	v_mov_b32_e32 v7, 0
	s_mov_b64 s[14:15], 0xbc8f
	s_mov_b64 s[10:11], 0
	v_mov_b32_e32 v9, 0
	s_brev_b32 s19, -2
	s_mov_b32 s20, 0x7ffffffe
	v_mov_b32_e32 v5, 0xfffff800
	s_movk_i32 s21, 0x401
	s_branch .LBB29_521
.LBB29_520:                             ;   in Loop: Header=BB29_521 Depth=1
	s_or_b64 exec, exec, s[16:17]
	s_mul_i32 s4, s14, s15
	s_mul_hi_u32 s5, s14, s14
	s_add_i32 s5, s5, s4
	s_add_i32 s4, s5, s4
	s_mul_i32 s5, s14, s14
	s_add_u32 s14, 0x402, s21
	s_addc_u32 s15, 0, 0
	v_add_co_u32_e32 v35, vcc, s14, v5
	s_cmp_lg_u64 vcc, 0
	v_readfirstlane_b32 s16, v35
	s_addc_u32 s14, s15, 1
	s_mul_hi_u32 s17, s16, 0x80000001
	s_mul_i32 s15, s14, 0x80000001
	s_sub_i32 s17, s17, s16
	s_add_i32 s17, s17, s15
	s_mul_i32 s23, s16, 0x80000001
	s_mul_hi_u32 s15, s16, s17
	s_mul_i32 s22, s16, s17
	s_mul_hi_u32 s16, s16, s23
	s_add_u32 s16, s16, s22
	s_addc_u32 s15, 0, s15
	s_mul_hi_u32 s24, s14, s23
	s_mul_i32 s23, s14, s23
	s_add_u32 s16, s16, s23
	s_mul_hi_u32 s22, s14, s17
	s_addc_u32 s15, s15, s24
	s_addc_u32 s16, s22, 0
	s_mul_i32 s17, s14, s17
	s_add_u32 s15, s15, s17
	s_addc_u32 s16, 0, s16
	v_add_co_u32_e32 v35, vcc, s15, v35
	s_cmp_lg_u64 vcc, 0
	s_addc_u32 s14, s14, s16
	v_readfirstlane_b32 s17, v35
	s_mul_i32 s16, s5, s14
	s_mul_hi_u32 s22, s5, s17
	s_mul_hi_u32 s15, s5, s14
	s_add_u32 s16, s22, s16
	s_addc_u32 s15, 0, s15
	s_mul_hi_u32 s23, s4, s17
	s_mul_i32 s17, s4, s17
	s_add_u32 s16, s16, s17
	s_mul_hi_u32 s22, s4, s14
	s_addc_u32 s15, s15, s23
	s_addc_u32 s16, s22, 0
	s_mul_i32 s14, s4, s14
	s_add_u32 s14, s15, s14
	s_addc_u32 s15, 0, s16
	s_mul_hi_u32 s16, s14, 0x7fffffff
	s_mul_i32 s14, s14, 0x7fffffff
	s_mul_i32 s15, s15, 0x7fffffff
	v_mov_b32_e32 v35, s14
	s_add_i32 s16, s16, s15
	v_sub_co_u32_e32 v35, vcc, s5, v35
	s_cmp_lg_u64 vcc, 0
	s_subb_u32 s4, s4, s16
	v_subrev_co_u32_e32 v38, vcc, s19, v35
	s_cmp_lg_u64 vcc, 0
	s_subb_u32 s5, s4, 0
	v_subrev_co_u32_e32 v39, vcc, s19, v38
	s_cmp_lg_u64 vcc, 0
	s_subb_u32 s14, s5, 0
	v_readfirstlane_b32 s15, v38
	s_cmp_gt_u32 s15, 0x7ffffffe
	s_cselect_b32 s16, -1, 0
	s_cmp_eq_u32 s5, 0
	s_cselect_b32 s16, s16, -1
	s_cmp_lg_u32 s16, 0
	s_cselect_b32 s5, s14, s5
	v_readfirstlane_b32 s14, v39
	v_readfirstlane_b32 s16, v35
	s_cselect_b32 s14, s14, s15
	s_cmp_gt_u32 s16, 0x7ffffffe
	s_cselect_b32 s15, -1, 0
	s_cmp_eq_u32 s4, 0
	s_cselect_b32 s15, s15, -1
	v_lshrrev_b64 v[36:37], 1, v[6:7]
	s_cmp_lg_u32 s15, 0
	v_cmp_gt_u64_e32 vcc, 2, v[6:7]
	s_cselect_b32 s15, s5, s4
	s_cselect_b32 s14, s14, s16
	s_or_b64 s[10:11], vcc, s[10:11]
	v_pk_mov_b32 v[6:7], v[36:37], v[36:37] op_sel:[0,1]
	s_andn2_b64 exec, exec, s[10:11]
	s_cbranch_execz .LBB29_523
.LBB29_521:                             ; =>This Inner Loop Header: Depth=1
	v_and_b32_e32 v35, 1, v6
	v_cmp_eq_u32_e32 vcc, 1, v35
	s_and_saveexec_b64 s[16:17], vcc
	s_cbranch_execz .LBB29_520
; %bb.522:                              ;   in Loop: Header=BB29_521 Depth=1
	v_mul_lo_u32 v35, s15, v8
	v_mul_lo_u32 v36, s14, v9
	v_mad_u64_u32 v[8:9], s[4:5], s14, v8, 0
	s_add_u32 s4, 0x402, s21
	v_add3_u32 v9, v9, v36, v35
	s_addc_u32 s5, 0, 0
	v_add_co_u32_e32 v35, vcc, s4, v5
	s_cmp_lg_u64 vcc, 0
	v_readfirstlane_b32 s22, v35
	s_addc_u32 s4, s5, 1
	s_mul_hi_u32 s23, s22, 0x80000001
	s_mul_i32 s5, s4, 0x80000001
	s_sub_i32 s23, s23, s22
	s_add_i32 s23, s23, s5
	s_mul_i32 s25, s22, 0x80000001
	s_mul_hi_u32 s5, s22, s23
	s_mul_i32 s24, s22, s23
	s_mul_hi_u32 s22, s22, s25
	s_add_u32 s22, s22, s24
	s_addc_u32 s5, 0, s5
	s_mul_hi_u32 s26, s4, s25
	s_mul_i32 s25, s4, s25
	s_add_u32 s22, s22, s25
	s_mul_hi_u32 s24, s4, s23
	s_addc_u32 s5, s5, s26
	s_addc_u32 s22, s24, 0
	s_mul_i32 s23, s4, s23
	s_add_u32 s5, s5, s23
	s_addc_u32 s22, 0, s22
	v_add_co_u32_e32 v35, vcc, s5, v35
	s_cmp_lg_u64 vcc, 0
	s_addc_u32 s22, s4, s22
	v_mad_u64_u32 v[36:37], s[4:5], v8, s22, 0
	v_mul_hi_u32 v38, v8, v35
	v_add_co_u32_e32 v48, vcc, v38, v36
	v_addc_co_u32_e32 v49, vcc, 0, v37, vcc
	v_mad_u64_u32 v[38:39], s[4:5], v9, v35, 0
	v_add_co_u32_e32 v35, vcc, v48, v38
	v_mad_u64_u32 v[36:37], s[4:5], v9, s22, 0
	v_addc_co_u32_e32 v35, vcc, v49, v39, vcc
	v_addc_co_u32_e32 v37, vcc, 0, v37, vcc
	v_add_co_u32_e32 v35, vcc, v35, v36
	v_addc_co_u32_e32 v39, vcc, 0, v37, vcc
	v_mad_u64_u32 v[36:37], s[4:5], v35, s19, 0
	v_mov_b32_e32 v38, v37
	v_mad_u64_u32 v[38:39], s[4:5], v39, s19, v[38:39]
	v_sub_co_u32_e32 v8, vcc, v8, v36
	v_subb_co_u32_e32 v9, vcc, v9, v38, vcc
	v_subrev_co_u32_e32 v35, vcc, s19, v8
	v_subbrev_co_u32_e32 v36, vcc, 0, v9, vcc
	v_subrev_co_u32_e32 v37, vcc, s19, v35
	v_subbrev_co_u32_e32 v38, vcc, 0, v36, vcc
	v_cmp_lt_u32_e32 vcc, s20, v35
	v_cndmask_b32_e64 v39, 0, -1, vcc
	v_cmp_eq_u32_e32 vcc, 0, v36
	v_cndmask_b32_e32 v39, -1, v39, vcc
	v_cmp_ne_u32_e32 vcc, 0, v39
	v_cmp_lt_u32_e64 s[4:5], s20, v8
	v_cndmask_b32_e32 v36, v36, v38, vcc
	v_cndmask_b32_e64 v38, 0, -1, s[4:5]
	v_cmp_eq_u32_e64 s[4:5], 0, v9
	v_cndmask_b32_e64 v38, -1, v38, s[4:5]
	v_cmp_ne_u32_e64 s[4:5], 0, v38
	v_cndmask_b32_e32 v35, v35, v37, vcc
	v_cndmask_b32_e64 v9, v9, v36, s[4:5]
	v_cndmask_b32_e64 v8, v8, v35, s[4:5]
	s_branch .LBB29_520
.LBB29_523:
	s_or_b64 exec, exec, s[10:11]
	s_movk_i32 s4, 0x401
	s_add_u32 s4, 0x402, s4
	v_mov_b32_e32 v5, 0xfffff800
	s_addc_u32 s5, 0, 0
	v_add_co_u32_e32 v5, vcc, s4, v5
	s_cmp_lg_u64 vcc, 0
	v_readfirstlane_b32 s10, v5
	s_addc_u32 s4, s5, 1
	s_mul_hi_u32 s11, s10, 0x80000001
	s_mul_i32 s5, s4, 0x80000001
	s_sub_i32 s11, s11, s10
	s_add_i32 s11, s11, s5
	s_mul_i32 s15, s10, 0x80000001
	s_mul_hi_u32 s5, s10, s11
	s_mul_i32 s14, s10, s11
	s_mul_hi_u32 s10, s10, s15
	s_add_u32 s10, s10, s14
	s_addc_u32 s5, 0, s5
	s_mul_hi_u32 s16, s4, s15
	s_mul_i32 s15, s4, s15
	s_add_u32 s10, s10, s15
	s_mul_hi_u32 s14, s4, s11
	s_addc_u32 s5, s5, s16
	s_addc_u32 s10, s14, 0
	s_mul_i32 s11, s4, s11
	s_add_u32 s5, s5, s11
	s_addc_u32 s10, 0, s10
	v_add_co_u32_e32 v5, vcc, s5, v5
	s_cmp_lg_u64 vcc, 0
	s_addc_u32 s10, s4, s10
	v_mad_u64_u32 v[6:7], s[4:5], v8, s10, 0
	v_mul_hi_u32 v35, v8, v5
	v_add_co_u32_e32 v35, vcc, v35, v6
	v_addc_co_u32_e32 v38, vcc, 0, v7, vcc
	v_mad_u64_u32 v[36:37], s[4:5], v9, v5, 0
	v_add_co_u32_e32 v5, vcc, v35, v36
	v_mad_u64_u32 v[6:7], s[4:5], v9, s10, 0
	v_addc_co_u32_e32 v5, vcc, v38, v37, vcc
	v_addc_co_u32_e32 v7, vcc, 0, v7, vcc
	v_add_co_u32_e32 v5, vcc, v5, v6
	s_brev_b32 s10, -2
	v_addc_co_u32_e32 v35, vcc, 0, v7, vcc
	v_mad_u64_u32 v[6:7], s[4:5], v5, s10, 0
	v_mov_b32_e32 v36, v7
	v_mad_u64_u32 v[36:37], s[4:5], v35, s10, v[36:37]
	v_sub_co_u32_e32 v5, vcc, v8, v6
	v_subb_co_u32_e32 v6, vcc, v9, v36, vcc
	v_subrev_co_u32_e32 v7, vcc, 0x7fffffff, v5
	v_subbrev_co_u32_e32 v8, vcc, 0, v6, vcc
	s_mov_b32 s4, 0x7ffffffe
	v_cmp_lt_u32_e32 vcc, s4, v7
	v_cndmask_b32_e64 v9, 0, -1, vcc
	v_cmp_eq_u32_e32 vcc, 0, v8
	v_cndmask_b32_e32 v8, -1, v9, vcc
	v_add_u32_e32 v9, 0x80000001, v7
	v_cmp_ne_u32_e32 vcc, 0, v8
	v_cndmask_b32_e32 v7, v7, v9, vcc
	v_cmp_lt_u32_e32 vcc, s4, v5
	v_cndmask_b32_e64 v8, 0, -1, vcc
	v_cmp_eq_u32_e32 vcc, 0, v6
	v_cndmask_b32_e32 v6, -1, v8, vcc
	v_cmp_ne_u32_e32 vcc, 0, v6
	v_cndmask_b32_e32 v7, v5, v7, vcc
.LBB29_524:
	s_or_b64 exec, exec, s[8:9]
	s_movk_i32 s8, 0x1388
	v_mov_b32_e32 v35, 0
	s_mov_b32 s9, 0xbc8f1391
	s_mov_b32 s10, 0xbc8f
	s_brev_b32 s11, 12
	s_mov_b32 s14, 0xf800000
	v_mov_b32_e32 v5, 0x260
.LBB29_525:                             ; =>This Inner Loop Header: Depth=1
	v_mul_hi_u32 v6, v7, s9
	v_lshrrev_b32_e32 v6, 15, v6
	v_mul_u32_u24_e32 v9, 0xadc8, v6
	v_sub_u32_e32 v7, v7, v9
	v_mul_u32_u24_e32 v6, 0xd47, v6
	v_mul_lo_u32 v7, v7, s10
	v_xor_b32_e32 v9, 0x7fffffff, v6
	v_sub_u32_e32 v36, 0, v6
	v_cmp_lt_u32_e32 vcc, v7, v6
	v_cndmask_b32_e32 v6, v36, v9, vcc
	v_add_u32_e32 v6, v6, v7
	v_mul_hi_u32 v9, v6, s9
	v_lshrrev_b32_e32 v9, 15, v9
	v_mul_u32_u24_e32 v36, 0xadc8, v9
	v_add_u32_e32 v7, -1, v6
	v_sub_u32_e32 v6, v6, v36
	v_mul_u32_u24_e32 v9, 0xd47, v9
	v_mul_lo_u32 v6, v6, s10
	v_xor_b32_e32 v36, 0x7fffffff, v9
	v_sub_u32_e32 v37, 0, v9
	v_cmp_lt_u32_e32 vcc, v6, v9
	v_cndmask_b32_e32 v9, v37, v36, vcc
	v_add_u32_e32 v6, v9, v6
	v_mul_hi_u32 v36, v6, s9
	v_add_u32_e32 v9, -1, v6
	v_lshrrev_b32_e32 v36, 15, v36
	v_cvt_f32_u32_e32 v9, v9
	v_mul_u32_u24_e32 v37, 0xadc8, v36
	v_cvt_f32_u32_e32 v7, v7
	v_sub_u32_e32 v6, v6, v37
	v_mul_u32_u24_e32 v36, 0xd47, v36
	v_mul_lo_u32 v6, v6, s10
	v_xor_b32_e32 v37, 0x7fffffff, v36
	v_sub_u32_e32 v38, 0, v36
	v_cmp_lt_u32_e32 vcc, v6, v36
	v_fma_f32 v9, v9, s11, 0
	v_cndmask_b32_e32 v36, v38, v37, vcc
	v_fma_f32 v7, v7, s11, 0
	v_mul_f32_e32 v9, v9, v9
	v_add_u32_e32 v6, v36, v6
	v_fmac_f32_e32 v9, v7, v7
	v_mul_hi_u32 v36, v6, s9
	v_add_u32_e32 v7, -1, v6
	v_mul_f32_e32 v37, 0x4f800000, v9
	v_lshrrev_b32_e32 v36, 15, v36
	v_cmp_gt_f32_e32 vcc, s14, v9
	v_cvt_f32_u32_e32 v7, v7
	v_cndmask_b32_e32 v9, v9, v37, vcc
	v_mul_u32_u24_e32 v37, 0xadc8, v36
	v_sqrt_f32_e32 v38, v9
	v_sub_u32_e32 v6, v6, v37
	v_mul_u32_u24_e32 v36, 0xd47, v36
	v_mul_lo_u32 v6, v6, s10
	v_xor_b32_e32 v37, 0x7fffffff, v36
	v_sub_u32_e32 v39, 0, v36
	v_cmp_lt_u32_e64 s[4:5], v6, v36
	v_fma_f32 v48, v7, s11, 0
	v_cndmask_b32_e64 v7, v39, v37, s[4:5]
	v_add_u32_e32 v7, v7, v6
	v_add_u32_e32 v6, -1, v38
	v_add_u32_e32 v36, 1, v38
	v_add_u32_e32 v37, -1, v7
	v_fma_f32 v39, -v6, v38, v9
	v_fma_f32 v49, -v36, v38, v9
	v_cvt_f32_u32_e32 v37, v37
	v_cmp_ge_f32_e64 s[4:5], 0, v39
	v_cndmask_b32_e64 v6, v38, v6, s[4:5]
	v_cmp_lt_f32_e64 s[4:5], 0, v49
	v_cndmask_b32_e64 v6, v6, v36, s[4:5]
	v_mul_f32_e32 v36, 0x37800000, v6
	v_cndmask_b32_e32 v6, v6, v36, vcc
	v_fma_f32 v36, v37, s11, 0
	v_cmp_class_f32_e32 vcc, v9, v5
	v_cndmask_b32_e32 v6, v6, v9, vcc
	v_mul_f32_e32 v9, v36, v36
	v_add_f32_e32 v8, 1.0, v35
	v_cmp_nge_f32_e32 vcc, 1.0, v6
	v_fmac_f32_e32 v9, v48, v48
	v_cndmask_b32_e32 v6, v8, v35, vcc
	v_mul_f32_e32 v8, 0x4f800000, v9
	v_cmp_gt_f32_e32 vcc, s14, v9
	v_cndmask_b32_e32 v8, v9, v8, vcc
	v_sqrt_f32_e32 v9, v8
	s_add_i32 s8, s8, -2
	v_add_f32_e32 v35, 1.0, v6
	s_cmp_lg_u32 s8, 0
	v_add_u32_e32 v36, -1, v9
	v_add_u32_e32 v37, 1, v9
	v_fma_f32 v38, -v36, v9, v8
	v_fma_f32 v39, -v37, v9, v8
	v_cmp_ge_f32_e64 s[4:5], 0, v38
	v_cndmask_b32_e64 v9, v9, v36, s[4:5]
	v_cmp_lt_f32_e64 s[4:5], 0, v39
	v_cndmask_b32_e64 v9, v9, v37, s[4:5]
	v_mul_f32_e32 v36, 0x37800000, v9
	v_cndmask_b32_e32 v9, v9, v36, vcc
	v_cmp_class_f32_e32 vcc, v8, v5
	v_cndmask_b32_e32 v8, v9, v8, vcc
	v_cmp_nge_f32_e32 vcc, 1.0, v8
	v_cndmask_b32_e32 v35, v35, v6, vcc
	s_cbranch_scc1 .LBB29_525
; %bb.526:
	v_add_u32_e32 v6, 0xea6000, v4
	v_cmp_ne_u32_e32 vcc, 0, v6
	v_mov_b32_e32 v7, 1
	s_and_saveexec_b64 s[8:9], vcc
	s_cbranch_execz .LBB29_532
; %bb.527:
	v_mov_b32_e32 v8, 1
	v_mov_b32_e32 v7, 0
	s_mov_b64 s[14:15], 0xbc8f
	s_mov_b64 s[10:11], 0
	v_mov_b32_e32 v9, 0
	s_brev_b32 s19, -2
	s_mov_b32 s20, 0x7ffffffe
	v_mov_b32_e32 v5, 0xfffff800
	s_movk_i32 s21, 0x401
	s_branch .LBB29_529
.LBB29_528:                             ;   in Loop: Header=BB29_529 Depth=1
	s_or_b64 exec, exec, s[16:17]
	s_mul_i32 s4, s14, s15
	s_mul_hi_u32 s5, s14, s14
	s_add_i32 s5, s5, s4
	s_add_i32 s4, s5, s4
	s_mul_i32 s5, s14, s14
	s_add_u32 s14, 0x402, s21
	s_addc_u32 s15, 0, 0
	v_add_co_u32_e32 v38, vcc, s14, v5
	s_cmp_lg_u64 vcc, 0
	v_readfirstlane_b32 s16, v38
	s_addc_u32 s14, s15, 1
	s_mul_hi_u32 s17, s16, 0x80000001
	s_mul_i32 s15, s14, 0x80000001
	s_sub_i32 s17, s17, s16
	s_add_i32 s17, s17, s15
	s_mul_i32 s23, s16, 0x80000001
	s_mul_hi_u32 s15, s16, s17
	s_mul_i32 s22, s16, s17
	s_mul_hi_u32 s16, s16, s23
	s_add_u32 s16, s16, s22
	s_addc_u32 s15, 0, s15
	s_mul_hi_u32 s24, s14, s23
	s_mul_i32 s23, s14, s23
	s_add_u32 s16, s16, s23
	s_mul_hi_u32 s22, s14, s17
	s_addc_u32 s15, s15, s24
	s_addc_u32 s16, s22, 0
	s_mul_i32 s17, s14, s17
	s_add_u32 s15, s15, s17
	s_addc_u32 s16, 0, s16
	v_add_co_u32_e32 v38, vcc, s15, v38
	s_cmp_lg_u64 vcc, 0
	s_addc_u32 s14, s14, s16
	v_readfirstlane_b32 s17, v38
	s_mul_i32 s16, s5, s14
	s_mul_hi_u32 s22, s5, s17
	s_mul_hi_u32 s15, s5, s14
	s_add_u32 s16, s22, s16
	s_addc_u32 s15, 0, s15
	s_mul_hi_u32 s23, s4, s17
	s_mul_i32 s17, s4, s17
	s_add_u32 s16, s16, s17
	s_mul_hi_u32 s22, s4, s14
	s_addc_u32 s15, s15, s23
	s_addc_u32 s16, s22, 0
	s_mul_i32 s14, s4, s14
	s_add_u32 s14, s15, s14
	s_addc_u32 s15, 0, s16
	s_mul_hi_u32 s16, s14, 0x7fffffff
	s_mul_i32 s14, s14, 0x7fffffff
	s_mul_i32 s15, s15, 0x7fffffff
	v_mov_b32_e32 v38, s14
	s_add_i32 s16, s16, s15
	v_sub_co_u32_e32 v38, vcc, s5, v38
	s_cmp_lg_u64 vcc, 0
	s_subb_u32 s4, s4, s16
	v_subrev_co_u32_e32 v39, vcc, s19, v38
	s_cmp_lg_u64 vcc, 0
	s_subb_u32 s5, s4, 0
	v_subrev_co_u32_e32 v48, vcc, s19, v39
	s_cmp_lg_u64 vcc, 0
	s_subb_u32 s14, s5, 0
	v_readfirstlane_b32 s15, v39
	s_cmp_gt_u32 s15, 0x7ffffffe
	s_cselect_b32 s16, -1, 0
	s_cmp_eq_u32 s5, 0
	s_cselect_b32 s16, s16, -1
	s_cmp_lg_u32 s16, 0
	s_cselect_b32 s5, s14, s5
	v_readfirstlane_b32 s14, v48
	v_readfirstlane_b32 s16, v38
	s_cselect_b32 s14, s14, s15
	s_cmp_gt_u32 s16, 0x7ffffffe
	s_cselect_b32 s15, -1, 0
	s_cmp_eq_u32 s4, 0
	s_cselect_b32 s15, s15, -1
	v_lshrrev_b64 v[36:37], 1, v[6:7]
	s_cmp_lg_u32 s15, 0
	v_cmp_gt_u64_e32 vcc, 2, v[6:7]
	s_cselect_b32 s15, s5, s4
	s_cselect_b32 s14, s14, s16
	s_or_b64 s[10:11], vcc, s[10:11]
	v_pk_mov_b32 v[6:7], v[36:37], v[36:37] op_sel:[0,1]
	s_andn2_b64 exec, exec, s[10:11]
	s_cbranch_execz .LBB29_531
.LBB29_529:                             ; =>This Inner Loop Header: Depth=1
	v_and_b32_e32 v36, 1, v6
	v_cmp_eq_u32_e32 vcc, 1, v36
	s_and_saveexec_b64 s[16:17], vcc
	s_cbranch_execz .LBB29_528
; %bb.530:                              ;   in Loop: Header=BB29_529 Depth=1
	v_mul_lo_u32 v36, s15, v8
	v_mul_lo_u32 v37, s14, v9
	v_mad_u64_u32 v[8:9], s[4:5], s14, v8, 0
	s_add_u32 s4, 0x402, s21
	v_add3_u32 v9, v9, v37, v36
	s_addc_u32 s5, 0, 0
	v_add_co_u32_e32 v36, vcc, s4, v5
	s_cmp_lg_u64 vcc, 0
	v_readfirstlane_b32 s22, v36
	s_addc_u32 s4, s5, 1
	s_mul_hi_u32 s23, s22, 0x80000001
	s_mul_i32 s5, s4, 0x80000001
	s_sub_i32 s23, s23, s22
	s_add_i32 s23, s23, s5
	s_mul_i32 s25, s22, 0x80000001
	s_mul_hi_u32 s5, s22, s23
	s_mul_i32 s24, s22, s23
	s_mul_hi_u32 s22, s22, s25
	s_add_u32 s22, s22, s24
	s_addc_u32 s5, 0, s5
	s_mul_hi_u32 s26, s4, s25
	s_mul_i32 s25, s4, s25
	s_add_u32 s22, s22, s25
	s_mul_hi_u32 s24, s4, s23
	s_addc_u32 s5, s5, s26
	s_addc_u32 s22, s24, 0
	s_mul_i32 s23, s4, s23
	s_add_u32 s5, s5, s23
	s_addc_u32 s22, 0, s22
	v_add_co_u32_e32 v38, vcc, s5, v36
	s_cmp_lg_u64 vcc, 0
	s_addc_u32 s22, s4, s22
	v_mad_u64_u32 v[36:37], s[4:5], v8, s22, 0
	v_mul_hi_u32 v39, v8, v38
	v_add_co_u32_e32 v48, vcc, v39, v36
	v_addc_co_u32_e32 v49, vcc, 0, v37, vcc
	v_mad_u64_u32 v[38:39], s[4:5], v9, v38, 0
	v_add_co_u32_e32 v38, vcc, v48, v38
	v_mad_u64_u32 v[36:37], s[4:5], v9, s22, 0
	v_addc_co_u32_e32 v38, vcc, v49, v39, vcc
	v_addc_co_u32_e32 v37, vcc, 0, v37, vcc
	v_add_co_u32_e32 v36, vcc, v38, v36
	v_addc_co_u32_e32 v39, vcc, 0, v37, vcc
	v_mad_u64_u32 v[36:37], s[4:5], v36, s19, 0
	v_mov_b32_e32 v38, v37
	v_mad_u64_u32 v[38:39], s[4:5], v39, s19, v[38:39]
	v_sub_co_u32_e32 v8, vcc, v8, v36
	v_subb_co_u32_e32 v9, vcc, v9, v38, vcc
	v_subrev_co_u32_e32 v36, vcc, s19, v8
	v_subbrev_co_u32_e32 v37, vcc, 0, v9, vcc
	v_subrev_co_u32_e32 v38, vcc, s19, v36
	v_subbrev_co_u32_e32 v39, vcc, 0, v37, vcc
	v_cmp_lt_u32_e32 vcc, s20, v36
	v_cndmask_b32_e64 v48, 0, -1, vcc
	v_cmp_eq_u32_e32 vcc, 0, v37
	v_cndmask_b32_e32 v48, -1, v48, vcc
	v_cmp_ne_u32_e32 vcc, 0, v48
	v_cmp_lt_u32_e64 s[4:5], s20, v8
	v_cndmask_b32_e32 v37, v37, v39, vcc
	v_cndmask_b32_e64 v39, 0, -1, s[4:5]
	v_cmp_eq_u32_e64 s[4:5], 0, v9
	v_cndmask_b32_e64 v39, -1, v39, s[4:5]
	v_cmp_ne_u32_e64 s[4:5], 0, v39
	v_cndmask_b32_e32 v36, v36, v38, vcc
	v_cndmask_b32_e64 v9, v9, v37, s[4:5]
	v_cndmask_b32_e64 v8, v8, v36, s[4:5]
	s_branch .LBB29_528
.LBB29_531:
	s_or_b64 exec, exec, s[10:11]
	s_movk_i32 s4, 0x401
	s_add_u32 s4, 0x402, s4
	v_mov_b32_e32 v5, 0xfffff800
	s_addc_u32 s5, 0, 0
	v_add_co_u32_e32 v5, vcc, s4, v5
	s_cmp_lg_u64 vcc, 0
	v_readfirstlane_b32 s10, v5
	s_addc_u32 s4, s5, 1
	s_mul_hi_u32 s11, s10, 0x80000001
	s_mul_i32 s5, s4, 0x80000001
	s_sub_i32 s11, s11, s10
	s_add_i32 s11, s11, s5
	s_mul_i32 s15, s10, 0x80000001
	s_mul_hi_u32 s5, s10, s11
	s_mul_i32 s14, s10, s11
	s_mul_hi_u32 s10, s10, s15
	s_add_u32 s10, s10, s14
	s_addc_u32 s5, 0, s5
	s_mul_hi_u32 s16, s4, s15
	s_mul_i32 s15, s4, s15
	s_add_u32 s10, s10, s15
	s_mul_hi_u32 s14, s4, s11
	s_addc_u32 s5, s5, s16
	s_addc_u32 s10, s14, 0
	s_mul_i32 s11, s4, s11
	s_add_u32 s5, s5, s11
	s_addc_u32 s10, 0, s10
	v_add_co_u32_e32 v5, vcc, s5, v5
	s_cmp_lg_u64 vcc, 0
	s_addc_u32 s10, s4, s10
	v_mad_u64_u32 v[6:7], s[4:5], v8, s10, 0
	v_mul_hi_u32 v36, v8, v5
	v_add_co_u32_e32 v38, vcc, v36, v6
	v_addc_co_u32_e32 v39, vcc, 0, v7, vcc
	v_mad_u64_u32 v[36:37], s[4:5], v9, v5, 0
	v_add_co_u32_e32 v5, vcc, v38, v36
	v_mad_u64_u32 v[6:7], s[4:5], v9, s10, 0
	v_addc_co_u32_e32 v5, vcc, v39, v37, vcc
	v_addc_co_u32_e32 v7, vcc, 0, v7, vcc
	v_add_co_u32_e32 v5, vcc, v5, v6
	s_brev_b32 s10, -2
	v_addc_co_u32_e32 v37, vcc, 0, v7, vcc
	v_mad_u64_u32 v[6:7], s[4:5], v5, s10, 0
	v_mov_b32_e32 v36, v7
	v_mad_u64_u32 v[36:37], s[4:5], v37, s10, v[36:37]
	v_sub_co_u32_e32 v5, vcc, v8, v6
	v_subb_co_u32_e32 v6, vcc, v9, v36, vcc
	v_subrev_co_u32_e32 v7, vcc, 0x7fffffff, v5
	v_subbrev_co_u32_e32 v8, vcc, 0, v6, vcc
	s_mov_b32 s4, 0x7ffffffe
	v_cmp_lt_u32_e32 vcc, s4, v7
	v_cndmask_b32_e64 v9, 0, -1, vcc
	v_cmp_eq_u32_e32 vcc, 0, v8
	v_cndmask_b32_e32 v8, -1, v9, vcc
	v_add_u32_e32 v9, 0x80000001, v7
	v_cmp_ne_u32_e32 vcc, 0, v8
	v_cndmask_b32_e32 v7, v7, v9, vcc
	v_cmp_lt_u32_e32 vcc, s4, v5
	v_cndmask_b32_e64 v8, 0, -1, vcc
	v_cmp_eq_u32_e32 vcc, 0, v6
	v_cndmask_b32_e32 v6, -1, v8, vcc
	v_cmp_ne_u32_e32 vcc, 0, v6
	v_cndmask_b32_e32 v7, v5, v7, vcc
.LBB29_532:
	s_or_b64 exec, exec, s[8:9]
	s_movk_i32 s8, 0x1388
	v_mov_b32_e32 v36, 0
	s_mov_b32 s9, 0xbc8f1391
	s_mov_b32 s10, 0xbc8f
	s_brev_b32 s11, 12
	s_mov_b32 s14, 0xf800000
	v_mov_b32_e32 v5, 0x260
.LBB29_533:                             ; =>This Inner Loop Header: Depth=1
	v_mul_hi_u32 v6, v7, s9
	v_lshrrev_b32_e32 v6, 15, v6
	v_mul_u32_u24_e32 v9, 0xadc8, v6
	v_sub_u32_e32 v7, v7, v9
	v_mul_u32_u24_e32 v6, 0xd47, v6
	v_mul_lo_u32 v7, v7, s10
	v_xor_b32_e32 v9, 0x7fffffff, v6
	v_sub_u32_e32 v37, 0, v6
	v_cmp_lt_u32_e32 vcc, v7, v6
	v_cndmask_b32_e32 v6, v37, v9, vcc
	v_add_u32_e32 v6, v6, v7
	v_mul_hi_u32 v9, v6, s9
	v_lshrrev_b32_e32 v9, 15, v9
	v_mul_u32_u24_e32 v37, 0xadc8, v9
	v_add_u32_e32 v7, -1, v6
	v_sub_u32_e32 v6, v6, v37
	v_mul_u32_u24_e32 v9, 0xd47, v9
	v_mul_lo_u32 v6, v6, s10
	v_xor_b32_e32 v37, 0x7fffffff, v9
	v_sub_u32_e32 v38, 0, v9
	v_cmp_lt_u32_e32 vcc, v6, v9
	v_cndmask_b32_e32 v9, v38, v37, vcc
	v_add_u32_e32 v6, v9, v6
	v_mul_hi_u32 v37, v6, s9
	v_add_u32_e32 v9, -1, v6
	v_lshrrev_b32_e32 v37, 15, v37
	v_cvt_f32_u32_e32 v9, v9
	v_mul_u32_u24_e32 v38, 0xadc8, v37
	v_cvt_f32_u32_e32 v7, v7
	v_sub_u32_e32 v6, v6, v38
	v_mul_u32_u24_e32 v37, 0xd47, v37
	v_mul_lo_u32 v6, v6, s10
	v_xor_b32_e32 v38, 0x7fffffff, v37
	v_sub_u32_e32 v39, 0, v37
	v_cmp_lt_u32_e32 vcc, v6, v37
	v_fma_f32 v9, v9, s11, 0
	v_cndmask_b32_e32 v37, v39, v38, vcc
	v_fma_f32 v7, v7, s11, 0
	v_mul_f32_e32 v9, v9, v9
	v_add_u32_e32 v6, v37, v6
	v_fmac_f32_e32 v9, v7, v7
	v_mul_hi_u32 v37, v6, s9
	v_add_u32_e32 v7, -1, v6
	v_mul_f32_e32 v38, 0x4f800000, v9
	v_lshrrev_b32_e32 v37, 15, v37
	v_cmp_gt_f32_e32 vcc, s14, v9
	v_cvt_f32_u32_e32 v7, v7
	v_cndmask_b32_e32 v9, v9, v38, vcc
	v_mul_u32_u24_e32 v38, 0xadc8, v37
	v_sqrt_f32_e32 v39, v9
	v_sub_u32_e32 v6, v6, v38
	v_mul_u32_u24_e32 v37, 0xd47, v37
	v_mul_lo_u32 v6, v6, s10
	v_xor_b32_e32 v38, 0x7fffffff, v37
	v_sub_u32_e32 v48, 0, v37
	v_cmp_lt_u32_e64 s[4:5], v6, v37
	v_fma_f32 v49, v7, s11, 0
	v_cndmask_b32_e64 v7, v48, v38, s[4:5]
	v_add_u32_e32 v7, v7, v6
	v_add_u32_e32 v6, -1, v39
	v_add_u32_e32 v37, 1, v39
	v_add_u32_e32 v38, -1, v7
	v_fma_f32 v48, -v6, v39, v9
	v_fma_f32 v50, -v37, v39, v9
	v_cvt_f32_u32_e32 v38, v38
	v_cmp_ge_f32_e64 s[4:5], 0, v48
	v_cndmask_b32_e64 v6, v39, v6, s[4:5]
	v_cmp_lt_f32_e64 s[4:5], 0, v50
	v_cndmask_b32_e64 v6, v6, v37, s[4:5]
	v_mul_f32_e32 v37, 0x37800000, v6
	v_cndmask_b32_e32 v6, v6, v37, vcc
	v_fma_f32 v37, v38, s11, 0
	v_cmp_class_f32_e32 vcc, v9, v5
	v_cndmask_b32_e32 v6, v6, v9, vcc
	v_mul_f32_e32 v9, v37, v37
	v_add_f32_e32 v8, 1.0, v36
	v_cmp_nge_f32_e32 vcc, 1.0, v6
	v_fmac_f32_e32 v9, v49, v49
	v_cndmask_b32_e32 v6, v8, v36, vcc
	v_mul_f32_e32 v8, 0x4f800000, v9
	v_cmp_gt_f32_e32 vcc, s14, v9
	v_cndmask_b32_e32 v8, v9, v8, vcc
	v_sqrt_f32_e32 v9, v8
	s_add_i32 s8, s8, -2
	v_add_f32_e32 v36, 1.0, v6
	s_cmp_lg_u32 s8, 0
	v_add_u32_e32 v37, -1, v9
	v_add_u32_e32 v38, 1, v9
	v_fma_f32 v39, -v37, v9, v8
	v_fma_f32 v48, -v38, v9, v8
	v_cmp_ge_f32_e64 s[4:5], 0, v39
	v_cndmask_b32_e64 v9, v9, v37, s[4:5]
	v_cmp_lt_f32_e64 s[4:5], 0, v48
	v_cndmask_b32_e64 v9, v9, v38, s[4:5]
	v_mul_f32_e32 v37, 0x37800000, v9
	v_cndmask_b32_e32 v9, v9, v37, vcc
	v_cmp_class_f32_e32 vcc, v8, v5
	v_cndmask_b32_e32 v8, v9, v8, vcc
	v_cmp_nge_f32_e32 vcc, 1.0, v8
	v_cndmask_b32_e32 v36, v36, v6, vcc
	s_cbranch_scc1 .LBB29_533
; %bb.534:
	v_add_u32_e32 v6, 0xf42400, v4
	v_cmp_ne_u32_e32 vcc, 0, v6
	v_mov_b32_e32 v7, 1
	s_and_saveexec_b64 s[8:9], vcc
	s_cbranch_execz .LBB29_540
; %bb.535:
	v_mov_b32_e32 v8, 1
	v_mov_b32_e32 v7, 0
	s_mov_b64 s[14:15], 0xbc8f
	s_mov_b64 s[10:11], 0
	v_mov_b32_e32 v9, 0
	s_brev_b32 s19, -2
	s_mov_b32 s20, 0x7ffffffe
	v_mov_b32_e32 v5, 0xfffff800
	s_movk_i32 s21, 0x401
	s_branch .LBB29_537
.LBB29_536:                             ;   in Loop: Header=BB29_537 Depth=1
	s_or_b64 exec, exec, s[16:17]
	s_mul_i32 s4, s14, s15
	s_mul_hi_u32 s5, s14, s14
	s_add_i32 s5, s5, s4
	s_add_i32 s4, s5, s4
	s_mul_i32 s5, s14, s14
	s_add_u32 s14, 0x402, s21
	s_addc_u32 s15, 0, 0
	v_add_co_u32_e32 v37, vcc, s14, v5
	s_cmp_lg_u64 vcc, 0
	v_readfirstlane_b32 s16, v37
	s_addc_u32 s14, s15, 1
	s_mul_hi_u32 s17, s16, 0x80000001
	s_mul_i32 s15, s14, 0x80000001
	s_sub_i32 s17, s17, s16
	s_add_i32 s17, s17, s15
	s_mul_i32 s23, s16, 0x80000001
	s_mul_hi_u32 s15, s16, s17
	s_mul_i32 s22, s16, s17
	s_mul_hi_u32 s16, s16, s23
	s_add_u32 s16, s16, s22
	s_addc_u32 s15, 0, s15
	s_mul_hi_u32 s24, s14, s23
	s_mul_i32 s23, s14, s23
	s_add_u32 s16, s16, s23
	s_mul_hi_u32 s22, s14, s17
	s_addc_u32 s15, s15, s24
	s_addc_u32 s16, s22, 0
	s_mul_i32 s17, s14, s17
	s_add_u32 s15, s15, s17
	s_addc_u32 s16, 0, s16
	v_add_co_u32_e32 v37, vcc, s15, v37
	s_cmp_lg_u64 vcc, 0
	s_addc_u32 s14, s14, s16
	v_readfirstlane_b32 s17, v37
	s_mul_i32 s16, s5, s14
	s_mul_hi_u32 s22, s5, s17
	s_mul_hi_u32 s15, s5, s14
	s_add_u32 s16, s22, s16
	s_addc_u32 s15, 0, s15
	s_mul_hi_u32 s23, s4, s17
	s_mul_i32 s17, s4, s17
	s_add_u32 s16, s16, s17
	s_mul_hi_u32 s22, s4, s14
	s_addc_u32 s15, s15, s23
	s_addc_u32 s16, s22, 0
	s_mul_i32 s14, s4, s14
	s_add_u32 s14, s15, s14
	s_addc_u32 s15, 0, s16
	s_mul_hi_u32 s16, s14, 0x7fffffff
	s_mul_i32 s14, s14, 0x7fffffff
	s_mul_i32 s15, s15, 0x7fffffff
	v_mov_b32_e32 v37, s14
	s_add_i32 s16, s16, s15
	v_sub_co_u32_e32 v37, vcc, s5, v37
	s_cmp_lg_u64 vcc, 0
	s_subb_u32 s4, s4, s16
	v_subrev_co_u32_e32 v48, vcc, s19, v37
	s_cmp_lg_u64 vcc, 0
	s_subb_u32 s5, s4, 0
	v_subrev_co_u32_e32 v49, vcc, s19, v48
	s_cmp_lg_u64 vcc, 0
	s_subb_u32 s14, s5, 0
	v_readfirstlane_b32 s15, v48
	s_cmp_gt_u32 s15, 0x7ffffffe
	s_cselect_b32 s16, -1, 0
	s_cmp_eq_u32 s5, 0
	s_cselect_b32 s16, s16, -1
	s_cmp_lg_u32 s16, 0
	s_cselect_b32 s5, s14, s5
	v_readfirstlane_b32 s14, v49
	v_readfirstlane_b32 s16, v37
	s_cselect_b32 s14, s14, s15
	s_cmp_gt_u32 s16, 0x7ffffffe
	s_cselect_b32 s15, -1, 0
	s_cmp_eq_u32 s4, 0
	s_cselect_b32 s15, s15, -1
	v_lshrrev_b64 v[38:39], 1, v[6:7]
	s_cmp_lg_u32 s15, 0
	v_cmp_gt_u64_e32 vcc, 2, v[6:7]
	s_cselect_b32 s15, s5, s4
	s_cselect_b32 s14, s14, s16
	s_or_b64 s[10:11], vcc, s[10:11]
	v_pk_mov_b32 v[6:7], v[38:39], v[38:39] op_sel:[0,1]
	s_andn2_b64 exec, exec, s[10:11]
	s_cbranch_execz .LBB29_539
.LBB29_537:                             ; =>This Inner Loop Header: Depth=1
	v_and_b32_e32 v37, 1, v6
	v_cmp_eq_u32_e32 vcc, 1, v37
	s_and_saveexec_b64 s[16:17], vcc
	s_cbranch_execz .LBB29_536
; %bb.538:                              ;   in Loop: Header=BB29_537 Depth=1
	v_mul_lo_u32 v37, s15, v8
	v_mul_lo_u32 v38, s14, v9
	v_mad_u64_u32 v[8:9], s[4:5], s14, v8, 0
	s_add_u32 s4, 0x402, s21
	v_add3_u32 v9, v9, v38, v37
	s_addc_u32 s5, 0, 0
	v_add_co_u32_e32 v37, vcc, s4, v5
	s_cmp_lg_u64 vcc, 0
	v_readfirstlane_b32 s22, v37
	s_addc_u32 s4, s5, 1
	s_mul_hi_u32 s23, s22, 0x80000001
	s_mul_i32 s5, s4, 0x80000001
	s_sub_i32 s23, s23, s22
	s_add_i32 s23, s23, s5
	s_mul_i32 s25, s22, 0x80000001
	s_mul_hi_u32 s5, s22, s23
	s_mul_i32 s24, s22, s23
	s_mul_hi_u32 s22, s22, s25
	s_add_u32 s22, s22, s24
	s_addc_u32 s5, 0, s5
	s_mul_hi_u32 s26, s4, s25
	s_mul_i32 s25, s4, s25
	s_add_u32 s22, s22, s25
	s_mul_hi_u32 s24, s4, s23
	s_addc_u32 s5, s5, s26
	s_addc_u32 s22, s24, 0
	s_mul_i32 s23, s4, s23
	s_add_u32 s5, s5, s23
	s_addc_u32 s22, 0, s22
	v_add_co_u32_e32 v37, vcc, s5, v37
	s_cmp_lg_u64 vcc, 0
	s_addc_u32 s22, s4, s22
	v_mad_u64_u32 v[38:39], s[4:5], v8, s22, 0
	v_mul_hi_u32 v48, v8, v37
	v_add_co_u32_e32 v50, vcc, v48, v38
	v_addc_co_u32_e32 v51, vcc, 0, v39, vcc
	v_mad_u64_u32 v[48:49], s[4:5], v9, v37, 0
	v_add_co_u32_e32 v37, vcc, v50, v48
	v_mad_u64_u32 v[38:39], s[4:5], v9, s22, 0
	v_addc_co_u32_e32 v37, vcc, v51, v49, vcc
	v_addc_co_u32_e32 v39, vcc, 0, v39, vcc
	v_add_co_u32_e32 v37, vcc, v37, v38
	v_addc_co_u32_e32 v49, vcc, 0, v39, vcc
	v_mad_u64_u32 v[38:39], s[4:5], v37, s19, 0
	v_mov_b32_e32 v48, v39
	v_mad_u64_u32 v[48:49], s[4:5], v49, s19, v[48:49]
	v_sub_co_u32_e32 v8, vcc, v8, v38
	v_subb_co_u32_e32 v9, vcc, v9, v48, vcc
	v_subrev_co_u32_e32 v37, vcc, s19, v8
	v_subbrev_co_u32_e32 v38, vcc, 0, v9, vcc
	v_subrev_co_u32_e32 v39, vcc, s19, v37
	v_subbrev_co_u32_e32 v48, vcc, 0, v38, vcc
	v_cmp_lt_u32_e32 vcc, s20, v37
	v_cndmask_b32_e64 v49, 0, -1, vcc
	v_cmp_eq_u32_e32 vcc, 0, v38
	v_cndmask_b32_e32 v49, -1, v49, vcc
	v_cmp_ne_u32_e32 vcc, 0, v49
	v_cmp_lt_u32_e64 s[4:5], s20, v8
	v_cndmask_b32_e32 v38, v38, v48, vcc
	v_cndmask_b32_e64 v48, 0, -1, s[4:5]
	v_cmp_eq_u32_e64 s[4:5], 0, v9
	v_cndmask_b32_e64 v48, -1, v48, s[4:5]
	v_cmp_ne_u32_e64 s[4:5], 0, v48
	v_cndmask_b32_e32 v37, v37, v39, vcc
	v_cndmask_b32_e64 v9, v9, v38, s[4:5]
	v_cndmask_b32_e64 v8, v8, v37, s[4:5]
	s_branch .LBB29_536
.LBB29_539:
	s_or_b64 exec, exec, s[10:11]
	s_movk_i32 s4, 0x401
	s_add_u32 s4, 0x402, s4
	v_mov_b32_e32 v5, 0xfffff800
	s_addc_u32 s5, 0, 0
	v_add_co_u32_e32 v5, vcc, s4, v5
	s_cmp_lg_u64 vcc, 0
	v_readfirstlane_b32 s10, v5
	s_addc_u32 s4, s5, 1
	s_mul_hi_u32 s11, s10, 0x80000001
	s_mul_i32 s5, s4, 0x80000001
	s_sub_i32 s11, s11, s10
	s_add_i32 s11, s11, s5
	s_mul_i32 s15, s10, 0x80000001
	s_mul_hi_u32 s5, s10, s11
	s_mul_i32 s14, s10, s11
	s_mul_hi_u32 s10, s10, s15
	s_add_u32 s10, s10, s14
	s_addc_u32 s5, 0, s5
	s_mul_hi_u32 s16, s4, s15
	s_mul_i32 s15, s4, s15
	s_add_u32 s10, s10, s15
	s_mul_hi_u32 s14, s4, s11
	s_addc_u32 s5, s5, s16
	s_addc_u32 s10, s14, 0
	s_mul_i32 s11, s4, s11
	s_add_u32 s5, s5, s11
	s_addc_u32 s10, 0, s10
	v_add_co_u32_e32 v5, vcc, s5, v5
	s_cmp_lg_u64 vcc, 0
	s_addc_u32 s10, s4, s10
	v_mad_u64_u32 v[6:7], s[4:5], v8, s10, 0
	v_mul_hi_u32 v37, v8, v5
	v_add_co_u32_e32 v37, vcc, v37, v6
	v_addc_co_u32_e32 v48, vcc, 0, v7, vcc
	v_mad_u64_u32 v[38:39], s[4:5], v9, v5, 0
	v_add_co_u32_e32 v5, vcc, v37, v38
	v_mad_u64_u32 v[6:7], s[4:5], v9, s10, 0
	v_addc_co_u32_e32 v5, vcc, v48, v39, vcc
	v_addc_co_u32_e32 v7, vcc, 0, v7, vcc
	v_add_co_u32_e32 v5, vcc, v5, v6
	s_brev_b32 s10, -2
	v_addc_co_u32_e32 v37, vcc, 0, v7, vcc
	v_mad_u64_u32 v[6:7], s[4:5], v5, s10, 0
	v_mov_b32_e32 v38, v7
	v_mad_u64_u32 v[38:39], s[4:5], v37, s10, v[38:39]
	v_sub_co_u32_e32 v5, vcc, v8, v6
	v_subb_co_u32_e32 v6, vcc, v9, v38, vcc
	v_subrev_co_u32_e32 v7, vcc, 0x7fffffff, v5
	v_subbrev_co_u32_e32 v8, vcc, 0, v6, vcc
	s_mov_b32 s4, 0x7ffffffe
	v_cmp_lt_u32_e32 vcc, s4, v7
	v_cndmask_b32_e64 v9, 0, -1, vcc
	v_cmp_eq_u32_e32 vcc, 0, v8
	v_cndmask_b32_e32 v8, -1, v9, vcc
	v_add_u32_e32 v9, 0x80000001, v7
	v_cmp_ne_u32_e32 vcc, 0, v8
	v_cndmask_b32_e32 v7, v7, v9, vcc
	v_cmp_lt_u32_e32 vcc, s4, v5
	v_cndmask_b32_e64 v8, 0, -1, vcc
	v_cmp_eq_u32_e32 vcc, 0, v6
	v_cndmask_b32_e32 v6, -1, v8, vcc
	v_cmp_ne_u32_e32 vcc, 0, v6
	v_cndmask_b32_e32 v7, v5, v7, vcc
.LBB29_540:
	s_or_b64 exec, exec, s[8:9]
	s_movk_i32 s8, 0x1388
	v_mov_b32_e32 v37, 0
	s_mov_b32 s9, 0xbc8f1391
	s_mov_b32 s10, 0xbc8f
	s_brev_b32 s11, 12
	s_mov_b32 s14, 0xf800000
	v_mov_b32_e32 v5, 0x260
.LBB29_541:                             ; =>This Inner Loop Header: Depth=1
	v_mul_hi_u32 v6, v7, s9
	v_lshrrev_b32_e32 v6, 15, v6
	v_mul_u32_u24_e32 v9, 0xadc8, v6
	v_sub_u32_e32 v7, v7, v9
	v_mul_u32_u24_e32 v6, 0xd47, v6
	v_mul_lo_u32 v7, v7, s10
	v_xor_b32_e32 v9, 0x7fffffff, v6
	v_sub_u32_e32 v38, 0, v6
	v_cmp_lt_u32_e32 vcc, v7, v6
	v_cndmask_b32_e32 v6, v38, v9, vcc
	v_add_u32_e32 v6, v6, v7
	v_mul_hi_u32 v9, v6, s9
	v_lshrrev_b32_e32 v9, 15, v9
	v_mul_u32_u24_e32 v38, 0xadc8, v9
	v_add_u32_e32 v7, -1, v6
	v_sub_u32_e32 v6, v6, v38
	v_mul_u32_u24_e32 v9, 0xd47, v9
	v_mul_lo_u32 v6, v6, s10
	v_xor_b32_e32 v38, 0x7fffffff, v9
	v_sub_u32_e32 v39, 0, v9
	v_cmp_lt_u32_e32 vcc, v6, v9
	v_cndmask_b32_e32 v9, v39, v38, vcc
	v_add_u32_e32 v6, v9, v6
	v_mul_hi_u32 v38, v6, s9
	v_add_u32_e32 v9, -1, v6
	v_lshrrev_b32_e32 v38, 15, v38
	v_cvt_f32_u32_e32 v9, v9
	v_mul_u32_u24_e32 v39, 0xadc8, v38
	v_cvt_f32_u32_e32 v7, v7
	v_sub_u32_e32 v6, v6, v39
	v_mul_u32_u24_e32 v38, 0xd47, v38
	v_mul_lo_u32 v6, v6, s10
	v_xor_b32_e32 v39, 0x7fffffff, v38
	v_sub_u32_e32 v48, 0, v38
	v_cmp_lt_u32_e32 vcc, v6, v38
	v_fma_f32 v9, v9, s11, 0
	v_cndmask_b32_e32 v38, v48, v39, vcc
	v_fma_f32 v7, v7, s11, 0
	v_mul_f32_e32 v9, v9, v9
	v_add_u32_e32 v6, v38, v6
	v_fmac_f32_e32 v9, v7, v7
	v_mul_hi_u32 v38, v6, s9
	v_add_u32_e32 v7, -1, v6
	v_mul_f32_e32 v39, 0x4f800000, v9
	v_lshrrev_b32_e32 v38, 15, v38
	v_cmp_gt_f32_e32 vcc, s14, v9
	v_cvt_f32_u32_e32 v7, v7
	v_cndmask_b32_e32 v9, v9, v39, vcc
	v_mul_u32_u24_e32 v39, 0xadc8, v38
	v_sqrt_f32_e32 v48, v9
	v_sub_u32_e32 v6, v6, v39
	v_mul_u32_u24_e32 v38, 0xd47, v38
	v_mul_lo_u32 v6, v6, s10
	v_xor_b32_e32 v39, 0x7fffffff, v38
	v_sub_u32_e32 v49, 0, v38
	v_cmp_lt_u32_e64 s[4:5], v6, v38
	v_fma_f32 v50, v7, s11, 0
	v_cndmask_b32_e64 v7, v49, v39, s[4:5]
	v_add_u32_e32 v7, v7, v6
	v_add_u32_e32 v6, -1, v48
	v_add_u32_e32 v38, 1, v48
	v_add_u32_e32 v39, -1, v7
	v_fma_f32 v49, -v6, v48, v9
	v_fma_f32 v51, -v38, v48, v9
	v_cvt_f32_u32_e32 v39, v39
	v_cmp_ge_f32_e64 s[4:5], 0, v49
	v_cndmask_b32_e64 v6, v48, v6, s[4:5]
	v_cmp_lt_f32_e64 s[4:5], 0, v51
	v_cndmask_b32_e64 v6, v6, v38, s[4:5]
	v_mul_f32_e32 v38, 0x37800000, v6
	v_cndmask_b32_e32 v6, v6, v38, vcc
	v_fma_f32 v38, v39, s11, 0
	v_cmp_class_f32_e32 vcc, v9, v5
	v_cndmask_b32_e32 v6, v6, v9, vcc
	v_mul_f32_e32 v9, v38, v38
	v_add_f32_e32 v8, 1.0, v37
	v_cmp_nge_f32_e32 vcc, 1.0, v6
	v_fmac_f32_e32 v9, v50, v50
	v_cndmask_b32_e32 v6, v8, v37, vcc
	v_mul_f32_e32 v8, 0x4f800000, v9
	v_cmp_gt_f32_e32 vcc, s14, v9
	v_cndmask_b32_e32 v8, v9, v8, vcc
	v_sqrt_f32_e32 v9, v8
	s_add_i32 s8, s8, -2
	v_add_f32_e32 v37, 1.0, v6
	s_cmp_lg_u32 s8, 0
	v_add_u32_e32 v38, -1, v9
	v_add_u32_e32 v39, 1, v9
	v_fma_f32 v48, -v38, v9, v8
	v_fma_f32 v49, -v39, v9, v8
	v_cmp_ge_f32_e64 s[4:5], 0, v48
	v_cndmask_b32_e64 v9, v9, v38, s[4:5]
	v_cmp_lt_f32_e64 s[4:5], 0, v49
	v_cndmask_b32_e64 v9, v9, v39, s[4:5]
	v_mul_f32_e32 v38, 0x37800000, v9
	v_cndmask_b32_e32 v9, v9, v38, vcc
	v_cmp_class_f32_e32 vcc, v8, v5
	v_cndmask_b32_e32 v8, v9, v8, vcc
	v_cmp_nge_f32_e32 vcc, 1.0, v8
	v_cndmask_b32_e32 v37, v37, v6, vcc
	s_cbranch_scc1 .LBB29_541
; %bb.542:
	v_add_u32_e32 v6, 0xfde800, v4
	v_cmp_ne_u32_e32 vcc, 0, v6
	v_mov_b32_e32 v7, 1
	s_and_saveexec_b64 s[8:9], vcc
	s_cbranch_execz .LBB29_548
; %bb.543:
	v_mov_b32_e32 v8, 1
	v_mov_b32_e32 v7, 0
	s_mov_b64 s[14:15], 0xbc8f
	s_mov_b64 s[10:11], 0
	v_mov_b32_e32 v9, 0
	s_brev_b32 s19, -2
	s_mov_b32 s20, 0x7ffffffe
	v_mov_b32_e32 v5, 0xfffff800
	s_movk_i32 s21, 0x401
	s_branch .LBB29_545
.LBB29_544:                             ;   in Loop: Header=BB29_545 Depth=1
	s_or_b64 exec, exec, s[16:17]
	s_mul_i32 s4, s14, s15
	s_mul_hi_u32 s5, s14, s14
	s_add_i32 s5, s5, s4
	s_add_i32 s4, s5, s4
	s_mul_i32 s5, s14, s14
	s_add_u32 s14, 0x402, s21
	s_addc_u32 s15, 0, 0
	v_add_co_u32_e32 v48, vcc, s14, v5
	s_cmp_lg_u64 vcc, 0
	v_readfirstlane_b32 s16, v48
	s_addc_u32 s14, s15, 1
	s_mul_hi_u32 s17, s16, 0x80000001
	s_mul_i32 s15, s14, 0x80000001
	s_sub_i32 s17, s17, s16
	s_add_i32 s17, s17, s15
	s_mul_i32 s23, s16, 0x80000001
	s_mul_hi_u32 s15, s16, s17
	s_mul_i32 s22, s16, s17
	s_mul_hi_u32 s16, s16, s23
	s_add_u32 s16, s16, s22
	s_addc_u32 s15, 0, s15
	s_mul_hi_u32 s24, s14, s23
	s_mul_i32 s23, s14, s23
	s_add_u32 s16, s16, s23
	s_mul_hi_u32 s22, s14, s17
	s_addc_u32 s15, s15, s24
	s_addc_u32 s16, s22, 0
	s_mul_i32 s17, s14, s17
	s_add_u32 s15, s15, s17
	s_addc_u32 s16, 0, s16
	v_add_co_u32_e32 v48, vcc, s15, v48
	s_cmp_lg_u64 vcc, 0
	s_addc_u32 s14, s14, s16
	v_readfirstlane_b32 s17, v48
	s_mul_i32 s16, s5, s14
	s_mul_hi_u32 s22, s5, s17
	s_mul_hi_u32 s15, s5, s14
	s_add_u32 s16, s22, s16
	s_addc_u32 s15, 0, s15
	s_mul_hi_u32 s23, s4, s17
	s_mul_i32 s17, s4, s17
	s_add_u32 s16, s16, s17
	s_mul_hi_u32 s22, s4, s14
	s_addc_u32 s15, s15, s23
	s_addc_u32 s16, s22, 0
	s_mul_i32 s14, s4, s14
	s_add_u32 s14, s15, s14
	s_addc_u32 s15, 0, s16
	s_mul_hi_u32 s16, s14, 0x7fffffff
	s_mul_i32 s14, s14, 0x7fffffff
	s_mul_i32 s15, s15, 0x7fffffff
	v_mov_b32_e32 v48, s14
	s_add_i32 s16, s16, s15
	v_sub_co_u32_e32 v48, vcc, s5, v48
	s_cmp_lg_u64 vcc, 0
	s_subb_u32 s4, s4, s16
	v_subrev_co_u32_e32 v49, vcc, s19, v48
	s_cmp_lg_u64 vcc, 0
	s_subb_u32 s5, s4, 0
	v_subrev_co_u32_e32 v50, vcc, s19, v49
	s_cmp_lg_u64 vcc, 0
	s_subb_u32 s14, s5, 0
	v_readfirstlane_b32 s15, v49
	s_cmp_gt_u32 s15, 0x7ffffffe
	s_cselect_b32 s16, -1, 0
	s_cmp_eq_u32 s5, 0
	s_cselect_b32 s16, s16, -1
	s_cmp_lg_u32 s16, 0
	s_cselect_b32 s5, s14, s5
	v_readfirstlane_b32 s14, v50
	v_readfirstlane_b32 s16, v48
	s_cselect_b32 s14, s14, s15
	s_cmp_gt_u32 s16, 0x7ffffffe
	s_cselect_b32 s15, -1, 0
	s_cmp_eq_u32 s4, 0
	s_cselect_b32 s15, s15, -1
	v_lshrrev_b64 v[38:39], 1, v[6:7]
	s_cmp_lg_u32 s15, 0
	v_cmp_gt_u64_e32 vcc, 2, v[6:7]
	s_cselect_b32 s15, s5, s4
	s_cselect_b32 s14, s14, s16
	s_or_b64 s[10:11], vcc, s[10:11]
	v_pk_mov_b32 v[6:7], v[38:39], v[38:39] op_sel:[0,1]
	s_andn2_b64 exec, exec, s[10:11]
	s_cbranch_execz .LBB29_547
.LBB29_545:                             ; =>This Inner Loop Header: Depth=1
	v_and_b32_e32 v38, 1, v6
	v_cmp_eq_u32_e32 vcc, 1, v38
	s_and_saveexec_b64 s[16:17], vcc
	s_cbranch_execz .LBB29_544
; %bb.546:                              ;   in Loop: Header=BB29_545 Depth=1
	v_mul_lo_u32 v38, s15, v8
	v_mul_lo_u32 v39, s14, v9
	v_mad_u64_u32 v[8:9], s[4:5], s14, v8, 0
	s_add_u32 s4, 0x402, s21
	v_add3_u32 v9, v9, v39, v38
	s_addc_u32 s5, 0, 0
	v_add_co_u32_e32 v38, vcc, s4, v5
	s_cmp_lg_u64 vcc, 0
	v_readfirstlane_b32 s22, v38
	s_addc_u32 s4, s5, 1
	s_mul_hi_u32 s23, s22, 0x80000001
	s_mul_i32 s5, s4, 0x80000001
	s_sub_i32 s23, s23, s22
	s_add_i32 s23, s23, s5
	s_mul_i32 s25, s22, 0x80000001
	s_mul_hi_u32 s5, s22, s23
	s_mul_i32 s24, s22, s23
	s_mul_hi_u32 s22, s22, s25
	s_add_u32 s22, s22, s24
	s_addc_u32 s5, 0, s5
	s_mul_hi_u32 s26, s4, s25
	s_mul_i32 s25, s4, s25
	s_add_u32 s22, s22, s25
	s_mul_hi_u32 s24, s4, s23
	s_addc_u32 s5, s5, s26
	s_addc_u32 s22, s24, 0
	s_mul_i32 s23, s4, s23
	s_add_u32 s5, s5, s23
	s_addc_u32 s22, 0, s22
	v_add_co_u32_e32 v48, vcc, s5, v38
	s_cmp_lg_u64 vcc, 0
	s_addc_u32 s22, s4, s22
	v_mad_u64_u32 v[38:39], s[4:5], v8, s22, 0
	v_mul_hi_u32 v49, v8, v48
	v_add_co_u32_e32 v50, vcc, v49, v38
	v_addc_co_u32_e32 v51, vcc, 0, v39, vcc
	v_mad_u64_u32 v[48:49], s[4:5], v9, v48, 0
	v_add_co_u32_e32 v48, vcc, v50, v48
	v_mad_u64_u32 v[38:39], s[4:5], v9, s22, 0
	v_addc_co_u32_e32 v48, vcc, v51, v49, vcc
	v_addc_co_u32_e32 v39, vcc, 0, v39, vcc
	v_add_co_u32_e32 v38, vcc, v48, v38
	v_addc_co_u32_e32 v49, vcc, 0, v39, vcc
	v_mad_u64_u32 v[38:39], s[4:5], v38, s19, 0
	v_mov_b32_e32 v48, v39
	v_mad_u64_u32 v[48:49], s[4:5], v49, s19, v[48:49]
	v_sub_co_u32_e32 v8, vcc, v8, v38
	v_subb_co_u32_e32 v9, vcc, v9, v48, vcc
	v_subrev_co_u32_e32 v38, vcc, s19, v8
	v_subbrev_co_u32_e32 v39, vcc, 0, v9, vcc
	v_subrev_co_u32_e32 v48, vcc, s19, v38
	v_subbrev_co_u32_e32 v49, vcc, 0, v39, vcc
	v_cmp_lt_u32_e32 vcc, s20, v38
	v_cndmask_b32_e64 v50, 0, -1, vcc
	v_cmp_eq_u32_e32 vcc, 0, v39
	v_cndmask_b32_e32 v50, -1, v50, vcc
	v_cmp_ne_u32_e32 vcc, 0, v50
	v_cmp_lt_u32_e64 s[4:5], s20, v8
	v_cndmask_b32_e32 v39, v39, v49, vcc
	v_cndmask_b32_e64 v49, 0, -1, s[4:5]
	v_cmp_eq_u32_e64 s[4:5], 0, v9
	v_cndmask_b32_e64 v49, -1, v49, s[4:5]
	v_cmp_ne_u32_e64 s[4:5], 0, v49
	v_cndmask_b32_e32 v38, v38, v48, vcc
	v_cndmask_b32_e64 v9, v9, v39, s[4:5]
	v_cndmask_b32_e64 v8, v8, v38, s[4:5]
	s_branch .LBB29_544
.LBB29_547:
	s_or_b64 exec, exec, s[10:11]
	s_movk_i32 s4, 0x401
	s_add_u32 s4, 0x402, s4
	v_mov_b32_e32 v5, 0xfffff800
	s_addc_u32 s5, 0, 0
	v_add_co_u32_e32 v5, vcc, s4, v5
	s_cmp_lg_u64 vcc, 0
	v_readfirstlane_b32 s10, v5
	s_addc_u32 s4, s5, 1
	s_mul_hi_u32 s11, s10, 0x80000001
	s_mul_i32 s5, s4, 0x80000001
	s_sub_i32 s11, s11, s10
	s_add_i32 s11, s11, s5
	s_mul_i32 s15, s10, 0x80000001
	s_mul_hi_u32 s5, s10, s11
	s_mul_i32 s14, s10, s11
	s_mul_hi_u32 s10, s10, s15
	s_add_u32 s10, s10, s14
	s_addc_u32 s5, 0, s5
	s_mul_hi_u32 s16, s4, s15
	s_mul_i32 s15, s4, s15
	s_add_u32 s10, s10, s15
	s_mul_hi_u32 s14, s4, s11
	s_addc_u32 s5, s5, s16
	s_addc_u32 s10, s14, 0
	s_mul_i32 s11, s4, s11
	s_add_u32 s5, s5, s11
	s_addc_u32 s10, 0, s10
	v_add_co_u32_e32 v5, vcc, s5, v5
	s_cmp_lg_u64 vcc, 0
	s_addc_u32 s10, s4, s10
	v_mad_u64_u32 v[6:7], s[4:5], v8, s10, 0
	v_mul_hi_u32 v38, v8, v5
	v_add_co_u32_e32 v48, vcc, v38, v6
	v_addc_co_u32_e32 v49, vcc, 0, v7, vcc
	v_mad_u64_u32 v[38:39], s[4:5], v9, v5, 0
	v_add_co_u32_e32 v5, vcc, v48, v38
	v_mad_u64_u32 v[6:7], s[4:5], v9, s10, 0
	v_addc_co_u32_e32 v5, vcc, v49, v39, vcc
	v_addc_co_u32_e32 v7, vcc, 0, v7, vcc
	v_add_co_u32_e32 v5, vcc, v5, v6
	s_brev_b32 s10, -2
	v_addc_co_u32_e32 v39, vcc, 0, v7, vcc
	v_mad_u64_u32 v[6:7], s[4:5], v5, s10, 0
	v_mov_b32_e32 v38, v7
	v_mad_u64_u32 v[38:39], s[4:5], v39, s10, v[38:39]
	v_sub_co_u32_e32 v5, vcc, v8, v6
	v_subb_co_u32_e32 v6, vcc, v9, v38, vcc
	v_subrev_co_u32_e32 v7, vcc, 0x7fffffff, v5
	v_subbrev_co_u32_e32 v8, vcc, 0, v6, vcc
	s_mov_b32 s4, 0x7ffffffe
	v_cmp_lt_u32_e32 vcc, s4, v7
	v_cndmask_b32_e64 v9, 0, -1, vcc
	v_cmp_eq_u32_e32 vcc, 0, v8
	v_cndmask_b32_e32 v8, -1, v9, vcc
	v_add_u32_e32 v9, 0x80000001, v7
	v_cmp_ne_u32_e32 vcc, 0, v8
	v_cndmask_b32_e32 v7, v7, v9, vcc
	v_cmp_lt_u32_e32 vcc, s4, v5
	v_cndmask_b32_e64 v8, 0, -1, vcc
	v_cmp_eq_u32_e32 vcc, 0, v6
	v_cndmask_b32_e32 v6, -1, v8, vcc
	v_cmp_ne_u32_e32 vcc, 0, v6
	v_cndmask_b32_e32 v7, v5, v7, vcc
.LBB29_548:
	s_or_b64 exec, exec, s[8:9]
	s_movk_i32 s8, 0x1388
	v_mov_b32_e32 v38, 0
	s_mov_b32 s9, 0xbc8f1391
	s_mov_b32 s10, 0xbc8f
	s_brev_b32 s11, 12
	s_mov_b32 s14, 0xf800000
	v_mov_b32_e32 v5, 0x260
.LBB29_549:                             ; =>This Inner Loop Header: Depth=1
	v_mul_hi_u32 v6, v7, s9
	v_lshrrev_b32_e32 v6, 15, v6
	v_mul_u32_u24_e32 v9, 0xadc8, v6
	v_sub_u32_e32 v7, v7, v9
	v_mul_u32_u24_e32 v6, 0xd47, v6
	v_mul_lo_u32 v7, v7, s10
	v_xor_b32_e32 v9, 0x7fffffff, v6
	v_sub_u32_e32 v39, 0, v6
	v_cmp_lt_u32_e32 vcc, v7, v6
	v_cndmask_b32_e32 v6, v39, v9, vcc
	v_add_u32_e32 v6, v6, v7
	v_mul_hi_u32 v9, v6, s9
	v_lshrrev_b32_e32 v9, 15, v9
	v_mul_u32_u24_e32 v39, 0xadc8, v9
	v_add_u32_e32 v7, -1, v6
	v_sub_u32_e32 v6, v6, v39
	v_mul_u32_u24_e32 v9, 0xd47, v9
	v_mul_lo_u32 v6, v6, s10
	v_xor_b32_e32 v39, 0x7fffffff, v9
	v_sub_u32_e32 v48, 0, v9
	v_cmp_lt_u32_e32 vcc, v6, v9
	v_cndmask_b32_e32 v9, v48, v39, vcc
	v_add_u32_e32 v6, v9, v6
	v_mul_hi_u32 v39, v6, s9
	v_add_u32_e32 v9, -1, v6
	v_lshrrev_b32_e32 v39, 15, v39
	v_cvt_f32_u32_e32 v9, v9
	v_mul_u32_u24_e32 v48, 0xadc8, v39
	v_cvt_f32_u32_e32 v7, v7
	v_sub_u32_e32 v6, v6, v48
	v_mul_u32_u24_e32 v39, 0xd47, v39
	v_mul_lo_u32 v6, v6, s10
	v_xor_b32_e32 v48, 0x7fffffff, v39
	v_sub_u32_e32 v49, 0, v39
	v_cmp_lt_u32_e32 vcc, v6, v39
	v_fma_f32 v9, v9, s11, 0
	v_cndmask_b32_e32 v39, v49, v48, vcc
	v_fma_f32 v7, v7, s11, 0
	v_mul_f32_e32 v9, v9, v9
	v_add_u32_e32 v6, v39, v6
	v_fmac_f32_e32 v9, v7, v7
	v_mul_hi_u32 v39, v6, s9
	v_add_u32_e32 v7, -1, v6
	v_mul_f32_e32 v48, 0x4f800000, v9
	v_lshrrev_b32_e32 v39, 15, v39
	v_cmp_gt_f32_e32 vcc, s14, v9
	v_cvt_f32_u32_e32 v7, v7
	v_cndmask_b32_e32 v9, v9, v48, vcc
	v_mul_u32_u24_e32 v48, 0xadc8, v39
	v_sqrt_f32_e32 v49, v9
	v_sub_u32_e32 v6, v6, v48
	v_mul_u32_u24_e32 v39, 0xd47, v39
	v_mul_lo_u32 v6, v6, s10
	v_xor_b32_e32 v48, 0x7fffffff, v39
	v_sub_u32_e32 v50, 0, v39
	v_cmp_lt_u32_e64 s[4:5], v6, v39
	v_fma_f32 v51, v7, s11, 0
	v_cndmask_b32_e64 v7, v50, v48, s[4:5]
	v_add_u32_e32 v7, v7, v6
	v_add_u32_e32 v6, -1, v49
	v_add_u32_e32 v39, 1, v49
	v_add_u32_e32 v48, -1, v7
	v_fma_f32 v50, -v6, v49, v9
	v_fma_f32 v52, -v39, v49, v9
	v_cvt_f32_u32_e32 v48, v48
	v_cmp_ge_f32_e64 s[4:5], 0, v50
	v_cndmask_b32_e64 v6, v49, v6, s[4:5]
	v_cmp_lt_f32_e64 s[4:5], 0, v52
	v_cndmask_b32_e64 v6, v6, v39, s[4:5]
	v_mul_f32_e32 v39, 0x37800000, v6
	v_cndmask_b32_e32 v6, v6, v39, vcc
	v_fma_f32 v39, v48, s11, 0
	v_cmp_class_f32_e32 vcc, v9, v5
	v_cndmask_b32_e32 v6, v6, v9, vcc
	v_mul_f32_e32 v9, v39, v39
	v_add_f32_e32 v8, 1.0, v38
	v_cmp_nge_f32_e32 vcc, 1.0, v6
	v_fmac_f32_e32 v9, v51, v51
	v_cndmask_b32_e32 v6, v8, v38, vcc
	v_mul_f32_e32 v8, 0x4f800000, v9
	v_cmp_gt_f32_e32 vcc, s14, v9
	v_cndmask_b32_e32 v8, v9, v8, vcc
	v_sqrt_f32_e32 v9, v8
	s_add_i32 s8, s8, -2
	v_add_f32_e32 v38, 1.0, v6
	s_cmp_lg_u32 s8, 0
	v_add_u32_e32 v39, -1, v9
	v_add_u32_e32 v48, 1, v9
	v_fma_f32 v49, -v39, v9, v8
	v_fma_f32 v50, -v48, v9, v8
	v_cmp_ge_f32_e64 s[4:5], 0, v49
	v_cndmask_b32_e64 v9, v9, v39, s[4:5]
	v_cmp_lt_f32_e64 s[4:5], 0, v50
	v_cndmask_b32_e64 v9, v9, v48, s[4:5]
	v_mul_f32_e32 v39, 0x37800000, v9
	v_cndmask_b32_e32 v9, v9, v39, vcc
	v_cmp_class_f32_e32 vcc, v8, v5
	v_cndmask_b32_e32 v8, v9, v8, vcc
	v_cmp_nge_f32_e32 vcc, 1.0, v8
	v_cndmask_b32_e32 v38, v38, v6, vcc
	s_cbranch_scc1 .LBB29_549
; %bb.550:
	v_add_u32_e32 v6, 0x107ac00, v4
	v_cmp_ne_u32_e32 vcc, 0, v6
	v_mov_b32_e32 v7, 1
	s_and_saveexec_b64 s[8:9], vcc
	s_cbranch_execz .LBB29_556
; %bb.551:
	v_mov_b32_e32 v8, 1
	v_mov_b32_e32 v7, 0
	s_mov_b64 s[14:15], 0xbc8f
	s_mov_b64 s[10:11], 0
	v_mov_b32_e32 v9, 0
	s_brev_b32 s19, -2
	s_mov_b32 s20, 0x7ffffffe
	v_mov_b32_e32 v5, 0xfffff800
	s_movk_i32 s21, 0x401
	s_branch .LBB29_553
.LBB29_552:                             ;   in Loop: Header=BB29_553 Depth=1
	s_or_b64 exec, exec, s[16:17]
	s_mul_i32 s4, s14, s15
	s_mul_hi_u32 s5, s14, s14
	s_add_i32 s5, s5, s4
	s_add_i32 s4, s5, s4
	s_mul_i32 s5, s14, s14
	s_add_u32 s14, 0x402, s21
	s_addc_u32 s15, 0, 0
	v_add_co_u32_e32 v39, vcc, s14, v5
	s_cmp_lg_u64 vcc, 0
	v_readfirstlane_b32 s16, v39
	s_addc_u32 s14, s15, 1
	s_mul_hi_u32 s17, s16, 0x80000001
	s_mul_i32 s15, s14, 0x80000001
	s_sub_i32 s17, s17, s16
	s_add_i32 s17, s17, s15
	s_mul_i32 s23, s16, 0x80000001
	s_mul_hi_u32 s15, s16, s17
	s_mul_i32 s22, s16, s17
	s_mul_hi_u32 s16, s16, s23
	s_add_u32 s16, s16, s22
	s_addc_u32 s15, 0, s15
	s_mul_hi_u32 s24, s14, s23
	s_mul_i32 s23, s14, s23
	s_add_u32 s16, s16, s23
	s_mul_hi_u32 s22, s14, s17
	s_addc_u32 s15, s15, s24
	s_addc_u32 s16, s22, 0
	s_mul_i32 s17, s14, s17
	s_add_u32 s15, s15, s17
	s_addc_u32 s16, 0, s16
	v_add_co_u32_e32 v39, vcc, s15, v39
	s_cmp_lg_u64 vcc, 0
	s_addc_u32 s14, s14, s16
	v_readfirstlane_b32 s17, v39
	s_mul_i32 s16, s5, s14
	s_mul_hi_u32 s22, s5, s17
	s_mul_hi_u32 s15, s5, s14
	s_add_u32 s16, s22, s16
	s_addc_u32 s15, 0, s15
	s_mul_hi_u32 s23, s4, s17
	s_mul_i32 s17, s4, s17
	s_add_u32 s16, s16, s17
	s_mul_hi_u32 s22, s4, s14
	s_addc_u32 s15, s15, s23
	s_addc_u32 s16, s22, 0
	s_mul_i32 s14, s4, s14
	s_add_u32 s14, s15, s14
	s_addc_u32 s15, 0, s16
	s_mul_hi_u32 s16, s14, 0x7fffffff
	s_mul_i32 s14, s14, 0x7fffffff
	s_mul_i32 s15, s15, 0x7fffffff
	v_mov_b32_e32 v39, s14
	s_add_i32 s16, s16, s15
	v_sub_co_u32_e32 v39, vcc, s5, v39
	s_cmp_lg_u64 vcc, 0
	s_subb_u32 s4, s4, s16
	v_subrev_co_u32_e32 v50, vcc, s19, v39
	s_cmp_lg_u64 vcc, 0
	s_subb_u32 s5, s4, 0
	v_subrev_co_u32_e32 v51, vcc, s19, v50
	s_cmp_lg_u64 vcc, 0
	s_subb_u32 s14, s5, 0
	v_readfirstlane_b32 s15, v50
	s_cmp_gt_u32 s15, 0x7ffffffe
	s_cselect_b32 s16, -1, 0
	s_cmp_eq_u32 s5, 0
	s_cselect_b32 s16, s16, -1
	s_cmp_lg_u32 s16, 0
	s_cselect_b32 s5, s14, s5
	v_readfirstlane_b32 s14, v51
	v_readfirstlane_b32 s16, v39
	s_cselect_b32 s14, s14, s15
	s_cmp_gt_u32 s16, 0x7ffffffe
	s_cselect_b32 s15, -1, 0
	s_cmp_eq_u32 s4, 0
	s_cselect_b32 s15, s15, -1
	v_lshrrev_b64 v[48:49], 1, v[6:7]
	s_cmp_lg_u32 s15, 0
	v_cmp_gt_u64_e32 vcc, 2, v[6:7]
	s_cselect_b32 s15, s5, s4
	s_cselect_b32 s14, s14, s16
	s_or_b64 s[10:11], vcc, s[10:11]
	v_pk_mov_b32 v[6:7], v[48:49], v[48:49] op_sel:[0,1]
	s_andn2_b64 exec, exec, s[10:11]
	s_cbranch_execz .LBB29_555
.LBB29_553:                             ; =>This Inner Loop Header: Depth=1
	v_and_b32_e32 v39, 1, v6
	v_cmp_eq_u32_e32 vcc, 1, v39
	s_and_saveexec_b64 s[16:17], vcc
	s_cbranch_execz .LBB29_552
; %bb.554:                              ;   in Loop: Header=BB29_553 Depth=1
	v_mul_lo_u32 v39, s15, v8
	v_mul_lo_u32 v48, s14, v9
	v_mad_u64_u32 v[8:9], s[4:5], s14, v8, 0
	s_add_u32 s4, 0x402, s21
	v_add3_u32 v9, v9, v48, v39
	s_addc_u32 s5, 0, 0
	v_add_co_u32_e32 v39, vcc, s4, v5
	s_cmp_lg_u64 vcc, 0
	v_readfirstlane_b32 s22, v39
	s_addc_u32 s4, s5, 1
	s_mul_hi_u32 s23, s22, 0x80000001
	s_mul_i32 s5, s4, 0x80000001
	s_sub_i32 s23, s23, s22
	s_add_i32 s23, s23, s5
	s_mul_i32 s25, s22, 0x80000001
	s_mul_hi_u32 s5, s22, s23
	s_mul_i32 s24, s22, s23
	s_mul_hi_u32 s22, s22, s25
	s_add_u32 s22, s22, s24
	s_addc_u32 s5, 0, s5
	s_mul_hi_u32 s26, s4, s25
	s_mul_i32 s25, s4, s25
	s_add_u32 s22, s22, s25
	s_mul_hi_u32 s24, s4, s23
	s_addc_u32 s5, s5, s26
	s_addc_u32 s22, s24, 0
	s_mul_i32 s23, s4, s23
	s_add_u32 s5, s5, s23
	s_addc_u32 s22, 0, s22
	v_add_co_u32_e32 v39, vcc, s5, v39
	s_cmp_lg_u64 vcc, 0
	s_addc_u32 s22, s4, s22
	v_mad_u64_u32 v[48:49], s[4:5], v8, s22, 0
	v_mul_hi_u32 v50, v8, v39
	v_add_co_u32_e32 v52, vcc, v50, v48
	v_addc_co_u32_e32 v53, vcc, 0, v49, vcc
	v_mad_u64_u32 v[50:51], s[4:5], v9, v39, 0
	v_add_co_u32_e32 v39, vcc, v52, v50
	v_mad_u64_u32 v[48:49], s[4:5], v9, s22, 0
	v_addc_co_u32_e32 v39, vcc, v53, v51, vcc
	v_addc_co_u32_e32 v49, vcc, 0, v49, vcc
	v_add_co_u32_e32 v39, vcc, v39, v48
	v_addc_co_u32_e32 v51, vcc, 0, v49, vcc
	v_mad_u64_u32 v[48:49], s[4:5], v39, s19, 0
	v_mov_b32_e32 v50, v49
	v_mad_u64_u32 v[50:51], s[4:5], v51, s19, v[50:51]
	v_sub_co_u32_e32 v8, vcc, v8, v48
	v_subb_co_u32_e32 v9, vcc, v9, v50, vcc
	v_subrev_co_u32_e32 v39, vcc, s19, v8
	v_subbrev_co_u32_e32 v48, vcc, 0, v9, vcc
	v_subrev_co_u32_e32 v49, vcc, s19, v39
	v_subbrev_co_u32_e32 v50, vcc, 0, v48, vcc
	v_cmp_lt_u32_e32 vcc, s20, v39
	v_cndmask_b32_e64 v51, 0, -1, vcc
	v_cmp_eq_u32_e32 vcc, 0, v48
	v_cndmask_b32_e32 v51, -1, v51, vcc
	v_cmp_ne_u32_e32 vcc, 0, v51
	v_cmp_lt_u32_e64 s[4:5], s20, v8
	v_cndmask_b32_e32 v48, v48, v50, vcc
	v_cndmask_b32_e64 v50, 0, -1, s[4:5]
	v_cmp_eq_u32_e64 s[4:5], 0, v9
	v_cndmask_b32_e64 v50, -1, v50, s[4:5]
	v_cmp_ne_u32_e64 s[4:5], 0, v50
	v_cndmask_b32_e32 v39, v39, v49, vcc
	v_cndmask_b32_e64 v9, v9, v48, s[4:5]
	v_cndmask_b32_e64 v8, v8, v39, s[4:5]
	s_branch .LBB29_552
.LBB29_555:
	s_or_b64 exec, exec, s[10:11]
	s_movk_i32 s4, 0x401
	s_add_u32 s4, 0x402, s4
	v_mov_b32_e32 v5, 0xfffff800
	s_addc_u32 s5, 0, 0
	v_add_co_u32_e32 v5, vcc, s4, v5
	s_cmp_lg_u64 vcc, 0
	v_readfirstlane_b32 s10, v5
	s_addc_u32 s4, s5, 1
	s_mul_hi_u32 s11, s10, 0x80000001
	s_mul_i32 s5, s4, 0x80000001
	s_sub_i32 s11, s11, s10
	s_add_i32 s11, s11, s5
	s_mul_i32 s15, s10, 0x80000001
	s_mul_hi_u32 s5, s10, s11
	s_mul_i32 s14, s10, s11
	s_mul_hi_u32 s10, s10, s15
	s_add_u32 s10, s10, s14
	s_addc_u32 s5, 0, s5
	s_mul_hi_u32 s16, s4, s15
	s_mul_i32 s15, s4, s15
	s_add_u32 s10, s10, s15
	s_mul_hi_u32 s14, s4, s11
	s_addc_u32 s5, s5, s16
	s_addc_u32 s10, s14, 0
	s_mul_i32 s11, s4, s11
	s_add_u32 s5, s5, s11
	s_addc_u32 s10, 0, s10
	v_add_co_u32_e32 v5, vcc, s5, v5
	s_cmp_lg_u64 vcc, 0
	s_addc_u32 s10, s4, s10
	v_mad_u64_u32 v[6:7], s[4:5], v8, s10, 0
	v_mul_hi_u32 v39, v8, v5
	v_add_co_u32_e32 v39, vcc, v39, v6
	v_addc_co_u32_e32 v50, vcc, 0, v7, vcc
	v_mad_u64_u32 v[48:49], s[4:5], v9, v5, 0
	v_add_co_u32_e32 v5, vcc, v39, v48
	v_mad_u64_u32 v[6:7], s[4:5], v9, s10, 0
	v_addc_co_u32_e32 v5, vcc, v50, v49, vcc
	v_addc_co_u32_e32 v7, vcc, 0, v7, vcc
	v_add_co_u32_e32 v5, vcc, v5, v6
	s_brev_b32 s10, -2
	v_addc_co_u32_e32 v39, vcc, 0, v7, vcc
	v_mad_u64_u32 v[6:7], s[4:5], v5, s10, 0
	v_mov_b32_e32 v48, v7
	v_mad_u64_u32 v[48:49], s[4:5], v39, s10, v[48:49]
	v_sub_co_u32_e32 v5, vcc, v8, v6
	v_subb_co_u32_e32 v6, vcc, v9, v48, vcc
	v_subrev_co_u32_e32 v7, vcc, 0x7fffffff, v5
	v_subbrev_co_u32_e32 v8, vcc, 0, v6, vcc
	s_mov_b32 s4, 0x7ffffffe
	v_cmp_lt_u32_e32 vcc, s4, v7
	v_cndmask_b32_e64 v9, 0, -1, vcc
	v_cmp_eq_u32_e32 vcc, 0, v8
	v_cndmask_b32_e32 v8, -1, v9, vcc
	v_add_u32_e32 v9, 0x80000001, v7
	v_cmp_ne_u32_e32 vcc, 0, v8
	v_cndmask_b32_e32 v7, v7, v9, vcc
	v_cmp_lt_u32_e32 vcc, s4, v5
	v_cndmask_b32_e64 v8, 0, -1, vcc
	v_cmp_eq_u32_e32 vcc, 0, v6
	v_cndmask_b32_e32 v6, -1, v8, vcc
	v_cmp_ne_u32_e32 vcc, 0, v6
	v_cndmask_b32_e32 v7, v5, v7, vcc
.LBB29_556:
	s_or_b64 exec, exec, s[8:9]
	s_movk_i32 s8, 0x1388
	v_mov_b32_e32 v39, 0
	s_mov_b32 s9, 0xbc8f1391
	s_mov_b32 s10, 0xbc8f
	s_brev_b32 s11, 12
	s_mov_b32 s14, 0xf800000
	v_mov_b32_e32 v5, 0x260
.LBB29_557:                             ; =>This Inner Loop Header: Depth=1
	v_mul_hi_u32 v6, v7, s9
	v_lshrrev_b32_e32 v6, 15, v6
	v_mul_u32_u24_e32 v9, 0xadc8, v6
	v_sub_u32_e32 v7, v7, v9
	v_mul_u32_u24_e32 v6, 0xd47, v6
	v_mul_lo_u32 v7, v7, s10
	v_xor_b32_e32 v9, 0x7fffffff, v6
	v_sub_u32_e32 v48, 0, v6
	v_cmp_lt_u32_e32 vcc, v7, v6
	v_cndmask_b32_e32 v6, v48, v9, vcc
	v_add_u32_e32 v6, v6, v7
	v_mul_hi_u32 v9, v6, s9
	v_lshrrev_b32_e32 v9, 15, v9
	v_mul_u32_u24_e32 v48, 0xadc8, v9
	v_add_u32_e32 v7, -1, v6
	v_sub_u32_e32 v6, v6, v48
	v_mul_u32_u24_e32 v9, 0xd47, v9
	v_mul_lo_u32 v6, v6, s10
	v_xor_b32_e32 v48, 0x7fffffff, v9
	v_sub_u32_e32 v49, 0, v9
	v_cmp_lt_u32_e32 vcc, v6, v9
	v_cndmask_b32_e32 v9, v49, v48, vcc
	v_add_u32_e32 v6, v9, v6
	v_mul_hi_u32 v48, v6, s9
	v_add_u32_e32 v9, -1, v6
	v_lshrrev_b32_e32 v48, 15, v48
	v_cvt_f32_u32_e32 v9, v9
	v_mul_u32_u24_e32 v49, 0xadc8, v48
	v_cvt_f32_u32_e32 v7, v7
	v_sub_u32_e32 v6, v6, v49
	v_mul_u32_u24_e32 v48, 0xd47, v48
	v_mul_lo_u32 v6, v6, s10
	v_xor_b32_e32 v49, 0x7fffffff, v48
	v_sub_u32_e32 v50, 0, v48
	v_cmp_lt_u32_e32 vcc, v6, v48
	v_fma_f32 v9, v9, s11, 0
	v_cndmask_b32_e32 v48, v50, v49, vcc
	v_fma_f32 v7, v7, s11, 0
	v_mul_f32_e32 v9, v9, v9
	v_add_u32_e32 v6, v48, v6
	v_fmac_f32_e32 v9, v7, v7
	v_mul_hi_u32 v48, v6, s9
	v_add_u32_e32 v7, -1, v6
	v_mul_f32_e32 v49, 0x4f800000, v9
	v_lshrrev_b32_e32 v48, 15, v48
	v_cmp_gt_f32_e32 vcc, s14, v9
	v_cvt_f32_u32_e32 v7, v7
	v_cndmask_b32_e32 v9, v9, v49, vcc
	v_mul_u32_u24_e32 v49, 0xadc8, v48
	v_sqrt_f32_e32 v50, v9
	v_sub_u32_e32 v6, v6, v49
	v_mul_u32_u24_e32 v48, 0xd47, v48
	v_mul_lo_u32 v6, v6, s10
	v_xor_b32_e32 v49, 0x7fffffff, v48
	v_sub_u32_e32 v51, 0, v48
	v_cmp_lt_u32_e64 s[4:5], v6, v48
	v_fma_f32 v52, v7, s11, 0
	v_cndmask_b32_e64 v7, v51, v49, s[4:5]
	v_add_u32_e32 v7, v7, v6
	v_add_u32_e32 v6, -1, v50
	v_add_u32_e32 v48, 1, v50
	v_add_u32_e32 v49, -1, v7
	v_fma_f32 v51, -v6, v50, v9
	v_fma_f32 v53, -v48, v50, v9
	v_cvt_f32_u32_e32 v49, v49
	v_cmp_ge_f32_e64 s[4:5], 0, v51
	v_cndmask_b32_e64 v6, v50, v6, s[4:5]
	v_cmp_lt_f32_e64 s[4:5], 0, v53
	v_cndmask_b32_e64 v6, v6, v48, s[4:5]
	v_mul_f32_e32 v48, 0x37800000, v6
	v_cndmask_b32_e32 v6, v6, v48, vcc
	v_fma_f32 v48, v49, s11, 0
	v_cmp_class_f32_e32 vcc, v9, v5
	v_cndmask_b32_e32 v6, v6, v9, vcc
	v_mul_f32_e32 v9, v48, v48
	v_add_f32_e32 v8, 1.0, v39
	v_cmp_nge_f32_e32 vcc, 1.0, v6
	v_fmac_f32_e32 v9, v52, v52
	v_cndmask_b32_e32 v6, v8, v39, vcc
	v_mul_f32_e32 v8, 0x4f800000, v9
	v_cmp_gt_f32_e32 vcc, s14, v9
	v_cndmask_b32_e32 v8, v9, v8, vcc
	v_sqrt_f32_e32 v9, v8
	s_add_i32 s8, s8, -2
	v_add_f32_e32 v39, 1.0, v6
	s_cmp_lg_u32 s8, 0
	v_add_u32_e32 v48, -1, v9
	v_add_u32_e32 v49, 1, v9
	v_fma_f32 v50, -v48, v9, v8
	v_fma_f32 v51, -v49, v9, v8
	v_cmp_ge_f32_e64 s[4:5], 0, v50
	v_cndmask_b32_e64 v9, v9, v48, s[4:5]
	v_cmp_lt_f32_e64 s[4:5], 0, v51
	v_cndmask_b32_e64 v9, v9, v49, s[4:5]
	v_mul_f32_e32 v48, 0x37800000, v9
	v_cndmask_b32_e32 v9, v9, v48, vcc
	v_cmp_class_f32_e32 vcc, v8, v5
	v_cndmask_b32_e32 v8, v9, v8, vcc
	v_cmp_nge_f32_e32 vcc, 1.0, v8
	v_cndmask_b32_e32 v39, v39, v6, vcc
	s_cbranch_scc1 .LBB29_557
; %bb.558:
	v_add_u32_e32 v6, 0x1117000, v4
	v_cmp_ne_u32_e32 vcc, 0, v6
	v_mov_b32_e32 v7, 1
	s_and_saveexec_b64 s[8:9], vcc
	s_cbranch_execz .LBB29_564
; %bb.559:
	v_mov_b32_e32 v8, 1
	v_mov_b32_e32 v7, 0
	s_mov_b64 s[14:15], 0xbc8f
	s_mov_b64 s[10:11], 0
	v_mov_b32_e32 v9, 0
	s_brev_b32 s19, -2
	s_mov_b32 s20, 0x7ffffffe
	v_mov_b32_e32 v5, 0xfffff800
	s_movk_i32 s21, 0x401
	s_branch .LBB29_561
.LBB29_560:                             ;   in Loop: Header=BB29_561 Depth=1
	s_or_b64 exec, exec, s[16:17]
	s_mul_i32 s4, s14, s15
	s_mul_hi_u32 s5, s14, s14
	s_add_i32 s5, s5, s4
	s_add_i32 s4, s5, s4
	s_mul_i32 s5, s14, s14
	s_add_u32 s14, 0x402, s21
	s_addc_u32 s15, 0, 0
	v_add_co_u32_e32 v50, vcc, s14, v5
	s_cmp_lg_u64 vcc, 0
	v_readfirstlane_b32 s16, v50
	s_addc_u32 s14, s15, 1
	s_mul_hi_u32 s17, s16, 0x80000001
	s_mul_i32 s15, s14, 0x80000001
	s_sub_i32 s17, s17, s16
	s_add_i32 s17, s17, s15
	s_mul_i32 s23, s16, 0x80000001
	s_mul_hi_u32 s15, s16, s17
	s_mul_i32 s22, s16, s17
	s_mul_hi_u32 s16, s16, s23
	s_add_u32 s16, s16, s22
	s_addc_u32 s15, 0, s15
	s_mul_hi_u32 s24, s14, s23
	s_mul_i32 s23, s14, s23
	s_add_u32 s16, s16, s23
	s_mul_hi_u32 s22, s14, s17
	s_addc_u32 s15, s15, s24
	s_addc_u32 s16, s22, 0
	s_mul_i32 s17, s14, s17
	s_add_u32 s15, s15, s17
	s_addc_u32 s16, 0, s16
	v_add_co_u32_e32 v50, vcc, s15, v50
	s_cmp_lg_u64 vcc, 0
	s_addc_u32 s14, s14, s16
	v_readfirstlane_b32 s17, v50
	s_mul_i32 s16, s5, s14
	s_mul_hi_u32 s22, s5, s17
	s_mul_hi_u32 s15, s5, s14
	s_add_u32 s16, s22, s16
	s_addc_u32 s15, 0, s15
	s_mul_hi_u32 s23, s4, s17
	s_mul_i32 s17, s4, s17
	s_add_u32 s16, s16, s17
	s_mul_hi_u32 s22, s4, s14
	s_addc_u32 s15, s15, s23
	s_addc_u32 s16, s22, 0
	s_mul_i32 s14, s4, s14
	s_add_u32 s14, s15, s14
	s_addc_u32 s15, 0, s16
	s_mul_hi_u32 s16, s14, 0x7fffffff
	s_mul_i32 s14, s14, 0x7fffffff
	s_mul_i32 s15, s15, 0x7fffffff
	v_mov_b32_e32 v50, s14
	s_add_i32 s16, s16, s15
	v_sub_co_u32_e32 v50, vcc, s5, v50
	s_cmp_lg_u64 vcc, 0
	s_subb_u32 s4, s4, s16
	v_subrev_co_u32_e32 v51, vcc, s19, v50
	s_cmp_lg_u64 vcc, 0
	s_subb_u32 s5, s4, 0
	v_subrev_co_u32_e32 v52, vcc, s19, v51
	s_cmp_lg_u64 vcc, 0
	s_subb_u32 s14, s5, 0
	v_readfirstlane_b32 s15, v51
	s_cmp_gt_u32 s15, 0x7ffffffe
	s_cselect_b32 s16, -1, 0
	s_cmp_eq_u32 s5, 0
	s_cselect_b32 s16, s16, -1
	s_cmp_lg_u32 s16, 0
	s_cselect_b32 s5, s14, s5
	v_readfirstlane_b32 s14, v52
	v_readfirstlane_b32 s16, v50
	s_cselect_b32 s14, s14, s15
	s_cmp_gt_u32 s16, 0x7ffffffe
	s_cselect_b32 s15, -1, 0
	s_cmp_eq_u32 s4, 0
	s_cselect_b32 s15, s15, -1
	v_lshrrev_b64 v[48:49], 1, v[6:7]
	s_cmp_lg_u32 s15, 0
	v_cmp_gt_u64_e32 vcc, 2, v[6:7]
	s_cselect_b32 s15, s5, s4
	s_cselect_b32 s14, s14, s16
	s_or_b64 s[10:11], vcc, s[10:11]
	v_pk_mov_b32 v[6:7], v[48:49], v[48:49] op_sel:[0,1]
	s_andn2_b64 exec, exec, s[10:11]
	s_cbranch_execz .LBB29_563
.LBB29_561:                             ; =>This Inner Loop Header: Depth=1
	v_and_b32_e32 v48, 1, v6
	v_cmp_eq_u32_e32 vcc, 1, v48
	s_and_saveexec_b64 s[16:17], vcc
	s_cbranch_execz .LBB29_560
; %bb.562:                              ;   in Loop: Header=BB29_561 Depth=1
	v_mul_lo_u32 v48, s15, v8
	v_mul_lo_u32 v49, s14, v9
	v_mad_u64_u32 v[8:9], s[4:5], s14, v8, 0
	s_add_u32 s4, 0x402, s21
	v_add3_u32 v9, v9, v49, v48
	s_addc_u32 s5, 0, 0
	v_add_co_u32_e32 v48, vcc, s4, v5
	s_cmp_lg_u64 vcc, 0
	v_readfirstlane_b32 s22, v48
	s_addc_u32 s4, s5, 1
	s_mul_hi_u32 s23, s22, 0x80000001
	s_mul_i32 s5, s4, 0x80000001
	s_sub_i32 s23, s23, s22
	s_add_i32 s23, s23, s5
	s_mul_i32 s25, s22, 0x80000001
	s_mul_hi_u32 s5, s22, s23
	s_mul_i32 s24, s22, s23
	s_mul_hi_u32 s22, s22, s25
	s_add_u32 s22, s22, s24
	s_addc_u32 s5, 0, s5
	s_mul_hi_u32 s26, s4, s25
	s_mul_i32 s25, s4, s25
	s_add_u32 s22, s22, s25
	s_mul_hi_u32 s24, s4, s23
	s_addc_u32 s5, s5, s26
	s_addc_u32 s22, s24, 0
	s_mul_i32 s23, s4, s23
	s_add_u32 s5, s5, s23
	s_addc_u32 s22, 0, s22
	v_add_co_u32_e32 v50, vcc, s5, v48
	s_cmp_lg_u64 vcc, 0
	s_addc_u32 s22, s4, s22
	v_mad_u64_u32 v[48:49], s[4:5], v8, s22, 0
	v_mul_hi_u32 v51, v8, v50
	v_add_co_u32_e32 v52, vcc, v51, v48
	v_addc_co_u32_e32 v53, vcc, 0, v49, vcc
	v_mad_u64_u32 v[50:51], s[4:5], v9, v50, 0
	v_add_co_u32_e32 v50, vcc, v52, v50
	v_mad_u64_u32 v[48:49], s[4:5], v9, s22, 0
	v_addc_co_u32_e32 v50, vcc, v53, v51, vcc
	v_addc_co_u32_e32 v49, vcc, 0, v49, vcc
	v_add_co_u32_e32 v48, vcc, v50, v48
	v_addc_co_u32_e32 v51, vcc, 0, v49, vcc
	v_mad_u64_u32 v[48:49], s[4:5], v48, s19, 0
	v_mov_b32_e32 v50, v49
	v_mad_u64_u32 v[50:51], s[4:5], v51, s19, v[50:51]
	v_sub_co_u32_e32 v8, vcc, v8, v48
	v_subb_co_u32_e32 v9, vcc, v9, v50, vcc
	v_subrev_co_u32_e32 v48, vcc, s19, v8
	v_subbrev_co_u32_e32 v49, vcc, 0, v9, vcc
	v_subrev_co_u32_e32 v50, vcc, s19, v48
	v_subbrev_co_u32_e32 v51, vcc, 0, v49, vcc
	v_cmp_lt_u32_e32 vcc, s20, v48
	v_cndmask_b32_e64 v52, 0, -1, vcc
	v_cmp_eq_u32_e32 vcc, 0, v49
	v_cndmask_b32_e32 v52, -1, v52, vcc
	v_cmp_ne_u32_e32 vcc, 0, v52
	v_cmp_lt_u32_e64 s[4:5], s20, v8
	v_cndmask_b32_e32 v49, v49, v51, vcc
	v_cndmask_b32_e64 v51, 0, -1, s[4:5]
	v_cmp_eq_u32_e64 s[4:5], 0, v9
	v_cndmask_b32_e64 v51, -1, v51, s[4:5]
	v_cmp_ne_u32_e64 s[4:5], 0, v51
	v_cndmask_b32_e32 v48, v48, v50, vcc
	v_cndmask_b32_e64 v9, v9, v49, s[4:5]
	v_cndmask_b32_e64 v8, v8, v48, s[4:5]
	s_branch .LBB29_560
.LBB29_563:
	s_or_b64 exec, exec, s[10:11]
	s_movk_i32 s4, 0x401
	s_add_u32 s4, 0x402, s4
	v_mov_b32_e32 v5, 0xfffff800
	s_addc_u32 s5, 0, 0
	v_add_co_u32_e32 v5, vcc, s4, v5
	s_cmp_lg_u64 vcc, 0
	v_readfirstlane_b32 s10, v5
	s_addc_u32 s4, s5, 1
	s_mul_hi_u32 s11, s10, 0x80000001
	s_mul_i32 s5, s4, 0x80000001
	s_sub_i32 s11, s11, s10
	s_add_i32 s11, s11, s5
	s_mul_i32 s15, s10, 0x80000001
	s_mul_hi_u32 s5, s10, s11
	s_mul_i32 s14, s10, s11
	s_mul_hi_u32 s10, s10, s15
	s_add_u32 s10, s10, s14
	s_addc_u32 s5, 0, s5
	s_mul_hi_u32 s16, s4, s15
	s_mul_i32 s15, s4, s15
	s_add_u32 s10, s10, s15
	s_mul_hi_u32 s14, s4, s11
	s_addc_u32 s5, s5, s16
	s_addc_u32 s10, s14, 0
	s_mul_i32 s11, s4, s11
	s_add_u32 s5, s5, s11
	s_addc_u32 s10, 0, s10
	v_add_co_u32_e32 v5, vcc, s5, v5
	s_cmp_lg_u64 vcc, 0
	s_addc_u32 s10, s4, s10
	v_mad_u64_u32 v[6:7], s[4:5], v8, s10, 0
	v_mul_hi_u32 v48, v8, v5
	v_add_co_u32_e32 v50, vcc, v48, v6
	v_addc_co_u32_e32 v51, vcc, 0, v7, vcc
	v_mad_u64_u32 v[48:49], s[4:5], v9, v5, 0
	v_add_co_u32_e32 v5, vcc, v50, v48
	v_mad_u64_u32 v[6:7], s[4:5], v9, s10, 0
	v_addc_co_u32_e32 v5, vcc, v51, v49, vcc
	v_addc_co_u32_e32 v7, vcc, 0, v7, vcc
	v_add_co_u32_e32 v5, vcc, v5, v6
	s_brev_b32 s10, -2
	v_addc_co_u32_e32 v49, vcc, 0, v7, vcc
	v_mad_u64_u32 v[6:7], s[4:5], v5, s10, 0
	v_mov_b32_e32 v48, v7
	v_mad_u64_u32 v[48:49], s[4:5], v49, s10, v[48:49]
	v_sub_co_u32_e32 v5, vcc, v8, v6
	v_subb_co_u32_e32 v6, vcc, v9, v48, vcc
	v_subrev_co_u32_e32 v7, vcc, 0x7fffffff, v5
	v_subbrev_co_u32_e32 v8, vcc, 0, v6, vcc
	s_mov_b32 s4, 0x7ffffffe
	v_cmp_lt_u32_e32 vcc, s4, v7
	v_cndmask_b32_e64 v9, 0, -1, vcc
	v_cmp_eq_u32_e32 vcc, 0, v8
	v_cndmask_b32_e32 v8, -1, v9, vcc
	v_add_u32_e32 v9, 0x80000001, v7
	v_cmp_ne_u32_e32 vcc, 0, v8
	v_cndmask_b32_e32 v7, v7, v9, vcc
	v_cmp_lt_u32_e32 vcc, s4, v5
	v_cndmask_b32_e64 v8, 0, -1, vcc
	v_cmp_eq_u32_e32 vcc, 0, v6
	v_cndmask_b32_e32 v6, -1, v8, vcc
	v_cmp_ne_u32_e32 vcc, 0, v6
	v_cndmask_b32_e32 v7, v5, v7, vcc
.LBB29_564:
	s_or_b64 exec, exec, s[8:9]
	s_movk_i32 s8, 0x1388
	v_mov_b32_e32 v48, 0
	s_mov_b32 s9, 0xbc8f1391
	s_mov_b32 s10, 0xbc8f
	s_brev_b32 s11, 12
	s_mov_b32 s14, 0xf800000
	v_mov_b32_e32 v5, 0x260
.LBB29_565:                             ; =>This Inner Loop Header: Depth=1
	v_mul_hi_u32 v6, v7, s9
	v_lshrrev_b32_e32 v6, 15, v6
	v_mul_u32_u24_e32 v9, 0xadc8, v6
	v_sub_u32_e32 v7, v7, v9
	v_mul_u32_u24_e32 v6, 0xd47, v6
	v_mul_lo_u32 v7, v7, s10
	v_xor_b32_e32 v9, 0x7fffffff, v6
	v_sub_u32_e32 v49, 0, v6
	v_cmp_lt_u32_e32 vcc, v7, v6
	v_cndmask_b32_e32 v6, v49, v9, vcc
	v_add_u32_e32 v6, v6, v7
	v_mul_hi_u32 v9, v6, s9
	v_lshrrev_b32_e32 v9, 15, v9
	v_mul_u32_u24_e32 v49, 0xadc8, v9
	v_add_u32_e32 v7, -1, v6
	v_sub_u32_e32 v6, v6, v49
	v_mul_u32_u24_e32 v9, 0xd47, v9
	v_mul_lo_u32 v6, v6, s10
	v_xor_b32_e32 v49, 0x7fffffff, v9
	v_sub_u32_e32 v50, 0, v9
	v_cmp_lt_u32_e32 vcc, v6, v9
	v_cndmask_b32_e32 v9, v50, v49, vcc
	v_add_u32_e32 v6, v9, v6
	v_mul_hi_u32 v49, v6, s9
	v_add_u32_e32 v9, -1, v6
	v_lshrrev_b32_e32 v49, 15, v49
	v_cvt_f32_u32_e32 v9, v9
	v_mul_u32_u24_e32 v50, 0xadc8, v49
	v_cvt_f32_u32_e32 v7, v7
	v_sub_u32_e32 v6, v6, v50
	v_mul_u32_u24_e32 v49, 0xd47, v49
	v_mul_lo_u32 v6, v6, s10
	v_xor_b32_e32 v50, 0x7fffffff, v49
	v_sub_u32_e32 v51, 0, v49
	v_cmp_lt_u32_e32 vcc, v6, v49
	v_fma_f32 v9, v9, s11, 0
	v_cndmask_b32_e32 v49, v51, v50, vcc
	v_fma_f32 v7, v7, s11, 0
	v_mul_f32_e32 v9, v9, v9
	v_add_u32_e32 v6, v49, v6
	v_fmac_f32_e32 v9, v7, v7
	v_mul_hi_u32 v49, v6, s9
	v_add_u32_e32 v7, -1, v6
	v_mul_f32_e32 v50, 0x4f800000, v9
	v_lshrrev_b32_e32 v49, 15, v49
	v_cmp_gt_f32_e32 vcc, s14, v9
	v_cvt_f32_u32_e32 v7, v7
	v_cndmask_b32_e32 v9, v9, v50, vcc
	v_mul_u32_u24_e32 v50, 0xadc8, v49
	v_sqrt_f32_e32 v51, v9
	v_sub_u32_e32 v6, v6, v50
	v_mul_u32_u24_e32 v49, 0xd47, v49
	v_mul_lo_u32 v6, v6, s10
	v_xor_b32_e32 v50, 0x7fffffff, v49
	v_sub_u32_e32 v52, 0, v49
	v_cmp_lt_u32_e64 s[4:5], v6, v49
	v_fma_f32 v53, v7, s11, 0
	v_cndmask_b32_e64 v7, v52, v50, s[4:5]
	v_add_u32_e32 v7, v7, v6
	v_add_u32_e32 v6, -1, v51
	v_add_u32_e32 v49, 1, v51
	v_add_u32_e32 v50, -1, v7
	v_fma_f32 v52, -v6, v51, v9
	v_fma_f32 v54, -v49, v51, v9
	v_cvt_f32_u32_e32 v50, v50
	v_cmp_ge_f32_e64 s[4:5], 0, v52
	v_cndmask_b32_e64 v6, v51, v6, s[4:5]
	v_cmp_lt_f32_e64 s[4:5], 0, v54
	v_cndmask_b32_e64 v6, v6, v49, s[4:5]
	v_mul_f32_e32 v49, 0x37800000, v6
	v_cndmask_b32_e32 v6, v6, v49, vcc
	v_fma_f32 v49, v50, s11, 0
	v_cmp_class_f32_e32 vcc, v9, v5
	v_cndmask_b32_e32 v6, v6, v9, vcc
	v_mul_f32_e32 v9, v49, v49
	v_add_f32_e32 v8, 1.0, v48
	v_cmp_nge_f32_e32 vcc, 1.0, v6
	v_fmac_f32_e32 v9, v53, v53
	v_cndmask_b32_e32 v6, v8, v48, vcc
	v_mul_f32_e32 v8, 0x4f800000, v9
	v_cmp_gt_f32_e32 vcc, s14, v9
	v_cndmask_b32_e32 v8, v9, v8, vcc
	v_sqrt_f32_e32 v9, v8
	s_add_i32 s8, s8, -2
	v_add_f32_e32 v48, 1.0, v6
	s_cmp_lg_u32 s8, 0
	v_add_u32_e32 v49, -1, v9
	v_add_u32_e32 v50, 1, v9
	v_fma_f32 v51, -v49, v9, v8
	v_fma_f32 v52, -v50, v9, v8
	v_cmp_ge_f32_e64 s[4:5], 0, v51
	v_cndmask_b32_e64 v9, v9, v49, s[4:5]
	v_cmp_lt_f32_e64 s[4:5], 0, v52
	v_cndmask_b32_e64 v9, v9, v50, s[4:5]
	v_mul_f32_e32 v49, 0x37800000, v9
	v_cndmask_b32_e32 v9, v9, v49, vcc
	v_cmp_class_f32_e32 vcc, v8, v5
	v_cndmask_b32_e32 v8, v9, v8, vcc
	v_cmp_nge_f32_e32 vcc, 1.0, v8
	v_cndmask_b32_e32 v48, v48, v6, vcc
	s_cbranch_scc1 .LBB29_565
; %bb.566:
	v_add_u32_e32 v6, 0x11b3400, v4
	v_cmp_ne_u32_e32 vcc, 0, v6
	v_mov_b32_e32 v7, 1
	s_and_saveexec_b64 s[8:9], vcc
	s_cbranch_execz .LBB29_572
; %bb.567:
	v_mov_b32_e32 v8, 1
	v_mov_b32_e32 v7, 0
	s_mov_b64 s[14:15], 0xbc8f
	s_mov_b64 s[10:11], 0
	v_mov_b32_e32 v9, 0
	s_brev_b32 s19, -2
	s_mov_b32 s20, 0x7ffffffe
	v_mov_b32_e32 v5, 0xfffff800
	s_movk_i32 s21, 0x401
	s_branch .LBB29_569
.LBB29_568:                             ;   in Loop: Header=BB29_569 Depth=1
	s_or_b64 exec, exec, s[16:17]
	s_mul_i32 s4, s14, s15
	s_mul_hi_u32 s5, s14, s14
	s_add_i32 s5, s5, s4
	s_add_i32 s4, s5, s4
	s_mul_i32 s5, s14, s14
	s_add_u32 s14, 0x402, s21
	s_addc_u32 s15, 0, 0
	v_add_co_u32_e32 v49, vcc, s14, v5
	s_cmp_lg_u64 vcc, 0
	v_readfirstlane_b32 s16, v49
	s_addc_u32 s14, s15, 1
	s_mul_hi_u32 s17, s16, 0x80000001
	s_mul_i32 s15, s14, 0x80000001
	s_sub_i32 s17, s17, s16
	s_add_i32 s17, s17, s15
	s_mul_i32 s23, s16, 0x80000001
	s_mul_hi_u32 s15, s16, s17
	s_mul_i32 s22, s16, s17
	s_mul_hi_u32 s16, s16, s23
	s_add_u32 s16, s16, s22
	s_addc_u32 s15, 0, s15
	s_mul_hi_u32 s24, s14, s23
	s_mul_i32 s23, s14, s23
	s_add_u32 s16, s16, s23
	s_mul_hi_u32 s22, s14, s17
	s_addc_u32 s15, s15, s24
	s_addc_u32 s16, s22, 0
	s_mul_i32 s17, s14, s17
	s_add_u32 s15, s15, s17
	s_addc_u32 s16, 0, s16
	v_add_co_u32_e32 v49, vcc, s15, v49
	s_cmp_lg_u64 vcc, 0
	s_addc_u32 s14, s14, s16
	v_readfirstlane_b32 s17, v49
	s_mul_i32 s16, s5, s14
	s_mul_hi_u32 s22, s5, s17
	s_mul_hi_u32 s15, s5, s14
	s_add_u32 s16, s22, s16
	s_addc_u32 s15, 0, s15
	s_mul_hi_u32 s23, s4, s17
	s_mul_i32 s17, s4, s17
	s_add_u32 s16, s16, s17
	s_mul_hi_u32 s22, s4, s14
	s_addc_u32 s15, s15, s23
	s_addc_u32 s16, s22, 0
	s_mul_i32 s14, s4, s14
	s_add_u32 s14, s15, s14
	s_addc_u32 s15, 0, s16
	s_mul_hi_u32 s16, s14, 0x7fffffff
	s_mul_i32 s14, s14, 0x7fffffff
	s_mul_i32 s15, s15, 0x7fffffff
	v_mov_b32_e32 v49, s14
	s_add_i32 s16, s16, s15
	v_sub_co_u32_e32 v49, vcc, s5, v49
	s_cmp_lg_u64 vcc, 0
	s_subb_u32 s4, s4, s16
	v_subrev_co_u32_e32 v52, vcc, s19, v49
	s_cmp_lg_u64 vcc, 0
	s_subb_u32 s5, s4, 0
	v_subrev_co_u32_e32 v53, vcc, s19, v52
	s_cmp_lg_u64 vcc, 0
	s_subb_u32 s14, s5, 0
	v_readfirstlane_b32 s15, v52
	s_cmp_gt_u32 s15, 0x7ffffffe
	s_cselect_b32 s16, -1, 0
	s_cmp_eq_u32 s5, 0
	s_cselect_b32 s16, s16, -1
	s_cmp_lg_u32 s16, 0
	s_cselect_b32 s5, s14, s5
	v_readfirstlane_b32 s14, v53
	v_readfirstlane_b32 s16, v49
	s_cselect_b32 s14, s14, s15
	s_cmp_gt_u32 s16, 0x7ffffffe
	s_cselect_b32 s15, -1, 0
	s_cmp_eq_u32 s4, 0
	s_cselect_b32 s15, s15, -1
	v_lshrrev_b64 v[50:51], 1, v[6:7]
	s_cmp_lg_u32 s15, 0
	v_cmp_gt_u64_e32 vcc, 2, v[6:7]
	s_cselect_b32 s15, s5, s4
	s_cselect_b32 s14, s14, s16
	s_or_b64 s[10:11], vcc, s[10:11]
	v_pk_mov_b32 v[6:7], v[50:51], v[50:51] op_sel:[0,1]
	s_andn2_b64 exec, exec, s[10:11]
	s_cbranch_execz .LBB29_571
.LBB29_569:                             ; =>This Inner Loop Header: Depth=1
	v_and_b32_e32 v49, 1, v6
	v_cmp_eq_u32_e32 vcc, 1, v49
	s_and_saveexec_b64 s[16:17], vcc
	s_cbranch_execz .LBB29_568
; %bb.570:                              ;   in Loop: Header=BB29_569 Depth=1
	v_mul_lo_u32 v49, s15, v8
	v_mul_lo_u32 v50, s14, v9
	v_mad_u64_u32 v[8:9], s[4:5], s14, v8, 0
	s_add_u32 s4, 0x402, s21
	v_add3_u32 v9, v9, v50, v49
	s_addc_u32 s5, 0, 0
	v_add_co_u32_e32 v49, vcc, s4, v5
	s_cmp_lg_u64 vcc, 0
	v_readfirstlane_b32 s22, v49
	s_addc_u32 s4, s5, 1
	s_mul_hi_u32 s23, s22, 0x80000001
	s_mul_i32 s5, s4, 0x80000001
	s_sub_i32 s23, s23, s22
	s_add_i32 s23, s23, s5
	s_mul_i32 s25, s22, 0x80000001
	s_mul_hi_u32 s5, s22, s23
	s_mul_i32 s24, s22, s23
	s_mul_hi_u32 s22, s22, s25
	s_add_u32 s22, s22, s24
	s_addc_u32 s5, 0, s5
	s_mul_hi_u32 s26, s4, s25
	s_mul_i32 s25, s4, s25
	s_add_u32 s22, s22, s25
	s_mul_hi_u32 s24, s4, s23
	s_addc_u32 s5, s5, s26
	s_addc_u32 s22, s24, 0
	s_mul_i32 s23, s4, s23
	s_add_u32 s5, s5, s23
	s_addc_u32 s22, 0, s22
	v_add_co_u32_e32 v49, vcc, s5, v49
	s_cmp_lg_u64 vcc, 0
	s_addc_u32 s22, s4, s22
	v_mad_u64_u32 v[50:51], s[4:5], v8, s22, 0
	v_mul_hi_u32 v52, v8, v49
	v_add_co_u32_e32 v54, vcc, v52, v50
	v_addc_co_u32_e32 v55, vcc, 0, v51, vcc
	v_mad_u64_u32 v[52:53], s[4:5], v9, v49, 0
	v_add_co_u32_e32 v49, vcc, v54, v52
	v_mad_u64_u32 v[50:51], s[4:5], v9, s22, 0
	v_addc_co_u32_e32 v49, vcc, v55, v53, vcc
	v_addc_co_u32_e32 v51, vcc, 0, v51, vcc
	v_add_co_u32_e32 v49, vcc, v49, v50
	v_addc_co_u32_e32 v53, vcc, 0, v51, vcc
	v_mad_u64_u32 v[50:51], s[4:5], v49, s19, 0
	v_mov_b32_e32 v52, v51
	v_mad_u64_u32 v[52:53], s[4:5], v53, s19, v[52:53]
	v_sub_co_u32_e32 v8, vcc, v8, v50
	v_subb_co_u32_e32 v9, vcc, v9, v52, vcc
	v_subrev_co_u32_e32 v49, vcc, s19, v8
	v_subbrev_co_u32_e32 v50, vcc, 0, v9, vcc
	v_subrev_co_u32_e32 v51, vcc, s19, v49
	v_subbrev_co_u32_e32 v52, vcc, 0, v50, vcc
	v_cmp_lt_u32_e32 vcc, s20, v49
	v_cndmask_b32_e64 v53, 0, -1, vcc
	v_cmp_eq_u32_e32 vcc, 0, v50
	v_cndmask_b32_e32 v53, -1, v53, vcc
	v_cmp_ne_u32_e32 vcc, 0, v53
	v_cmp_lt_u32_e64 s[4:5], s20, v8
	v_cndmask_b32_e32 v50, v50, v52, vcc
	v_cndmask_b32_e64 v52, 0, -1, s[4:5]
	v_cmp_eq_u32_e64 s[4:5], 0, v9
	v_cndmask_b32_e64 v52, -1, v52, s[4:5]
	v_cmp_ne_u32_e64 s[4:5], 0, v52
	v_cndmask_b32_e32 v49, v49, v51, vcc
	v_cndmask_b32_e64 v9, v9, v50, s[4:5]
	v_cndmask_b32_e64 v8, v8, v49, s[4:5]
	s_branch .LBB29_568
.LBB29_571:
	s_or_b64 exec, exec, s[10:11]
	s_movk_i32 s4, 0x401
	s_add_u32 s4, 0x402, s4
	v_mov_b32_e32 v5, 0xfffff800
	s_addc_u32 s5, 0, 0
	v_add_co_u32_e32 v5, vcc, s4, v5
	s_cmp_lg_u64 vcc, 0
	v_readfirstlane_b32 s10, v5
	s_addc_u32 s4, s5, 1
	s_mul_hi_u32 s11, s10, 0x80000001
	s_mul_i32 s5, s4, 0x80000001
	s_sub_i32 s11, s11, s10
	s_add_i32 s11, s11, s5
	s_mul_i32 s15, s10, 0x80000001
	s_mul_hi_u32 s5, s10, s11
	s_mul_i32 s14, s10, s11
	s_mul_hi_u32 s10, s10, s15
	s_add_u32 s10, s10, s14
	s_addc_u32 s5, 0, s5
	s_mul_hi_u32 s16, s4, s15
	s_mul_i32 s15, s4, s15
	s_add_u32 s10, s10, s15
	s_mul_hi_u32 s14, s4, s11
	s_addc_u32 s5, s5, s16
	s_addc_u32 s10, s14, 0
	s_mul_i32 s11, s4, s11
	s_add_u32 s5, s5, s11
	s_addc_u32 s10, 0, s10
	v_add_co_u32_e32 v5, vcc, s5, v5
	s_cmp_lg_u64 vcc, 0
	s_addc_u32 s10, s4, s10
	v_mad_u64_u32 v[6:7], s[4:5], v8, s10, 0
	v_mul_hi_u32 v49, v8, v5
	v_add_co_u32_e32 v49, vcc, v49, v6
	v_addc_co_u32_e32 v52, vcc, 0, v7, vcc
	v_mad_u64_u32 v[50:51], s[4:5], v9, v5, 0
	v_add_co_u32_e32 v5, vcc, v49, v50
	v_mad_u64_u32 v[6:7], s[4:5], v9, s10, 0
	v_addc_co_u32_e32 v5, vcc, v52, v51, vcc
	v_addc_co_u32_e32 v7, vcc, 0, v7, vcc
	v_add_co_u32_e32 v5, vcc, v5, v6
	s_brev_b32 s10, -2
	v_addc_co_u32_e32 v49, vcc, 0, v7, vcc
	v_mad_u64_u32 v[6:7], s[4:5], v5, s10, 0
	v_mov_b32_e32 v50, v7
	v_mad_u64_u32 v[50:51], s[4:5], v49, s10, v[50:51]
	v_sub_co_u32_e32 v5, vcc, v8, v6
	v_subb_co_u32_e32 v6, vcc, v9, v50, vcc
	v_subrev_co_u32_e32 v7, vcc, 0x7fffffff, v5
	v_subbrev_co_u32_e32 v8, vcc, 0, v6, vcc
	s_mov_b32 s4, 0x7ffffffe
	v_cmp_lt_u32_e32 vcc, s4, v7
	v_cndmask_b32_e64 v9, 0, -1, vcc
	v_cmp_eq_u32_e32 vcc, 0, v8
	v_cndmask_b32_e32 v8, -1, v9, vcc
	v_add_u32_e32 v9, 0x80000001, v7
	v_cmp_ne_u32_e32 vcc, 0, v8
	v_cndmask_b32_e32 v7, v7, v9, vcc
	v_cmp_lt_u32_e32 vcc, s4, v5
	v_cndmask_b32_e64 v8, 0, -1, vcc
	v_cmp_eq_u32_e32 vcc, 0, v6
	v_cndmask_b32_e32 v6, -1, v8, vcc
	v_cmp_ne_u32_e32 vcc, 0, v6
	v_cndmask_b32_e32 v7, v5, v7, vcc
.LBB29_572:
	s_or_b64 exec, exec, s[8:9]
	s_movk_i32 s8, 0x1388
	v_mov_b32_e32 v49, 0
	s_mov_b32 s9, 0xbc8f1391
	s_mov_b32 s10, 0xbc8f
	s_brev_b32 s11, 12
	s_mov_b32 s14, 0xf800000
	v_mov_b32_e32 v5, 0x260
.LBB29_573:                             ; =>This Inner Loop Header: Depth=1
	v_mul_hi_u32 v6, v7, s9
	v_lshrrev_b32_e32 v6, 15, v6
	v_mul_u32_u24_e32 v9, 0xadc8, v6
	v_sub_u32_e32 v7, v7, v9
	v_mul_u32_u24_e32 v6, 0xd47, v6
	v_mul_lo_u32 v7, v7, s10
	v_xor_b32_e32 v9, 0x7fffffff, v6
	v_sub_u32_e32 v50, 0, v6
	v_cmp_lt_u32_e32 vcc, v7, v6
	v_cndmask_b32_e32 v6, v50, v9, vcc
	v_add_u32_e32 v6, v6, v7
	v_mul_hi_u32 v9, v6, s9
	v_lshrrev_b32_e32 v9, 15, v9
	v_mul_u32_u24_e32 v50, 0xadc8, v9
	v_add_u32_e32 v7, -1, v6
	v_sub_u32_e32 v6, v6, v50
	v_mul_u32_u24_e32 v9, 0xd47, v9
	v_mul_lo_u32 v6, v6, s10
	v_xor_b32_e32 v50, 0x7fffffff, v9
	v_sub_u32_e32 v51, 0, v9
	v_cmp_lt_u32_e32 vcc, v6, v9
	v_cndmask_b32_e32 v9, v51, v50, vcc
	v_add_u32_e32 v6, v9, v6
	v_mul_hi_u32 v50, v6, s9
	v_add_u32_e32 v9, -1, v6
	v_lshrrev_b32_e32 v50, 15, v50
	v_cvt_f32_u32_e32 v9, v9
	v_mul_u32_u24_e32 v51, 0xadc8, v50
	v_cvt_f32_u32_e32 v7, v7
	v_sub_u32_e32 v6, v6, v51
	v_mul_u32_u24_e32 v50, 0xd47, v50
	v_mul_lo_u32 v6, v6, s10
	v_xor_b32_e32 v51, 0x7fffffff, v50
	v_sub_u32_e32 v52, 0, v50
	v_cmp_lt_u32_e32 vcc, v6, v50
	v_fma_f32 v9, v9, s11, 0
	v_cndmask_b32_e32 v50, v52, v51, vcc
	v_fma_f32 v7, v7, s11, 0
	v_mul_f32_e32 v9, v9, v9
	v_add_u32_e32 v6, v50, v6
	v_fmac_f32_e32 v9, v7, v7
	v_mul_hi_u32 v50, v6, s9
	v_add_u32_e32 v7, -1, v6
	v_mul_f32_e32 v51, 0x4f800000, v9
	v_lshrrev_b32_e32 v50, 15, v50
	v_cmp_gt_f32_e32 vcc, s14, v9
	v_cvt_f32_u32_e32 v7, v7
	v_cndmask_b32_e32 v9, v9, v51, vcc
	v_mul_u32_u24_e32 v51, 0xadc8, v50
	v_sqrt_f32_e32 v52, v9
	v_sub_u32_e32 v6, v6, v51
	v_mul_u32_u24_e32 v50, 0xd47, v50
	v_mul_lo_u32 v6, v6, s10
	v_xor_b32_e32 v51, 0x7fffffff, v50
	v_sub_u32_e32 v53, 0, v50
	v_cmp_lt_u32_e64 s[4:5], v6, v50
	v_fma_f32 v54, v7, s11, 0
	v_cndmask_b32_e64 v7, v53, v51, s[4:5]
	v_add_u32_e32 v7, v7, v6
	v_add_u32_e32 v6, -1, v52
	v_add_u32_e32 v50, 1, v52
	v_add_u32_e32 v51, -1, v7
	v_fma_f32 v53, -v6, v52, v9
	v_fma_f32 v55, -v50, v52, v9
	v_cvt_f32_u32_e32 v51, v51
	v_cmp_ge_f32_e64 s[4:5], 0, v53
	v_cndmask_b32_e64 v6, v52, v6, s[4:5]
	v_cmp_lt_f32_e64 s[4:5], 0, v55
	v_cndmask_b32_e64 v6, v6, v50, s[4:5]
	v_mul_f32_e32 v50, 0x37800000, v6
	v_cndmask_b32_e32 v6, v6, v50, vcc
	v_fma_f32 v50, v51, s11, 0
	v_cmp_class_f32_e32 vcc, v9, v5
	v_cndmask_b32_e32 v6, v6, v9, vcc
	v_mul_f32_e32 v9, v50, v50
	v_add_f32_e32 v8, 1.0, v49
	v_cmp_nge_f32_e32 vcc, 1.0, v6
	v_fmac_f32_e32 v9, v54, v54
	v_cndmask_b32_e32 v6, v8, v49, vcc
	v_mul_f32_e32 v8, 0x4f800000, v9
	v_cmp_gt_f32_e32 vcc, s14, v9
	v_cndmask_b32_e32 v8, v9, v8, vcc
	v_sqrt_f32_e32 v9, v8
	s_add_i32 s8, s8, -2
	v_add_f32_e32 v49, 1.0, v6
	s_cmp_lg_u32 s8, 0
	v_add_u32_e32 v50, -1, v9
	v_add_u32_e32 v51, 1, v9
	v_fma_f32 v52, -v50, v9, v8
	v_fma_f32 v53, -v51, v9, v8
	v_cmp_ge_f32_e64 s[4:5], 0, v52
	v_cndmask_b32_e64 v9, v9, v50, s[4:5]
	v_cmp_lt_f32_e64 s[4:5], 0, v53
	v_cndmask_b32_e64 v9, v9, v51, s[4:5]
	v_mul_f32_e32 v50, 0x37800000, v9
	v_cndmask_b32_e32 v9, v9, v50, vcc
	v_cmp_class_f32_e32 vcc, v8, v5
	v_cndmask_b32_e32 v8, v9, v8, vcc
	v_cmp_nge_f32_e32 vcc, 1.0, v8
	v_cndmask_b32_e32 v49, v49, v6, vcc
	s_cbranch_scc1 .LBB29_573
; %bb.574:
	v_add_u32_e32 v6, 0x124f800, v4
	v_cmp_ne_u32_e32 vcc, 0, v6
	v_mov_b32_e32 v7, 1
	s_and_saveexec_b64 s[8:9], vcc
	s_cbranch_execz .LBB29_580
; %bb.575:
	v_mov_b32_e32 v8, 1
	v_mov_b32_e32 v7, 0
	s_mov_b64 s[14:15], 0xbc8f
	s_mov_b64 s[10:11], 0
	v_mov_b32_e32 v9, 0
	s_brev_b32 s19, -2
	s_mov_b32 s20, 0x7ffffffe
	v_mov_b32_e32 v5, 0xfffff800
	s_movk_i32 s21, 0x401
	s_branch .LBB29_577
.LBB29_576:                             ;   in Loop: Header=BB29_577 Depth=1
	s_or_b64 exec, exec, s[16:17]
	s_mul_i32 s4, s14, s15
	s_mul_hi_u32 s5, s14, s14
	s_add_i32 s5, s5, s4
	s_add_i32 s4, s5, s4
	s_mul_i32 s5, s14, s14
	s_add_u32 s14, 0x402, s21
	s_addc_u32 s15, 0, 0
	v_add_co_u32_e32 v52, vcc, s14, v5
	s_cmp_lg_u64 vcc, 0
	v_readfirstlane_b32 s16, v52
	s_addc_u32 s14, s15, 1
	s_mul_hi_u32 s17, s16, 0x80000001
	s_mul_i32 s15, s14, 0x80000001
	s_sub_i32 s17, s17, s16
	s_add_i32 s17, s17, s15
	s_mul_i32 s23, s16, 0x80000001
	s_mul_hi_u32 s15, s16, s17
	s_mul_i32 s22, s16, s17
	s_mul_hi_u32 s16, s16, s23
	s_add_u32 s16, s16, s22
	s_addc_u32 s15, 0, s15
	s_mul_hi_u32 s24, s14, s23
	s_mul_i32 s23, s14, s23
	s_add_u32 s16, s16, s23
	s_mul_hi_u32 s22, s14, s17
	s_addc_u32 s15, s15, s24
	s_addc_u32 s16, s22, 0
	s_mul_i32 s17, s14, s17
	s_add_u32 s15, s15, s17
	s_addc_u32 s16, 0, s16
	v_add_co_u32_e32 v52, vcc, s15, v52
	s_cmp_lg_u64 vcc, 0
	s_addc_u32 s14, s14, s16
	v_readfirstlane_b32 s17, v52
	s_mul_i32 s16, s5, s14
	s_mul_hi_u32 s22, s5, s17
	s_mul_hi_u32 s15, s5, s14
	s_add_u32 s16, s22, s16
	s_addc_u32 s15, 0, s15
	s_mul_hi_u32 s23, s4, s17
	s_mul_i32 s17, s4, s17
	s_add_u32 s16, s16, s17
	s_mul_hi_u32 s22, s4, s14
	s_addc_u32 s15, s15, s23
	s_addc_u32 s16, s22, 0
	s_mul_i32 s14, s4, s14
	s_add_u32 s14, s15, s14
	s_addc_u32 s15, 0, s16
	s_mul_hi_u32 s16, s14, 0x7fffffff
	s_mul_i32 s14, s14, 0x7fffffff
	s_mul_i32 s15, s15, 0x7fffffff
	v_mov_b32_e32 v52, s14
	s_add_i32 s16, s16, s15
	v_sub_co_u32_e32 v52, vcc, s5, v52
	s_cmp_lg_u64 vcc, 0
	s_subb_u32 s4, s4, s16
	v_subrev_co_u32_e32 v53, vcc, s19, v52
	s_cmp_lg_u64 vcc, 0
	s_subb_u32 s5, s4, 0
	v_subrev_co_u32_e32 v54, vcc, s19, v53
	s_cmp_lg_u64 vcc, 0
	s_subb_u32 s14, s5, 0
	v_readfirstlane_b32 s15, v53
	s_cmp_gt_u32 s15, 0x7ffffffe
	s_cselect_b32 s16, -1, 0
	s_cmp_eq_u32 s5, 0
	s_cselect_b32 s16, s16, -1
	s_cmp_lg_u32 s16, 0
	s_cselect_b32 s5, s14, s5
	v_readfirstlane_b32 s14, v54
	v_readfirstlane_b32 s16, v52
	s_cselect_b32 s14, s14, s15
	s_cmp_gt_u32 s16, 0x7ffffffe
	s_cselect_b32 s15, -1, 0
	s_cmp_eq_u32 s4, 0
	s_cselect_b32 s15, s15, -1
	v_lshrrev_b64 v[50:51], 1, v[6:7]
	s_cmp_lg_u32 s15, 0
	v_cmp_gt_u64_e32 vcc, 2, v[6:7]
	s_cselect_b32 s15, s5, s4
	s_cselect_b32 s14, s14, s16
	s_or_b64 s[10:11], vcc, s[10:11]
	v_pk_mov_b32 v[6:7], v[50:51], v[50:51] op_sel:[0,1]
	s_andn2_b64 exec, exec, s[10:11]
	s_cbranch_execz .LBB29_579
.LBB29_577:                             ; =>This Inner Loop Header: Depth=1
	v_and_b32_e32 v50, 1, v6
	v_cmp_eq_u32_e32 vcc, 1, v50
	s_and_saveexec_b64 s[16:17], vcc
	s_cbranch_execz .LBB29_576
; %bb.578:                              ;   in Loop: Header=BB29_577 Depth=1
	v_mul_lo_u32 v50, s15, v8
	v_mul_lo_u32 v51, s14, v9
	v_mad_u64_u32 v[8:9], s[4:5], s14, v8, 0
	s_add_u32 s4, 0x402, s21
	v_add3_u32 v9, v9, v51, v50
	s_addc_u32 s5, 0, 0
	v_add_co_u32_e32 v50, vcc, s4, v5
	s_cmp_lg_u64 vcc, 0
	v_readfirstlane_b32 s22, v50
	s_addc_u32 s4, s5, 1
	s_mul_hi_u32 s23, s22, 0x80000001
	s_mul_i32 s5, s4, 0x80000001
	s_sub_i32 s23, s23, s22
	s_add_i32 s23, s23, s5
	s_mul_i32 s25, s22, 0x80000001
	s_mul_hi_u32 s5, s22, s23
	s_mul_i32 s24, s22, s23
	s_mul_hi_u32 s22, s22, s25
	s_add_u32 s22, s22, s24
	s_addc_u32 s5, 0, s5
	s_mul_hi_u32 s26, s4, s25
	s_mul_i32 s25, s4, s25
	s_add_u32 s22, s22, s25
	s_mul_hi_u32 s24, s4, s23
	s_addc_u32 s5, s5, s26
	s_addc_u32 s22, s24, 0
	s_mul_i32 s23, s4, s23
	s_add_u32 s5, s5, s23
	s_addc_u32 s22, 0, s22
	v_add_co_u32_e32 v52, vcc, s5, v50
	s_cmp_lg_u64 vcc, 0
	s_addc_u32 s22, s4, s22
	v_mad_u64_u32 v[50:51], s[4:5], v8, s22, 0
	v_mul_hi_u32 v53, v8, v52
	v_add_co_u32_e32 v54, vcc, v53, v50
	v_addc_co_u32_e32 v55, vcc, 0, v51, vcc
	v_mad_u64_u32 v[52:53], s[4:5], v9, v52, 0
	v_add_co_u32_e32 v52, vcc, v54, v52
	v_mad_u64_u32 v[50:51], s[4:5], v9, s22, 0
	v_addc_co_u32_e32 v52, vcc, v55, v53, vcc
	v_addc_co_u32_e32 v51, vcc, 0, v51, vcc
	v_add_co_u32_e32 v50, vcc, v52, v50
	v_addc_co_u32_e32 v53, vcc, 0, v51, vcc
	v_mad_u64_u32 v[50:51], s[4:5], v50, s19, 0
	v_mov_b32_e32 v52, v51
	v_mad_u64_u32 v[52:53], s[4:5], v53, s19, v[52:53]
	v_sub_co_u32_e32 v8, vcc, v8, v50
	v_subb_co_u32_e32 v9, vcc, v9, v52, vcc
	v_subrev_co_u32_e32 v50, vcc, s19, v8
	v_subbrev_co_u32_e32 v51, vcc, 0, v9, vcc
	v_subrev_co_u32_e32 v52, vcc, s19, v50
	v_subbrev_co_u32_e32 v53, vcc, 0, v51, vcc
	v_cmp_lt_u32_e32 vcc, s20, v50
	v_cndmask_b32_e64 v54, 0, -1, vcc
	v_cmp_eq_u32_e32 vcc, 0, v51
	v_cndmask_b32_e32 v54, -1, v54, vcc
	v_cmp_ne_u32_e32 vcc, 0, v54
	v_cmp_lt_u32_e64 s[4:5], s20, v8
	v_cndmask_b32_e32 v51, v51, v53, vcc
	v_cndmask_b32_e64 v53, 0, -1, s[4:5]
	v_cmp_eq_u32_e64 s[4:5], 0, v9
	v_cndmask_b32_e64 v53, -1, v53, s[4:5]
	v_cmp_ne_u32_e64 s[4:5], 0, v53
	v_cndmask_b32_e32 v50, v50, v52, vcc
	v_cndmask_b32_e64 v9, v9, v51, s[4:5]
	v_cndmask_b32_e64 v8, v8, v50, s[4:5]
	s_branch .LBB29_576
.LBB29_579:
	s_or_b64 exec, exec, s[10:11]
	s_movk_i32 s4, 0x401
	s_add_u32 s4, 0x402, s4
	v_mov_b32_e32 v5, 0xfffff800
	s_addc_u32 s5, 0, 0
	v_add_co_u32_e32 v5, vcc, s4, v5
	s_cmp_lg_u64 vcc, 0
	v_readfirstlane_b32 s10, v5
	s_addc_u32 s4, s5, 1
	s_mul_hi_u32 s11, s10, 0x80000001
	s_mul_i32 s5, s4, 0x80000001
	s_sub_i32 s11, s11, s10
	s_add_i32 s11, s11, s5
	s_mul_i32 s15, s10, 0x80000001
	s_mul_hi_u32 s5, s10, s11
	s_mul_i32 s14, s10, s11
	s_mul_hi_u32 s10, s10, s15
	s_add_u32 s10, s10, s14
	s_addc_u32 s5, 0, s5
	s_mul_hi_u32 s16, s4, s15
	s_mul_i32 s15, s4, s15
	s_add_u32 s10, s10, s15
	s_mul_hi_u32 s14, s4, s11
	s_addc_u32 s5, s5, s16
	s_addc_u32 s10, s14, 0
	s_mul_i32 s11, s4, s11
	s_add_u32 s5, s5, s11
	s_addc_u32 s10, 0, s10
	v_add_co_u32_e32 v5, vcc, s5, v5
	s_cmp_lg_u64 vcc, 0
	s_addc_u32 s10, s4, s10
	v_mad_u64_u32 v[6:7], s[4:5], v8, s10, 0
	v_mul_hi_u32 v50, v8, v5
	v_add_co_u32_e32 v52, vcc, v50, v6
	v_addc_co_u32_e32 v53, vcc, 0, v7, vcc
	v_mad_u64_u32 v[50:51], s[4:5], v9, v5, 0
	v_add_co_u32_e32 v5, vcc, v52, v50
	v_mad_u64_u32 v[6:7], s[4:5], v9, s10, 0
	v_addc_co_u32_e32 v5, vcc, v53, v51, vcc
	v_addc_co_u32_e32 v7, vcc, 0, v7, vcc
	v_add_co_u32_e32 v5, vcc, v5, v6
	s_brev_b32 s10, -2
	v_addc_co_u32_e32 v51, vcc, 0, v7, vcc
	v_mad_u64_u32 v[6:7], s[4:5], v5, s10, 0
	v_mov_b32_e32 v50, v7
	v_mad_u64_u32 v[50:51], s[4:5], v51, s10, v[50:51]
	v_sub_co_u32_e32 v5, vcc, v8, v6
	v_subb_co_u32_e32 v6, vcc, v9, v50, vcc
	v_subrev_co_u32_e32 v7, vcc, 0x7fffffff, v5
	v_subbrev_co_u32_e32 v8, vcc, 0, v6, vcc
	s_mov_b32 s4, 0x7ffffffe
	v_cmp_lt_u32_e32 vcc, s4, v7
	v_cndmask_b32_e64 v9, 0, -1, vcc
	v_cmp_eq_u32_e32 vcc, 0, v8
	v_cndmask_b32_e32 v8, -1, v9, vcc
	v_add_u32_e32 v9, 0x80000001, v7
	v_cmp_ne_u32_e32 vcc, 0, v8
	v_cndmask_b32_e32 v7, v7, v9, vcc
	v_cmp_lt_u32_e32 vcc, s4, v5
	v_cndmask_b32_e64 v8, 0, -1, vcc
	v_cmp_eq_u32_e32 vcc, 0, v6
	v_cndmask_b32_e32 v6, -1, v8, vcc
	v_cmp_ne_u32_e32 vcc, 0, v6
	v_cndmask_b32_e32 v7, v5, v7, vcc
.LBB29_580:
	s_or_b64 exec, exec, s[8:9]
	s_movk_i32 s8, 0x1388
	v_mov_b32_e32 v8, 0
	s_mov_b32 s9, 0xbc8f1391
	s_mov_b32 s10, 0xbc8f
	s_brev_b32 s11, 12
	s_mov_b32 s14, 0xf800000
	v_mov_b32_e32 v5, 0x260
.LBB29_581:                             ; =>This Inner Loop Header: Depth=1
	v_mul_hi_u32 v6, v7, s9
	v_lshrrev_b32_e32 v6, 15, v6
	v_mul_u32_u24_e32 v50, 0xadc8, v6
	v_sub_u32_e32 v7, v7, v50
	v_mul_u32_u24_e32 v6, 0xd47, v6
	v_mul_lo_u32 v7, v7, s10
	v_xor_b32_e32 v50, 0x7fffffff, v6
	v_sub_u32_e32 v51, 0, v6
	v_cmp_lt_u32_e32 vcc, v7, v6
	v_cndmask_b32_e32 v6, v51, v50, vcc
	v_add_u32_e32 v6, v6, v7
	v_mul_hi_u32 v50, v6, s9
	v_lshrrev_b32_e32 v50, 15, v50
	v_mul_u32_u24_e32 v51, 0xadc8, v50
	v_add_u32_e32 v7, -1, v6
	v_sub_u32_e32 v6, v6, v51
	v_mul_u32_u24_e32 v50, 0xd47, v50
	v_mul_lo_u32 v6, v6, s10
	v_xor_b32_e32 v51, 0x7fffffff, v50
	v_sub_u32_e32 v52, 0, v50
	v_cmp_lt_u32_e32 vcc, v6, v50
	v_cndmask_b32_e32 v50, v52, v51, vcc
	v_add_u32_e32 v6, v50, v6
	v_mul_hi_u32 v51, v6, s9
	v_add_u32_e32 v50, -1, v6
	v_lshrrev_b32_e32 v51, 15, v51
	v_cvt_f32_u32_e32 v50, v50
	v_mul_u32_u24_e32 v52, 0xadc8, v51
	v_cvt_f32_u32_e32 v7, v7
	v_sub_u32_e32 v6, v6, v52
	v_mul_u32_u24_e32 v51, 0xd47, v51
	v_mul_lo_u32 v6, v6, s10
	v_xor_b32_e32 v52, 0x7fffffff, v51
	v_sub_u32_e32 v53, 0, v51
	v_cmp_lt_u32_e32 vcc, v6, v51
	v_fma_f32 v50, v50, s11, 0
	v_cndmask_b32_e32 v51, v53, v52, vcc
	v_fma_f32 v7, v7, s11, 0
	v_mul_f32_e32 v50, v50, v50
	v_add_u32_e32 v6, v51, v6
	v_fmac_f32_e32 v50, v7, v7
	v_mul_hi_u32 v51, v6, s9
	v_add_u32_e32 v7, -1, v6
	v_mul_f32_e32 v52, 0x4f800000, v50
	v_lshrrev_b32_e32 v51, 15, v51
	v_cmp_gt_f32_e32 vcc, s14, v50
	v_cvt_f32_u32_e32 v7, v7
	v_cndmask_b32_e32 v50, v50, v52, vcc
	v_mul_u32_u24_e32 v52, 0xadc8, v51
	v_sqrt_f32_e32 v53, v50
	v_sub_u32_e32 v6, v6, v52
	v_mul_u32_u24_e32 v51, 0xd47, v51
	v_mul_lo_u32 v6, v6, s10
	v_xor_b32_e32 v52, 0x7fffffff, v51
	v_sub_u32_e32 v54, 0, v51
	v_cmp_lt_u32_e64 s[4:5], v6, v51
	v_fma_f32 v55, v7, s11, 0
	v_cndmask_b32_e64 v7, v54, v52, s[4:5]
	v_add_u32_e32 v7, v7, v6
	v_add_u32_e32 v6, -1, v53
	v_add_u32_e32 v51, 1, v53
	v_add_u32_e32 v52, -1, v7
	v_fma_f32 v54, -v6, v53, v50
	v_fma_f32 v64, -v51, v53, v50
	v_cvt_f32_u32_e32 v52, v52
	v_cmp_ge_f32_e64 s[4:5], 0, v54
	v_cndmask_b32_e64 v6, v53, v6, s[4:5]
	v_cmp_lt_f32_e64 s[4:5], 0, v64
	v_cndmask_b32_e64 v6, v6, v51, s[4:5]
	v_mul_f32_e32 v51, 0x37800000, v6
	v_cndmask_b32_e32 v6, v6, v51, vcc
	v_fma_f32 v51, v52, s11, 0
	v_cmp_class_f32_e32 vcc, v50, v5
	v_cndmask_b32_e32 v6, v6, v50, vcc
	v_mul_f32_e32 v50, v51, v51
	v_add_f32_e32 v9, 1.0, v8
	v_cmp_nge_f32_e32 vcc, 1.0, v6
	v_fmac_f32_e32 v50, v55, v55
	v_cndmask_b32_e32 v6, v9, v8, vcc
	v_mul_f32_e32 v8, 0x4f800000, v50
	v_cmp_gt_f32_e32 vcc, s14, v50
	v_cndmask_b32_e32 v8, v50, v8, vcc
	v_sqrt_f32_e32 v50, v8
	s_add_i32 s8, s8, -2
	v_add_f32_e32 v9, 1.0, v6
	s_cmp_lg_u32 s8, 0
	v_add_u32_e32 v51, -1, v50
	v_add_u32_e32 v52, 1, v50
	v_fma_f32 v53, -v51, v50, v8
	v_fma_f32 v54, -v52, v50, v8
	v_cmp_ge_f32_e64 s[4:5], 0, v53
	v_cndmask_b32_e64 v50, v50, v51, s[4:5]
	v_cmp_lt_f32_e64 s[4:5], 0, v54
	v_cndmask_b32_e64 v50, v50, v52, s[4:5]
	v_mul_f32_e32 v51, 0x37800000, v50
	v_cndmask_b32_e32 v50, v50, v51, vcc
	v_cmp_class_f32_e32 vcc, v8, v5
	v_cndmask_b32_e32 v8, v50, v8, vcc
	v_cmp_nge_f32_e32 vcc, 1.0, v8
	v_cndmask_b32_e32 v8, v9, v6, vcc
	s_cbranch_scc1 .LBB29_581
; %bb.582:
	v_add_u32_e32 v4, 0x12ebc00, v4
	v_cmp_ne_u32_e32 vcc, 0, v4
	v_mov_b32_e32 v6, 1
	s_and_saveexec_b64 s[8:9], vcc
	s_cbranch_execz .LBB29_588
; %bb.583:
	v_mov_b32_e32 v6, 1
	v_mov_b32_e32 v5, 0
	s_mov_b64 s[14:15], 0xbc8f
	s_mov_b64 s[10:11], 0
	v_mov_b32_e32 v7, 0
	s_brev_b32 s19, -2
	s_mov_b32 s20, 0x7ffffffe
	v_mov_b32_e32 v9, 0xfffff800
	s_movk_i32 s21, 0x401
	s_branch .LBB29_585
.LBB29_584:                             ;   in Loop: Header=BB29_585 Depth=1
	s_or_b64 exec, exec, s[16:17]
	s_mul_i32 s4, s14, s15
	s_mul_hi_u32 s5, s14, s14
	s_add_i32 s5, s5, s4
	s_add_i32 s4, s5, s4
	s_mul_i32 s5, s14, s14
	s_add_u32 s14, 0x402, s21
	s_addc_u32 s15, 0, 0
	v_add_co_u32_e32 v52, vcc, s14, v9
	s_cmp_lg_u64 vcc, 0
	v_readfirstlane_b32 s16, v52
	s_addc_u32 s14, s15, 1
	s_mul_hi_u32 s17, s16, 0x80000001
	s_mul_i32 s15, s14, 0x80000001
	s_sub_i32 s17, s17, s16
	s_add_i32 s17, s17, s15
	s_mul_i32 s23, s16, 0x80000001
	s_mul_hi_u32 s15, s16, s17
	s_mul_i32 s22, s16, s17
	s_mul_hi_u32 s16, s16, s23
	s_add_u32 s16, s16, s22
	s_addc_u32 s15, 0, s15
	s_mul_hi_u32 s24, s14, s23
	s_mul_i32 s23, s14, s23
	s_add_u32 s16, s16, s23
	s_mul_hi_u32 s22, s14, s17
	s_addc_u32 s15, s15, s24
	s_addc_u32 s16, s22, 0
	s_mul_i32 s17, s14, s17
	s_add_u32 s15, s15, s17
	s_addc_u32 s16, 0, s16
	v_add_co_u32_e32 v52, vcc, s15, v52
	s_cmp_lg_u64 vcc, 0
	s_addc_u32 s14, s14, s16
	v_readfirstlane_b32 s17, v52
	s_mul_i32 s16, s5, s14
	s_mul_hi_u32 s22, s5, s17
	s_mul_hi_u32 s15, s5, s14
	s_add_u32 s16, s22, s16
	s_addc_u32 s15, 0, s15
	s_mul_hi_u32 s23, s4, s17
	s_mul_i32 s17, s4, s17
	s_add_u32 s16, s16, s17
	s_mul_hi_u32 s22, s4, s14
	s_addc_u32 s15, s15, s23
	s_addc_u32 s16, s22, 0
	s_mul_i32 s14, s4, s14
	s_add_u32 s14, s15, s14
	s_addc_u32 s15, 0, s16
	s_mul_hi_u32 s16, s14, 0x7fffffff
	s_mul_i32 s14, s14, 0x7fffffff
	s_mul_i32 s15, s15, 0x7fffffff
	v_mov_b32_e32 v52, s14
	s_add_i32 s16, s16, s15
	v_sub_co_u32_e32 v52, vcc, s5, v52
	s_cmp_lg_u64 vcc, 0
	s_subb_u32 s4, s4, s16
	v_subrev_co_u32_e32 v53, vcc, s19, v52
	s_cmp_lg_u64 vcc, 0
	s_subb_u32 s5, s4, 0
	v_subrev_co_u32_e32 v54, vcc, s19, v53
	s_cmp_lg_u64 vcc, 0
	s_subb_u32 s14, s5, 0
	v_readfirstlane_b32 s15, v53
	s_cmp_gt_u32 s15, 0x7ffffffe
	s_cselect_b32 s16, -1, 0
	s_cmp_eq_u32 s5, 0
	s_cselect_b32 s16, s16, -1
	s_cmp_lg_u32 s16, 0
	s_cselect_b32 s5, s14, s5
	v_readfirstlane_b32 s14, v54
	v_readfirstlane_b32 s16, v52
	s_cselect_b32 s14, s14, s15
	s_cmp_gt_u32 s16, 0x7ffffffe
	s_cselect_b32 s15, -1, 0
	s_cmp_eq_u32 s4, 0
	s_cselect_b32 s15, s15, -1
	v_lshrrev_b64 v[50:51], 1, v[4:5]
	s_cmp_lg_u32 s15, 0
	v_cmp_gt_u64_e32 vcc, 2, v[4:5]
	s_cselect_b32 s15, s5, s4
	s_cselect_b32 s14, s14, s16
	s_or_b64 s[10:11], vcc, s[10:11]
	v_pk_mov_b32 v[4:5], v[50:51], v[50:51] op_sel:[0,1]
	s_andn2_b64 exec, exec, s[10:11]
	s_cbranch_execz .LBB29_587
.LBB29_585:                             ; =>This Inner Loop Header: Depth=1
	v_and_b32_e32 v50, 1, v4
	v_cmp_eq_u32_e32 vcc, 1, v50
	s_and_saveexec_b64 s[16:17], vcc
	s_cbranch_execz .LBB29_584
; %bb.586:                              ;   in Loop: Header=BB29_585 Depth=1
	v_mul_lo_u32 v50, s15, v6
	v_mul_lo_u32 v51, s14, v7
	v_mad_u64_u32 v[6:7], s[4:5], s14, v6, 0
	s_add_u32 s4, 0x402, s21
	v_add3_u32 v7, v7, v51, v50
	s_addc_u32 s5, 0, 0
	v_add_co_u32_e32 v50, vcc, s4, v9
	s_cmp_lg_u64 vcc, 0
	v_readfirstlane_b32 s22, v50
	s_addc_u32 s4, s5, 1
	s_mul_hi_u32 s23, s22, 0x80000001
	s_mul_i32 s5, s4, 0x80000001
	s_sub_i32 s23, s23, s22
	s_add_i32 s23, s23, s5
	s_mul_i32 s25, s22, 0x80000001
	s_mul_hi_u32 s5, s22, s23
	s_mul_i32 s24, s22, s23
	s_mul_hi_u32 s22, s22, s25
	s_add_u32 s22, s22, s24
	s_addc_u32 s5, 0, s5
	s_mul_hi_u32 s26, s4, s25
	s_mul_i32 s25, s4, s25
	s_add_u32 s22, s22, s25
	s_mul_hi_u32 s24, s4, s23
	s_addc_u32 s5, s5, s26
	s_addc_u32 s22, s24, 0
	s_mul_i32 s23, s4, s23
	s_add_u32 s5, s5, s23
	s_addc_u32 s22, 0, s22
	v_add_co_u32_e32 v52, vcc, s5, v50
	s_cmp_lg_u64 vcc, 0
	s_addc_u32 s22, s4, s22
	v_mad_u64_u32 v[50:51], s[4:5], v6, s22, 0
	v_mul_hi_u32 v53, v6, v52
	v_add_co_u32_e32 v54, vcc, v53, v50
	v_addc_co_u32_e32 v55, vcc, 0, v51, vcc
	v_mad_u64_u32 v[52:53], s[4:5], v7, v52, 0
	v_add_co_u32_e32 v52, vcc, v54, v52
	v_mad_u64_u32 v[50:51], s[4:5], v7, s22, 0
	v_addc_co_u32_e32 v52, vcc, v55, v53, vcc
	v_addc_co_u32_e32 v51, vcc, 0, v51, vcc
	v_add_co_u32_e32 v50, vcc, v52, v50
	v_addc_co_u32_e32 v53, vcc, 0, v51, vcc
	v_mad_u64_u32 v[50:51], s[4:5], v50, s19, 0
	v_mov_b32_e32 v52, v51
	v_mad_u64_u32 v[52:53], s[4:5], v53, s19, v[52:53]
	v_sub_co_u32_e32 v6, vcc, v6, v50
	v_subb_co_u32_e32 v7, vcc, v7, v52, vcc
	v_subrev_co_u32_e32 v50, vcc, s19, v6
	v_subbrev_co_u32_e32 v51, vcc, 0, v7, vcc
	v_subrev_co_u32_e32 v52, vcc, s19, v50
	v_subbrev_co_u32_e32 v53, vcc, 0, v51, vcc
	v_cmp_lt_u32_e32 vcc, s20, v50
	v_cndmask_b32_e64 v54, 0, -1, vcc
	v_cmp_eq_u32_e32 vcc, 0, v51
	v_cndmask_b32_e32 v54, -1, v54, vcc
	v_cmp_ne_u32_e32 vcc, 0, v54
	v_cmp_lt_u32_e64 s[4:5], s20, v6
	v_cndmask_b32_e32 v51, v51, v53, vcc
	v_cndmask_b32_e64 v53, 0, -1, s[4:5]
	v_cmp_eq_u32_e64 s[4:5], 0, v7
	v_cndmask_b32_e64 v53, -1, v53, s[4:5]
	v_cmp_ne_u32_e64 s[4:5], 0, v53
	v_cndmask_b32_e32 v50, v50, v52, vcc
	v_cndmask_b32_e64 v7, v7, v51, s[4:5]
	v_cndmask_b32_e64 v6, v6, v50, s[4:5]
	s_branch .LBB29_584
.LBB29_587:
	s_or_b64 exec, exec, s[10:11]
	s_movk_i32 s4, 0x401
	s_add_u32 s4, 0x402, s4
	v_mov_b32_e32 v4, 0xfffff800
	s_addc_u32 s5, 0, 0
	v_add_co_u32_e32 v4, vcc, s4, v4
	s_cmp_lg_u64 vcc, 0
	v_readfirstlane_b32 s10, v4
	s_addc_u32 s4, s5, 1
	s_mul_hi_u32 s11, s10, 0x80000001
	s_mul_i32 s5, s4, 0x80000001
	s_sub_i32 s11, s11, s10
	s_add_i32 s11, s11, s5
	s_mul_i32 s15, s10, 0x80000001
	s_mul_hi_u32 s5, s10, s11
	s_mul_i32 s14, s10, s11
	s_mul_hi_u32 s10, s10, s15
	s_add_u32 s10, s10, s14
	s_addc_u32 s5, 0, s5
	s_mul_hi_u32 s16, s4, s15
	s_mul_i32 s15, s4, s15
	s_add_u32 s10, s10, s15
	s_mul_hi_u32 s14, s4, s11
	s_addc_u32 s5, s5, s16
	s_addc_u32 s10, s14, 0
	s_mul_i32 s11, s4, s11
	s_add_u32 s5, s5, s11
	s_addc_u32 s10, 0, s10
	v_add_co_u32_e32 v9, vcc, s5, v4
	s_cmp_lg_u64 vcc, 0
	s_addc_u32 s10, s4, s10
	v_mad_u64_u32 v[4:5], s[4:5], v6, s10, 0
	v_mul_hi_u32 v50, v6, v9
	v_add_co_u32_e32 v52, vcc, v50, v4
	v_addc_co_u32_e32 v53, vcc, 0, v5, vcc
	v_mad_u64_u32 v[50:51], s[4:5], v7, v9, 0
	v_add_co_u32_e32 v9, vcc, v52, v50
	v_mad_u64_u32 v[4:5], s[4:5], v7, s10, 0
	v_addc_co_u32_e32 v9, vcc, v53, v51, vcc
	v_addc_co_u32_e32 v5, vcc, 0, v5, vcc
	v_add_co_u32_e32 v4, vcc, v9, v4
	s_brev_b32 s10, -2
	v_addc_co_u32_e32 v9, vcc, 0, v5, vcc
	v_mad_u64_u32 v[4:5], s[4:5], v4, s10, 0
	v_mov_b32_e32 v50, v5
	v_mad_u64_u32 v[50:51], s[4:5], v9, s10, v[50:51]
	v_sub_co_u32_e32 v4, vcc, v6, v4
	v_subb_co_u32_e32 v5, vcc, v7, v50, vcc
	v_subrev_co_u32_e32 v6, vcc, 0x7fffffff, v4
	v_subbrev_co_u32_e32 v7, vcc, 0, v5, vcc
	s_mov_b32 s4, 0x7ffffffe
	v_cmp_lt_u32_e32 vcc, s4, v6
	v_cndmask_b32_e64 v9, 0, -1, vcc
	v_cmp_eq_u32_e32 vcc, 0, v7
	v_cndmask_b32_e32 v7, -1, v9, vcc
	v_add_u32_e32 v9, 0x80000001, v6
	v_cmp_ne_u32_e32 vcc, 0, v7
	v_cndmask_b32_e32 v6, v6, v9, vcc
	v_cmp_lt_u32_e32 vcc, s4, v4
	v_cndmask_b32_e64 v7, 0, -1, vcc
	v_cmp_eq_u32_e32 vcc, 0, v5
	v_cndmask_b32_e32 v5, -1, v7, vcc
	v_cmp_ne_u32_e32 vcc, 0, v5
	v_cndmask_b32_e32 v6, v4, v6, vcc
.LBB29_588:
	s_or_b64 exec, exec, s[8:9]
	s_movk_i32 s8, 0x1388
	v_mov_b32_e32 v4, 0
	s_mov_b32 s9, 0xbc8f1391
	s_mov_b32 s10, 0xbc8f
	s_brev_b32 s11, 12
	s_mov_b32 s14, 0xf800000
	v_mov_b32_e32 v5, 0x260
.LBB29_589:                             ; =>This Inner Loop Header: Depth=1
	v_mul_hi_u32 v7, v6, s9
	v_lshrrev_b32_e32 v7, 15, v7
	v_mul_u32_u24_e32 v50, 0xadc8, v7
	v_sub_u32_e32 v6, v6, v50
	v_mul_u32_u24_e32 v7, 0xd47, v7
	v_mul_lo_u32 v6, v6, s10
	v_xor_b32_e32 v50, 0x7fffffff, v7
	v_sub_u32_e32 v51, 0, v7
	v_cmp_lt_u32_e32 vcc, v6, v7
	v_cndmask_b32_e32 v7, v51, v50, vcc
	v_add_u32_e32 v6, v7, v6
	v_mul_hi_u32 v50, v6, s9
	v_lshrrev_b32_e32 v50, 15, v50
	v_mul_u32_u24_e32 v51, 0xadc8, v50
	v_add_u32_e32 v7, -1, v6
	v_sub_u32_e32 v6, v6, v51
	v_mul_u32_u24_e32 v50, 0xd47, v50
	v_mul_lo_u32 v6, v6, s10
	v_xor_b32_e32 v51, 0x7fffffff, v50
	v_sub_u32_e32 v52, 0, v50
	v_cmp_lt_u32_e32 vcc, v6, v50
	v_cndmask_b32_e32 v50, v52, v51, vcc
	v_add_u32_e32 v6, v50, v6
	v_mul_hi_u32 v51, v6, s9
	v_add_u32_e32 v50, -1, v6
	v_lshrrev_b32_e32 v51, 15, v51
	v_cvt_f32_u32_e32 v50, v50
	v_mul_u32_u24_e32 v52, 0xadc8, v51
	v_cvt_f32_u32_e32 v7, v7
	v_sub_u32_e32 v6, v6, v52
	v_mul_u32_u24_e32 v51, 0xd47, v51
	v_mul_lo_u32 v6, v6, s10
	v_xor_b32_e32 v52, 0x7fffffff, v51
	v_sub_u32_e32 v53, 0, v51
	v_cmp_lt_u32_e32 vcc, v6, v51
	v_fma_f32 v50, v50, s11, 0
	v_cndmask_b32_e32 v51, v53, v52, vcc
	v_fma_f32 v7, v7, s11, 0
	v_mul_f32_e32 v50, v50, v50
	v_add_u32_e32 v6, v51, v6
	v_fmac_f32_e32 v50, v7, v7
	v_mul_hi_u32 v51, v6, s9
	v_mul_f32_e32 v52, 0x4f800000, v50
	v_lshrrev_b32_e32 v51, 15, v51
	v_cmp_gt_f32_e32 vcc, s14, v50
	v_cndmask_b32_e32 v50, v50, v52, vcc
	v_mul_u32_u24_e32 v52, 0xadc8, v51
	v_add_u32_e32 v7, -1, v6
	v_sqrt_f32_e32 v53, v50
	v_sub_u32_e32 v6, v6, v52
	v_mul_u32_u24_e32 v51, 0xd47, v51
	v_mul_lo_u32 v6, v6, s10
	v_xor_b32_e32 v52, 0x7fffffff, v51
	v_sub_u32_e32 v54, 0, v51
	v_cmp_lt_u32_e64 s[4:5], v6, v51
	v_cndmask_b32_e64 v51, v54, v52, s[4:5]
	v_add_u32_e32 v6, v51, v6
	v_add_u32_e32 v51, -1, v53
	v_add_u32_e32 v52, 1, v53
	v_add_u32_e32 v54, -1, v6
	v_fma_f32 v55, -v51, v53, v50
	v_fma_f32 v64, -v52, v53, v50
	v_cvt_f32_u32_e32 v54, v54
	v_cmp_ge_f32_e64 s[4:5], 0, v55
	v_cvt_f32_u32_e32 v7, v7
	v_cndmask_b32_e64 v51, v53, v51, s[4:5]
	v_cmp_lt_f32_e64 s[4:5], 0, v64
	v_cndmask_b32_e64 v51, v51, v52, s[4:5]
	v_mul_f32_e32 v52, 0x37800000, v51
	v_cndmask_b32_e32 v51, v51, v52, vcc
	v_fma_f32 v52, v54, s11, 0
	v_cmp_class_f32_e32 vcc, v50, v5
	v_fma_f32 v7, v7, s11, 0
	v_cndmask_b32_e32 v50, v51, v50, vcc
	v_mul_f32_e32 v51, v52, v52
	v_add_f32_e32 v9, 1.0, v4
	v_cmp_nge_f32_e32 vcc, 1.0, v50
	v_fmac_f32_e32 v51, v7, v7
	v_cndmask_b32_e32 v4, v9, v4, vcc
	v_mul_f32_e32 v7, 0x4f800000, v51
	v_cmp_gt_f32_e32 vcc, s14, v51
	v_cndmask_b32_e32 v7, v51, v7, vcc
	v_sqrt_f32_e32 v50, v7
	s_add_i32 s8, s8, -2
	v_add_f32_e32 v9, 1.0, v4
	s_cmp_lg_u32 s8, 0
	v_add_u32_e32 v51, -1, v50
	v_add_u32_e32 v52, 1, v50
	v_fma_f32 v53, -v51, v50, v7
	v_fma_f32 v54, -v52, v50, v7
	v_cmp_ge_f32_e64 s[4:5], 0, v53
	v_cndmask_b32_e64 v50, v50, v51, s[4:5]
	v_cmp_lt_f32_e64 s[4:5], 0, v54
	v_cndmask_b32_e64 v50, v50, v52, s[4:5]
	v_mul_f32_e32 v51, 0x37800000, v50
	v_cndmask_b32_e32 v50, v50, v51, vcc
	v_cmp_class_f32_e32 vcc, v7, v5
	v_cndmask_b32_e32 v7, v50, v7, vcc
	v_cmp_nge_f32_e32 vcc, 1.0, v7
	v_cndmask_b32_e32 v4, v9, v4, vcc
	s_cbranch_scc1 .LBB29_589
; %bb.590:
	v_mul_f32_e32 v5, 4.0, v8
	s_mov_b32 s4, 0x459c4000
	v_div_scale_f32 v6, s[8:9], s4, s4, v5
	v_rcp_f32_e32 v7, v6
	v_mul_f32_e32 v39, 4.0, v39
	v_mul_f32_e32 v38, 4.0, v38
	v_mul_f32_e32 v37, 4.0, v37
	v_fma_f32 v8, -v6, v7, 1.0
	v_fmac_f32_e32 v7, v8, v7
	v_div_scale_f32 v8, vcc, v5, s4, v5
	v_mul_f32_e32 v9, v8, v7
	v_fma_f32 v50, -v6, v9, v8
	v_fmac_f32_e32 v9, v50, v7
	v_fma_f32 v6, -v6, v9, v8
	v_mul_f32_e32 v8, 4.0, v49
	v_div_scale_f32 v49, s[8:9], s4, s4, v8
	v_rcp_f32_e32 v50, v49
	v_div_fmas_f32 v6, v6, v7, v9
	v_div_fixup_f32 v5, v6, s4, v5
	v_mul_f32_e32 v36, 4.0, v36
	v_fma_f32 v6, -v49, v50, 1.0
	v_fmac_f32_e32 v50, v6, v50
	v_div_scale_f32 v6, vcc, v8, s4, v8
	v_mul_f32_e32 v7, v6, v50
	v_fma_f32 v9, -v49, v7, v6
	v_fmac_f32_e32 v7, v9, v50
	v_mul_f32_e32 v9, 4.0, v48
	v_div_scale_f32 v48, s[8:9], s4, s4, v9
	v_fma_f32 v6, -v49, v7, v6
	v_rcp_f32_e32 v49, v48
	v_div_fmas_f32 v6, v6, v50, v7
	v_div_fixup_f32 v6, v6, s4, v8
	v_mul_f32_e32 v35, 4.0, v35
	v_fma_f32 v7, -v48, v49, 1.0
	v_fmac_f32_e32 v49, v7, v49
	v_div_scale_f32 v7, vcc, v9, s4, v9
	v_mul_f32_e32 v8, v7, v49
	v_fma_f32 v50, -v48, v8, v7
	v_fmac_f32_e32 v8, v50, v49
	v_fma_f32 v7, -v48, v8, v7
	v_div_scale_f32 v48, s[8:9], s4, s4, v39
	v_rcp_f32_e32 v50, v48
	v_div_fmas_f32 v7, v7, v49, v8
	v_div_fixup_f32 v7, v7, s4, v9
	v_mul_f32_e32 v34, 4.0, v34
	v_fma_f32 v8, -v48, v50, 1.0
	v_fmac_f32_e32 v50, v8, v50
	v_div_scale_f32 v8, vcc, v39, s4, v39
	v_mul_f32_e32 v9, v8, v50
	v_fma_f32 v49, -v48, v9, v8
	v_fmac_f32_e32 v9, v49, v50
	v_fma_f32 v8, -v48, v9, v8
	v_div_scale_f32 v48, s[8:9], s4, s4, v38
	v_rcp_f32_e32 v49, v48
	v_div_fmas_f32 v8, v8, v50, v9
	v_div_fixup_f32 v8, v8, s4, v39
	v_mul_f32_e32 v33, 4.0, v33
	v_fma_f32 v9, -v48, v49, 1.0
	v_fmac_f32_e32 v49, v9, v49
	v_div_scale_f32 v9, vcc, v38, s4, v38
	v_mul_f32_e32 v39, v9, v49
	v_fma_f32 v50, -v48, v39, v9
	v_fmac_f32_e32 v39, v50, v49
	v_fma_f32 v9, -v48, v39, v9
	v_div_scale_f32 v48, s[8:9], s4, s4, v37
	v_rcp_f32_e32 v50, v48
	v_div_fmas_f32 v9, v9, v49, v39
	v_div_fixup_f32 v9, v9, s4, v38
	v_mul_f32_e32 v32, 4.0, v32
	v_fma_f32 v38, -v48, v50, 1.0
	v_fmac_f32_e32 v50, v38, v50
	v_div_scale_f32 v38, vcc, v37, s4, v37
	v_mul_f32_e32 v39, v38, v50
	v_fma_f32 v49, -v48, v39, v38
	v_fmac_f32_e32 v39, v49, v50
	v_fma_f32 v38, -v48, v39, v38
	v_div_scale_f32 v48, s[8:9], s4, s4, v36
	v_rcp_f32_e32 v49, v48
	v_div_fmas_f32 v38, v38, v50, v39
	v_div_fixup_f32 v37, v38, s4, v37
	v_mul_f32_e32 v31, 4.0, v31
	v_fma_f32 v38, -v48, v49, 1.0
	v_fmac_f32_e32 v49, v38, v49
	v_div_scale_f32 v38, vcc, v36, s4, v36
	v_mul_f32_e32 v39, v38, v49
	v_fma_f32 v50, -v48, v39, v38
	v_fmac_f32_e32 v39, v50, v49
	v_fma_f32 v38, -v48, v39, v38
	v_div_scale_f32 v48, s[8:9], s4, s4, v35
	v_rcp_f32_e32 v50, v48
	v_div_fmas_f32 v38, v38, v49, v39
	v_div_fixup_f32 v36, v38, s4, v36
	v_mul_f32_e32 v30, 4.0, v30
	v_fma_f32 v38, -v48, v50, 1.0
	v_fmac_f32_e32 v50, v38, v50
	v_div_scale_f32 v38, vcc, v35, s4, v35
	v_mul_f32_e32 v39, v38, v50
	v_fma_f32 v49, -v48, v39, v38
	v_fmac_f32_e32 v39, v49, v50
	v_fma_f32 v38, -v48, v39, v38
	v_div_scale_f32 v48, s[8:9], s4, s4, v34
	v_rcp_f32_e32 v49, v48
	v_div_fmas_f32 v38, v38, v50, v39
	v_div_fixup_f32 v35, v38, s4, v35
	v_mul_f32_e32 v29, 4.0, v29
	v_fma_f32 v38, -v48, v49, 1.0
	v_fmac_f32_e32 v49, v38, v49
	v_div_scale_f32 v38, vcc, v34, s4, v34
	v_mul_f32_e32 v39, v38, v49
	v_fma_f32 v50, -v48, v39, v38
	v_fmac_f32_e32 v39, v50, v49
	v_fma_f32 v38, -v48, v39, v38
	v_div_scale_f32 v48, s[8:9], s4, s4, v33
	v_rcp_f32_e32 v50, v48
	v_div_fmas_f32 v38, v38, v49, v39
	v_div_fixup_f32 v34, v38, s4, v34
	v_mul_f32_e32 v28, 4.0, v28
	v_fma_f32 v38, -v48, v50, 1.0
	v_fmac_f32_e32 v50, v38, v50
	v_div_scale_f32 v38, vcc, v33, s4, v33
	v_mul_f32_e32 v39, v38, v50
	v_fma_f32 v49, -v48, v39, v38
	v_fmac_f32_e32 v39, v49, v50
	v_fma_f32 v38, -v48, v39, v38
	v_div_scale_f32 v48, s[8:9], s4, s4, v32
	v_rcp_f32_e32 v49, v48
	v_div_fmas_f32 v38, v38, v50, v39
	v_div_fixup_f32 v33, v38, s4, v33
	v_mul_f32_e32 v27, 4.0, v27
	v_fma_f32 v38, -v48, v49, 1.0
	v_fmac_f32_e32 v49, v38, v49
	v_div_scale_f32 v38, vcc, v32, s4, v32
	v_mul_f32_e32 v39, v38, v49
	v_fma_f32 v50, -v48, v39, v38
	v_fmac_f32_e32 v39, v50, v49
	v_fma_f32 v38, -v48, v39, v38
	v_div_scale_f32 v48, s[8:9], s4, s4, v31
	v_rcp_f32_e32 v50, v48
	v_div_fmas_f32 v38, v38, v49, v39
	v_div_fixup_f32 v32, v38, s4, v32
	v_mul_f32_e32 v26, 4.0, v26
	v_fma_f32 v38, -v48, v50, 1.0
	v_fmac_f32_e32 v50, v38, v50
	v_div_scale_f32 v38, vcc, v31, s4, v31
	v_mul_f32_e32 v39, v38, v50
	v_fma_f32 v49, -v48, v39, v38
	v_fmac_f32_e32 v39, v49, v50
	v_fma_f32 v38, -v48, v39, v38
	v_div_scale_f32 v48, s[8:9], s4, s4, v30
	v_rcp_f32_e32 v49, v48
	v_div_fmas_f32 v38, v38, v50, v39
	v_div_fixup_f32 v31, v38, s4, v31
	v_mul_f32_e32 v25, 4.0, v25
	v_fma_f32 v38, -v48, v49, 1.0
	v_fmac_f32_e32 v49, v38, v49
	v_div_scale_f32 v38, vcc, v30, s4, v30
	v_mul_f32_e32 v39, v38, v49
	v_fma_f32 v50, -v48, v39, v38
	v_fmac_f32_e32 v39, v50, v49
	v_fma_f32 v38, -v48, v39, v38
	v_div_scale_f32 v48, s[8:9], s4, s4, v29
	v_rcp_f32_e32 v50, v48
	v_div_fmas_f32 v38, v38, v49, v39
	v_div_fixup_f32 v30, v38, s4, v30
	v_mul_f32_e32 v24, 4.0, v24
	v_fma_f32 v38, -v48, v50, 1.0
	v_fmac_f32_e32 v50, v38, v50
	v_div_scale_f32 v38, vcc, v29, s4, v29
	v_mul_f32_e32 v39, v38, v50
	v_fma_f32 v49, -v48, v39, v38
	v_fmac_f32_e32 v39, v49, v50
	v_fma_f32 v38, -v48, v39, v38
	v_div_scale_f32 v48, s[8:9], s4, s4, v28
	v_rcp_f32_e32 v49, v48
	v_div_fmas_f32 v38, v38, v50, v39
	v_div_fixup_f32 v29, v38, s4, v29
	v_mul_f32_e32 v23, 4.0, v23
	v_fma_f32 v38, -v48, v49, 1.0
	v_fmac_f32_e32 v49, v38, v49
	v_div_scale_f32 v38, vcc, v28, s4, v28
	v_mul_f32_e32 v39, v38, v49
	v_fma_f32 v50, -v48, v39, v38
	v_fmac_f32_e32 v39, v50, v49
	v_fma_f32 v38, -v48, v39, v38
	v_div_scale_f32 v48, s[8:9], s4, s4, v27
	v_rcp_f32_e32 v50, v48
	v_div_fmas_f32 v38, v38, v49, v39
	v_div_fixup_f32 v28, v38, s4, v28
	v_mul_f32_e32 v22, 4.0, v22
	v_fma_f32 v38, -v48, v50, 1.0
	v_fmac_f32_e32 v50, v38, v50
	v_div_scale_f32 v38, vcc, v27, s4, v27
	v_mul_f32_e32 v39, v38, v50
	v_fma_f32 v49, -v48, v39, v38
	v_fmac_f32_e32 v39, v49, v50
	v_fma_f32 v38, -v48, v39, v38
	v_div_scale_f32 v48, s[8:9], s4, s4, v26
	v_rcp_f32_e32 v49, v48
	v_div_fmas_f32 v38, v38, v50, v39
	v_div_fixup_f32 v27, v38, s4, v27
	v_mul_f32_e32 v21, 4.0, v21
	v_fma_f32 v38, -v48, v49, 1.0
	v_fmac_f32_e32 v49, v38, v49
	v_div_scale_f32 v38, vcc, v26, s4, v26
	v_mul_f32_e32 v39, v38, v49
	v_fma_f32 v50, -v48, v39, v38
	v_fmac_f32_e32 v39, v50, v49
	v_fma_f32 v38, -v48, v39, v38
	v_div_scale_f32 v48, s[8:9], s4, s4, v25
	v_rcp_f32_e32 v50, v48
	v_div_fmas_f32 v38, v38, v49, v39
	v_div_fixup_f32 v26, v38, s4, v26
	v_mul_f32_e32 v20, 4.0, v20
	v_fma_f32 v38, -v48, v50, 1.0
	v_fmac_f32_e32 v50, v38, v50
	v_div_scale_f32 v38, vcc, v25, s4, v25
	v_mul_f32_e32 v39, v38, v50
	v_fma_f32 v49, -v48, v39, v38
	v_fmac_f32_e32 v39, v49, v50
	v_fma_f32 v38, -v48, v39, v38
	v_div_scale_f32 v48, s[8:9], s4, s4, v24
	v_rcp_f32_e32 v49, v48
	v_div_fmas_f32 v38, v38, v50, v39
	v_div_fixup_f32 v25, v38, s4, v25
	v_mul_f32_e32 v19, 4.0, v19
	v_fma_f32 v38, -v48, v49, 1.0
	v_fmac_f32_e32 v49, v38, v49
	v_div_scale_f32 v38, vcc, v24, s4, v24
	v_mul_f32_e32 v39, v38, v49
	v_fma_f32 v50, -v48, v39, v38
	v_fmac_f32_e32 v39, v50, v49
	v_fma_f32 v38, -v48, v39, v38
	v_div_scale_f32 v48, s[8:9], s4, s4, v23
	v_rcp_f32_e32 v50, v48
	v_div_fmas_f32 v38, v38, v49, v39
	v_div_fixup_f32 v24, v38, s4, v24
	v_mul_f32_e32 v18, 4.0, v18
	v_fma_f32 v38, -v48, v50, 1.0
	v_fmac_f32_e32 v50, v38, v50
	v_div_scale_f32 v38, vcc, v23, s4, v23
	v_mul_f32_e32 v39, v38, v50
	v_fma_f32 v49, -v48, v39, v38
	v_fmac_f32_e32 v39, v49, v50
	v_fma_f32 v38, -v48, v39, v38
	v_div_scale_f32 v48, s[8:9], s4, s4, v22
	v_rcp_f32_e32 v49, v48
	v_div_fmas_f32 v38, v38, v50, v39
	v_div_fixup_f32 v23, v38, s4, v23
	v_mul_f32_e32 v17, 4.0, v17
	v_fma_f32 v38, -v48, v49, 1.0
	v_fmac_f32_e32 v49, v38, v49
	v_div_scale_f32 v38, vcc, v22, s4, v22
	v_mul_f32_e32 v39, v38, v49
	v_fma_f32 v50, -v48, v39, v38
	v_fmac_f32_e32 v39, v50, v49
	v_fma_f32 v38, -v48, v39, v38
	v_div_scale_f32 v48, s[8:9], s4, s4, v21
	v_rcp_f32_e32 v50, v48
	v_div_fmas_f32 v38, v38, v49, v39
	v_div_fixup_f32 v22, v38, s4, v22
	v_mul_f32_e32 v16, 4.0, v16
	v_fma_f32 v38, -v48, v50, 1.0
	v_fmac_f32_e32 v50, v38, v50
	v_div_scale_f32 v38, vcc, v21, s4, v21
	v_mul_f32_e32 v39, v38, v50
	v_fma_f32 v49, -v48, v39, v38
	v_fmac_f32_e32 v39, v49, v50
	v_fma_f32 v38, -v48, v39, v38
	v_div_scale_f32 v48, s[8:9], s4, s4, v20
	v_rcp_f32_e32 v49, v48
	v_div_fmas_f32 v38, v38, v50, v39
	v_div_fixup_f32 v21, v38, s4, v21
	v_mul_f32_e32 v15, 4.0, v15
	v_fma_f32 v38, -v48, v49, 1.0
	v_fmac_f32_e32 v49, v38, v49
	v_div_scale_f32 v38, vcc, v20, s4, v20
	v_mul_f32_e32 v39, v38, v49
	v_fma_f32 v50, -v48, v39, v38
	v_fmac_f32_e32 v39, v50, v49
	v_fma_f32 v38, -v48, v39, v38
	v_div_scale_f32 v48, s[8:9], s4, s4, v19
	v_rcp_f32_e32 v50, v48
	v_div_fmas_f32 v38, v38, v49, v39
	v_div_fixup_f32 v20, v38, s4, v20
	v_mul_f32_e32 v14, 4.0, v14
	v_fma_f32 v38, -v48, v50, 1.0
	v_fmac_f32_e32 v50, v38, v50
	v_div_scale_f32 v38, vcc, v19, s4, v19
	v_mul_f32_e32 v39, v38, v50
	v_fma_f32 v49, -v48, v39, v38
	v_fmac_f32_e32 v39, v49, v50
	v_fma_f32 v38, -v48, v39, v38
	v_div_scale_f32 v48, s[8:9], s4, s4, v18
	v_rcp_f32_e32 v49, v48
	v_div_fmas_f32 v38, v38, v50, v39
	v_div_fixup_f32 v19, v38, s4, v19
	v_mul_f32_e32 v13, 4.0, v13
	v_fma_f32 v38, -v48, v49, 1.0
	v_fmac_f32_e32 v49, v38, v49
	v_div_scale_f32 v38, vcc, v18, s4, v18
	v_mul_f32_e32 v39, v38, v49
	v_fma_f32 v50, -v48, v39, v38
	v_fmac_f32_e32 v39, v50, v49
	v_fma_f32 v38, -v48, v39, v38
	v_div_scale_f32 v48, s[8:9], s4, s4, v17
	v_rcp_f32_e32 v50, v48
	v_div_fmas_f32 v38, v38, v49, v39
	v_div_fixup_f32 v18, v38, s4, v18
	v_mul_f32_e32 v12, 4.0, v12
	v_fma_f32 v38, -v48, v50, 1.0
	v_fmac_f32_e32 v50, v38, v50
	v_div_scale_f32 v38, vcc, v17, s4, v17
	v_mul_f32_e32 v39, v38, v50
	v_fma_f32 v49, -v48, v39, v38
	v_fmac_f32_e32 v39, v49, v50
	v_fma_f32 v38, -v48, v39, v38
	v_div_scale_f32 v48, s[8:9], s4, s4, v16
	v_rcp_f32_e32 v49, v48
	v_div_fmas_f32 v38, v38, v50, v39
	v_div_fixup_f32 v17, v38, s4, v17
	v_mul_f32_e32 v4, 4.0, v4
	v_fma_f32 v38, -v48, v49, 1.0
	v_fmac_f32_e32 v49, v38, v49
	v_div_scale_f32 v38, vcc, v16, s4, v16
	v_mul_f32_e32 v39, v38, v49
	v_fma_f32 v50, -v48, v39, v38
	v_fmac_f32_e32 v39, v50, v49
	v_fma_f32 v38, -v48, v39, v38
	v_div_scale_f32 v48, s[8:9], s4, s4, v15
	v_rcp_f32_e32 v50, v48
	v_div_fmas_f32 v38, v38, v49, v39
	v_div_fixup_f32 v16, v38, s4, v16
	v_fma_f32 v38, -v48, v50, 1.0
	v_fmac_f32_e32 v50, v38, v50
	v_div_scale_f32 v38, vcc, v15, s4, v15
	v_mul_f32_e32 v39, v38, v50
	v_fma_f32 v49, -v48, v39, v38
	v_fmac_f32_e32 v39, v49, v50
	v_fma_f32 v38, -v48, v39, v38
	v_div_scale_f32 v48, s[8:9], s4, s4, v14
	v_rcp_f32_e32 v49, v48
	v_div_fmas_f32 v38, v38, v50, v39
	v_div_fixup_f32 v15, v38, s4, v15
	v_fma_f32 v38, -v48, v49, 1.0
	v_fmac_f32_e32 v49, v38, v49
	v_div_scale_f32 v38, vcc, v14, s4, v14
	v_mul_f32_e32 v39, v38, v49
	v_fma_f32 v50, -v48, v39, v38
	v_fmac_f32_e32 v39, v50, v49
	v_fma_f32 v38, -v48, v39, v38
	v_div_scale_f32 v48, s[8:9], s4, s4, v13
	;; [unrolled: 11-line block ×3, first 2 shown]
	v_rcp_f32_e32 v49, v48
	v_div_fmas_f32 v38, v38, v50, v39
	v_div_fixup_f32 v13, v38, s4, v13
	v_fma_f32 v38, -v48, v49, 1.0
	v_fmac_f32_e32 v49, v38, v49
	v_div_scale_f32 v38, vcc, v12, s4, v12
	v_mul_f32_e32 v39, v38, v49
	v_fma_f32 v50, -v48, v39, v38
	v_fmac_f32_e32 v39, v50, v49
	v_fma_f32 v38, -v48, v39, v38
	v_div_fmas_f32 v38, v38, v49, v39
	v_div_fixup_f32 v12, v38, s4, v12
	v_add_f32_e32 v12, v12, v13
	v_add_f32_e32 v12, v12, v14
	;; [unrolled: 1-line block ×17, first 2 shown]
	v_div_scale_f32 v48, s[8:9], s4, s4, v4
	v_add_f32_e32 v12, v12, v30
	v_rcp_f32_e32 v50, v48
	v_add_f32_e32 v12, v12, v31
	v_add_f32_e32 v12, v12, v32
	;; [unrolled: 1-line block ×4, first 2 shown]
	v_fma_f32 v38, -v48, v50, 1.0
	v_add_f32_e32 v12, v12, v35
	v_fmac_f32_e32 v50, v38, v50
	v_div_scale_f32 v38, vcc, v4, s4, v4
	v_add_f32_e32 v12, v12, v36
	v_mul_f32_e32 v39, v38, v50
	v_add_f32_e32 v12, v12, v37
	v_fma_f32 v49, -v48, v39, v38
	v_add_f32_e32 v9, v12, v9
	v_fmac_f32_e32 v39, v49, v50
	v_add_f32_e32 v8, v9, v8
	v_fma_f32 v38, -v48, v39, v38
	v_add_f32_e32 v7, v8, v7
	v_div_fmas_f32 v38, v38, v50, v39
	v_add_f32_e32 v6, v7, v6
	v_div_fixup_f32 v4, v38, s4, v4
	v_add_f32_e32 v5, v6, v5
	v_add_f32_e32 v5, v5, v4
	v_mbcnt_lo_u32_b32 v4, -1, 0
	v_mbcnt_hi_u32_b32 v4, -1, v4
	v_add_f32_dpp v5, v5, v5 quad_perm:[1,0,3,2] row_mask:0xf bank_mask:0xf bound_ctrl:1
	v_cmp_eq_u32_e32 vcc, 0, v4
	s_nop 0
	v_add_f32_dpp v5, v5, v5 quad_perm:[2,3,0,1] row_mask:0xf bank_mask:0xf bound_ctrl:1
	s_nop 1
	v_add_f32_dpp v5, v5, v5 row_ror:4 row_mask:0xf bank_mask:0xf bound_ctrl:1
	s_nop 1
	v_add_f32_dpp v5, v5, v5 row_ror:8 row_mask:0xf bank_mask:0xf bound_ctrl:1
	s_nop 1
	v_add_f32_dpp v5, v5, v5 row_bcast:15 row_mask:0xf bank_mask:0xf bound_ctrl:1
	s_nop 1
	v_add_f32_dpp v6, v5, v5 row_bcast:31 row_mask:0xf bank_mask:0xf bound_ctrl:1
	v_lshlrev_b32_e32 v5, 2, v4
	v_or_b32_e32 v7, 0xfc, v5
	ds_bpermute_b32 v6, v7, v6
	s_and_saveexec_b64 s[4:5], vcc
	s_cbranch_execz .LBB29_592
; %bb.591:
	v_lshrrev_b32_e32 v7, 4, v11
	v_and_b32_e32 v7, 60, v7
	s_waitcnt lgkmcnt(0)
	ds_write_b32 v7, v6 offset:24
.LBB29_592:
	s_or_b64 exec, exec, s[4:5]
	v_cmp_gt_u32_e32 vcc, 64, v11
	s_waitcnt lgkmcnt(0)
	s_barrier
	s_and_saveexec_b64 s[4:5], vcc
	s_cbranch_execz .LBB29_594
; %bb.593:
	v_and_b32_e32 v4, 1, v4
	v_lshlrev_b32_e32 v4, 2, v4
	ds_read_b32 v4, v4 offset:24
	v_or_b32_e32 v5, 4, v5
	s_waitcnt lgkmcnt(0)
	ds_bpermute_b32 v5, v5, v4
	s_waitcnt lgkmcnt(0)
	v_add_f32_e32 v6, v4, v5
.LBB29_594:
	s_or_b64 exec, exec, s[4:5]
                                        ; implicit-def: $vgpr9
	s_andn2_saveexec_b64 s[74:75], s[6:7]
	s_cbranch_execz .LBB29_28
.LBB29_595:
	v_subrev_u32_e32 v8, s18, v0
	v_cmp_lt_u32_e32 vcc, v11, v8
                                        ; implicit-def: $vgpr12
	s_and_saveexec_b64 s[6:7], vcc
	s_cbranch_execz .LBB29_654
; %bb.596:
	v_add_u32_e32 v4, v9, v11
	s_movk_i32 s4, 0x1388
	v_mul_lo_u32 v4, v4, s4
	v_cmp_ne_u32_e32 vcc, 0, v4
	v_mov_b32_e32 v6, 1
	s_and_saveexec_b64 s[8:9], vcc
	s_cbranch_execz .LBB29_651
; %bb.597:
	v_mov_b32_e32 v6, 1
	v_mov_b32_e32 v5, 0
	s_mov_b64 s[14:15], 0xbc8f
	s_mov_b64 s[10:11], 0
	v_mov_b32_e32 v7, 0
	s_brev_b32 s18, -2
	s_mov_b32 s19, 0x7ffffffe
	v_mov_b32_e32 v12, 0xfffff800
	s_movk_i32 s20, 0x401
	s_branch .LBB29_599
.LBB29_598:                             ;   in Loop: Header=BB29_599 Depth=1
	s_or_b64 exec, exec, s[16:17]
	s_mul_i32 s4, s14, s15
	s_mul_hi_u32 s5, s14, s14
	s_add_i32 s5, s5, s4
	s_add_i32 s4, s5, s4
	s_mul_i32 s5, s14, s14
	s_add_u32 s14, 0x402, s20
	s_addc_u32 s15, 0, 0
	v_add_co_u32_e32 v13, vcc, s14, v12
	s_cmp_lg_u64 vcc, 0
	v_readfirstlane_b32 s16, v13
	s_addc_u32 s14, s15, 1
	s_mul_hi_u32 s17, s16, 0x80000001
	s_mul_i32 s15, s14, 0x80000001
	s_sub_i32 s17, s17, s16
	s_add_i32 s17, s17, s15
	s_mul_i32 s22, s16, 0x80000001
	s_mul_hi_u32 s15, s16, s17
	s_mul_i32 s21, s16, s17
	s_mul_hi_u32 s16, s16, s22
	s_add_u32 s16, s16, s21
	s_addc_u32 s15, 0, s15
	s_mul_hi_u32 s23, s14, s22
	s_mul_i32 s22, s14, s22
	s_add_u32 s16, s16, s22
	s_mul_hi_u32 s21, s14, s17
	s_addc_u32 s15, s15, s23
	s_addc_u32 s16, s21, 0
	s_mul_i32 s17, s14, s17
	s_add_u32 s15, s15, s17
	s_addc_u32 s16, 0, s16
	v_add_co_u32_e32 v13, vcc, s15, v13
	s_cmp_lg_u64 vcc, 0
	s_addc_u32 s14, s14, s16
	v_readfirstlane_b32 s17, v13
	s_mul_i32 s16, s5, s14
	s_mul_hi_u32 s21, s5, s17
	s_mul_hi_u32 s15, s5, s14
	s_add_u32 s16, s21, s16
	s_addc_u32 s15, 0, s15
	s_mul_hi_u32 s22, s4, s17
	s_mul_i32 s17, s4, s17
	s_add_u32 s16, s16, s17
	s_mul_hi_u32 s21, s4, s14
	s_addc_u32 s15, s15, s22
	s_addc_u32 s16, s21, 0
	s_mul_i32 s14, s4, s14
	s_add_u32 s14, s15, s14
	s_addc_u32 s15, 0, s16
	s_mul_hi_u32 s16, s14, 0x7fffffff
	s_mul_i32 s14, s14, 0x7fffffff
	s_mul_i32 s15, s15, 0x7fffffff
	v_mov_b32_e32 v13, s14
	s_add_i32 s16, s16, s15
	v_sub_co_u32_e32 v13, vcc, s5, v13
	s_cmp_lg_u64 vcc, 0
	s_subb_u32 s4, s4, s16
	v_subrev_co_u32_e32 v16, vcc, s18, v13
	s_cmp_lg_u64 vcc, 0
	s_subb_u32 s5, s4, 0
	v_subrev_co_u32_e32 v17, vcc, s18, v16
	s_cmp_lg_u64 vcc, 0
	s_subb_u32 s14, s5, 0
	v_readfirstlane_b32 s15, v16
	s_cmp_gt_u32 s15, 0x7ffffffe
	s_cselect_b32 s16, -1, 0
	s_cmp_eq_u32 s5, 0
	s_cselect_b32 s16, s16, -1
	s_cmp_lg_u32 s16, 0
	s_cselect_b32 s5, s14, s5
	v_readfirstlane_b32 s14, v17
	v_readfirstlane_b32 s16, v13
	s_cselect_b32 s14, s14, s15
	s_cmp_gt_u32 s16, 0x7ffffffe
	s_cselect_b32 s15, -1, 0
	s_cmp_eq_u32 s4, 0
	s_cselect_b32 s15, s15, -1
	v_lshrrev_b64 v[14:15], 1, v[4:5]
	s_cmp_lg_u32 s15, 0
	v_cmp_gt_u64_e32 vcc, 2, v[4:5]
	s_cselect_b32 s15, s5, s4
	s_cselect_b32 s14, s14, s16
	s_or_b64 s[10:11], vcc, s[10:11]
	v_pk_mov_b32 v[4:5], v[14:15], v[14:15] op_sel:[0,1]
	s_andn2_b64 exec, exec, s[10:11]
	s_cbranch_execz .LBB29_650
.LBB29_599:                             ; =>This Inner Loop Header: Depth=1
	v_and_b32_e32 v13, 1, v4
	v_cmp_eq_u32_e32 vcc, 1, v13
	s_and_saveexec_b64 s[16:17], vcc
	s_cbranch_execz .LBB29_598
; %bb.600:                              ;   in Loop: Header=BB29_599 Depth=1
	v_mul_lo_u32 v13, s15, v6
	v_mul_lo_u32 v14, s14, v7
	v_mad_u64_u32 v[6:7], s[4:5], s14, v6, 0
	s_add_u32 s4, 0x402, s20
	v_add3_u32 v7, v7, v14, v13
	s_addc_u32 s5, 0, 0
	v_add_co_u32_e32 v13, vcc, s4, v12
	s_cmp_lg_u64 vcc, 0
	v_readfirstlane_b32 s21, v13
	s_addc_u32 s4, s5, 1
	s_mul_hi_u32 s22, s21, 0x80000001
	s_mul_i32 s5, s4, 0x80000001
	s_sub_i32 s22, s22, s21
	s_add_i32 s22, s22, s5
	s_mul_i32 s24, s21, 0x80000001
	s_mul_hi_u32 s5, s21, s22
	s_mul_i32 s23, s21, s22
	s_mul_hi_u32 s21, s21, s24
	s_add_u32 s21, s21, s23
	s_addc_u32 s5, 0, s5
	s_mul_hi_u32 s25, s4, s24
	s_mul_i32 s24, s4, s24
	s_add_u32 s21, s21, s24
	s_mul_hi_u32 s23, s4, s22
	s_addc_u32 s5, s5, s25
	s_addc_u32 s21, s23, 0
	s_mul_i32 s22, s4, s22
	s_add_u32 s5, s5, s22
	s_addc_u32 s21, 0, s21
	v_add_co_u32_e32 v13, vcc, s5, v13
	s_cmp_lg_u64 vcc, 0
	s_addc_u32 s21, s4, s21
	v_mad_u64_u32 v[14:15], s[4:5], v6, s21, 0
	v_mul_hi_u32 v16, v6, v13
	v_add_co_u32_e32 v18, vcc, v16, v14
	v_addc_co_u32_e32 v19, vcc, 0, v15, vcc
	v_mad_u64_u32 v[16:17], s[4:5], v7, v13, 0
	v_add_co_u32_e32 v13, vcc, v18, v16
	v_mad_u64_u32 v[14:15], s[4:5], v7, s21, 0
	v_addc_co_u32_e32 v13, vcc, v19, v17, vcc
	v_addc_co_u32_e32 v15, vcc, 0, v15, vcc
	v_add_co_u32_e32 v13, vcc, v13, v14
	v_addc_co_u32_e32 v17, vcc, 0, v15, vcc
	v_mad_u64_u32 v[14:15], s[4:5], v13, s18, 0
	v_mov_b32_e32 v16, v15
	v_mad_u64_u32 v[16:17], s[4:5], v17, s18, v[16:17]
	v_sub_co_u32_e32 v6, vcc, v6, v14
	v_subb_co_u32_e32 v7, vcc, v7, v16, vcc
	v_subrev_co_u32_e32 v13, vcc, s18, v6
	v_subbrev_co_u32_e32 v14, vcc, 0, v7, vcc
	v_subrev_co_u32_e32 v15, vcc, s18, v13
	v_subbrev_co_u32_e32 v16, vcc, 0, v14, vcc
	v_cmp_lt_u32_e32 vcc, s19, v13
	v_cndmask_b32_e64 v17, 0, -1, vcc
	v_cmp_eq_u32_e32 vcc, 0, v14
	v_cndmask_b32_e32 v17, -1, v17, vcc
	v_cmp_ne_u32_e32 vcc, 0, v17
	v_cmp_lt_u32_e64 s[4:5], s19, v6
	v_cndmask_b32_e32 v14, v14, v16, vcc
	v_cndmask_b32_e64 v16, 0, -1, s[4:5]
	v_cmp_eq_u32_e64 s[4:5], 0, v7
	v_cndmask_b32_e64 v16, -1, v16, s[4:5]
	v_cmp_ne_u32_e64 s[4:5], 0, v16
	v_cndmask_b32_e32 v13, v13, v15, vcc
	v_cndmask_b32_e64 v7, v7, v14, s[4:5]
	v_cndmask_b32_e64 v6, v6, v13, s[4:5]
	s_branch .LBB29_598
.LBB29_601:
	s_or_b64 exec, exec, s[16:17]
	s_movk_i32 s4, 0x401
	s_add_u32 s4, 0x402, s4
	v_mov_b32_e32 v6, 0xfffff800
	s_addc_u32 s5, 0, 0
	v_add_co_u32_e32 v6, vcc, s4, v6
	s_cmp_lg_u64 vcc, 0
	v_readfirstlane_b32 s16, v6
	s_addc_u32 s4, s5, 1
	s_mul_hi_u32 s17, s16, 0x80000001
	s_mul_i32 s5, s4, 0x80000001
	s_sub_i32 s17, s17, s16
	s_add_i32 s17, s17, s5
	s_mul_i32 s19, s16, 0x80000001
	s_mul_hi_u32 s5, s16, s17
	s_mul_i32 s18, s16, s17
	s_mul_hi_u32 s16, s16, s19
	s_add_u32 s16, s16, s18
	s_addc_u32 s5, 0, s5
	s_mul_hi_u32 s20, s4, s19
	s_mul_i32 s19, s4, s19
	s_add_u32 s16, s16, s19
	s_mul_hi_u32 s18, s4, s17
	s_addc_u32 s5, s5, s20
	s_addc_u32 s16, s18, 0
	s_mul_i32 s17, s4, s17
	s_add_u32 s5, s5, s17
	s_addc_u32 s16, 0, s16
	v_add_co_u32_e32 v13, vcc, s5, v6
	s_cmp_lg_u64 vcc, 0
	s_addc_u32 s16, s4, s16
	v_mad_u64_u32 v[6:7], s[4:5], v8, s16, 0
	v_mul_hi_u32 v14, v8, v13
	v_add_co_u32_e32 v16, vcc, v14, v6
	v_addc_co_u32_e32 v17, vcc, 0, v7, vcc
	v_mad_u64_u32 v[14:15], s[4:5], v9, v13, 0
	v_add_co_u32_e32 v13, vcc, v16, v14
	v_mad_u64_u32 v[6:7], s[4:5], v9, s16, 0
	v_addc_co_u32_e32 v13, vcc, v17, v15, vcc
	v_addc_co_u32_e32 v7, vcc, 0, v7, vcc
	v_add_co_u32_e32 v6, vcc, v13, v6
	s_brev_b32 s16, -2
	v_addc_co_u32_e32 v13, vcc, 0, v7, vcc
	v_mad_u64_u32 v[6:7], s[4:5], v6, s16, 0
	v_mov_b32_e32 v14, v7
	v_mad_u64_u32 v[14:15], s[4:5], v13, s16, v[14:15]
	v_sub_co_u32_e32 v6, vcc, v8, v6
	v_subb_co_u32_e32 v7, vcc, v9, v14, vcc
	v_subrev_co_u32_e32 v8, vcc, 0x7fffffff, v6
	v_subbrev_co_u32_e32 v9, vcc, 0, v7, vcc
	s_mov_b32 s4, 0x7ffffffe
	v_cmp_lt_u32_e32 vcc, s4, v8
	v_cndmask_b32_e64 v13, 0, -1, vcc
	v_cmp_eq_u32_e32 vcc, 0, v9
	v_cndmask_b32_e32 v9, -1, v13, vcc
	v_add_u32_e32 v13, 0x80000001, v8
	v_cmp_ne_u32_e32 vcc, 0, v9
	v_cndmask_b32_e32 v8, v8, v13, vcc
	v_cmp_lt_u32_e32 vcc, s4, v6
	v_cndmask_b32_e64 v9, 0, -1, vcc
	v_cmp_eq_u32_e32 vcc, 0, v7
	v_cndmask_b32_e32 v7, -1, v9, vcc
	v_cmp_ne_u32_e32 vcc, 0, v7
	v_cndmask_b32_e32 v8, v6, v8, vcc
.LBB29_602:
	s_or_b64 exec, exec, s[14:15]
	s_movk_i32 s14, 0x1388
	v_mov_b32_e32 v7, 0
	s_mov_b32 s15, 0xbc8f1391
	s_mov_b32 s16, 0xbc8f
	s_brev_b32 s17, 12
	s_mov_b32 s18, 0xf800000
	v_mov_b32_e32 v6, 0x260
.LBB29_603:                             ; =>This Inner Loop Header: Depth=1
	v_mul_hi_u32 v9, v8, s15
	v_lshrrev_b32_e32 v9, 15, v9
	v_mul_u32_u24_e32 v14, 0xadc8, v9
	v_sub_u32_e32 v8, v8, v14
	v_mul_u32_u24_e32 v9, 0xd47, v9
	v_mul_lo_u32 v8, v8, s16
	v_xor_b32_e32 v14, 0x7fffffff, v9
	v_sub_u32_e32 v15, 0, v9
	v_cmp_lt_u32_e32 vcc, v8, v9
	v_cndmask_b32_e32 v9, v15, v14, vcc
	v_add_u32_e32 v8, v9, v8
	v_mul_hi_u32 v14, v8, s15
	v_lshrrev_b32_e32 v14, 15, v14
	v_mul_u32_u24_e32 v15, 0xadc8, v14
	v_add_u32_e32 v9, -1, v8
	v_sub_u32_e32 v8, v8, v15
	v_mul_u32_u24_e32 v14, 0xd47, v14
	v_mul_lo_u32 v8, v8, s16
	v_xor_b32_e32 v15, 0x7fffffff, v14
	v_sub_u32_e32 v16, 0, v14
	v_cmp_lt_u32_e32 vcc, v8, v14
	v_cndmask_b32_e32 v14, v16, v15, vcc
	v_add_u32_e32 v8, v14, v8
	v_mul_hi_u32 v15, v8, s15
	v_add_u32_e32 v14, -1, v8
	v_lshrrev_b32_e32 v15, 15, v15
	v_cvt_f32_u32_e32 v14, v14
	v_mul_u32_u24_e32 v16, 0xadc8, v15
	v_cvt_f32_u32_e32 v9, v9
	v_sub_u32_e32 v8, v8, v16
	v_mul_u32_u24_e32 v15, 0xd47, v15
	v_mul_lo_u32 v8, v8, s16
	v_xor_b32_e32 v16, 0x7fffffff, v15
	v_sub_u32_e32 v17, 0, v15
	v_cmp_lt_u32_e32 vcc, v8, v15
	v_fma_f32 v14, v14, s17, 0
	v_cndmask_b32_e32 v15, v17, v16, vcc
	v_fma_f32 v9, v9, s17, 0
	v_mul_f32_e32 v14, v14, v14
	v_add_u32_e32 v8, v15, v8
	v_fmac_f32_e32 v14, v9, v9
	v_mul_hi_u32 v15, v8, s15
	v_mul_f32_e32 v16, 0x4f800000, v14
	v_lshrrev_b32_e32 v15, 15, v15
	v_cmp_gt_f32_e32 vcc, s18, v14
	v_cndmask_b32_e32 v14, v14, v16, vcc
	v_mul_u32_u24_e32 v16, 0xadc8, v15
	v_add_u32_e32 v9, -1, v8
	v_sqrt_f32_e32 v17, v14
	v_sub_u32_e32 v8, v8, v16
	v_mul_u32_u24_e32 v15, 0xd47, v15
	v_mul_lo_u32 v8, v8, s16
	v_xor_b32_e32 v16, 0x7fffffff, v15
	v_sub_u32_e32 v18, 0, v15
	v_cmp_lt_u32_e64 s[4:5], v8, v15
	v_cndmask_b32_e64 v15, v18, v16, s[4:5]
	v_add_u32_e32 v8, v15, v8
	v_add_u32_e32 v15, -1, v17
	v_add_u32_e32 v16, 1, v17
	v_add_u32_e32 v18, -1, v8
	v_fma_f32 v19, -v15, v17, v14
	v_fma_f32 v20, -v16, v17, v14
	v_cvt_f32_u32_e32 v18, v18
	v_cmp_ge_f32_e64 s[4:5], 0, v19
	v_cvt_f32_u32_e32 v9, v9
	v_cndmask_b32_e64 v15, v17, v15, s[4:5]
	v_cmp_lt_f32_e64 s[4:5], 0, v20
	v_cndmask_b32_e64 v15, v15, v16, s[4:5]
	v_mul_f32_e32 v16, 0x37800000, v15
	v_cndmask_b32_e32 v15, v15, v16, vcc
	v_fma_f32 v16, v18, s17, 0
	v_cmp_class_f32_e32 vcc, v14, v6
	v_fma_f32 v9, v9, s17, 0
	v_cndmask_b32_e32 v14, v15, v14, vcc
	v_mul_f32_e32 v15, v16, v16
	v_add_f32_e32 v13, 1.0, v7
	v_cmp_nge_f32_e32 vcc, 1.0, v14
	v_fmac_f32_e32 v15, v9, v9
	v_cndmask_b32_e32 v7, v13, v7, vcc
	v_mul_f32_e32 v9, 0x4f800000, v15
	v_cmp_gt_f32_e32 vcc, s18, v15
	v_cndmask_b32_e32 v9, v15, v9, vcc
	v_sqrt_f32_e32 v14, v9
	s_add_i32 s14, s14, -2
	v_add_f32_e32 v13, 1.0, v7
	s_cmp_lg_u32 s14, 0
	v_add_u32_e32 v15, -1, v14
	v_add_u32_e32 v16, 1, v14
	v_fma_f32 v17, -v15, v14, v9
	v_fma_f32 v18, -v16, v14, v9
	v_cmp_ge_f32_e64 s[4:5], 0, v17
	v_cndmask_b32_e64 v14, v14, v15, s[4:5]
	v_cmp_lt_f32_e64 s[4:5], 0, v18
	v_cndmask_b32_e64 v14, v14, v16, s[4:5]
	v_mul_f32_e32 v15, 0x37800000, v14
	v_cndmask_b32_e32 v14, v14, v15, vcc
	v_cmp_class_f32_e32 vcc, v9, v6
	v_cndmask_b32_e32 v9, v14, v9, vcc
	v_cmp_nge_f32_e32 vcc, 1.0, v9
	v_cndmask_b32_e32 v7, v13, v7, vcc
	s_cbranch_scc1 .LBB29_603
; %bb.604:
	v_mul_f32_e32 v6, 4.0, v7
	s_mov_b32 s14, 0x459c4000
	v_div_scale_f32 v7, s[4:5], s14, s14, v6
	v_rcp_f32_e32 v8, v7
	v_fma_f32 v9, -v7, v8, 1.0
	v_fmac_f32_e32 v8, v9, v8
	v_div_scale_f32 v9, vcc, v6, s14, v6
	v_mul_f32_e32 v13, v9, v8
	v_fma_f32 v14, -v7, v13, v9
	v_fmac_f32_e32 v13, v14, v8
	v_fma_f32 v7, -v7, v13, v9
	v_div_fmas_f32 v7, v7, v8, v13
	v_div_fixup_f32 v8, v7, s14, v6
.LBB29_605:
	s_or_b64 exec, exec, s[10:11]
	v_mbcnt_lo_u32_b32 v6, -1, 0
	v_mbcnt_hi_u32_b32 v6, -1, v6
	v_and_b32_e32 v9, 63, v6
	v_cmp_ne_u32_e32 vcc, 63, v9
	v_addc_co_u32_e32 v7, vcc, 0, v6, vcc
	v_lshlrev_b32_e32 v7, 2, v7
	ds_bpermute_b32 v13, v7, v8
	v_min_u32_e32 v7, 0x80, v12
	v_and_b32_e32 v12, 0x3c0, v11
	v_sub_u32_e64 v12, v7, v12 clamp
	v_add_u32_e32 v14, 1, v9
	v_cmp_gt_u32_e64 s[4:5], 62, v9
	v_cmp_lt_u32_e32 vcc, v14, v12
	v_cndmask_b32_e64 v14, 0, 1, s[4:5]
	s_waitcnt lgkmcnt(0)
	v_add_f32_e32 v13, v8, v13
	v_lshlrev_b32_e32 v14, 1, v14
	v_cndmask_b32_e32 v13, v8, v13, vcc
	v_add_lshl_u32 v14, v14, v6, 2
	ds_bpermute_b32 v14, v14, v13
	v_add_u32_e32 v15, 2, v9
	v_cmp_lt_u32_e64 s[4:5], v15, v12
	v_add_u32_e32 v15, 4, v9
	s_waitcnt lgkmcnt(0)
	v_add_f32_e32 v14, v13, v14
	v_cndmask_b32_e64 v13, v13, v14, s[4:5]
	v_cmp_gt_u32_e64 s[4:5], 60, v9
	v_cndmask_b32_e64 v14, 0, 1, s[4:5]
	v_lshlrev_b32_e32 v14, 2, v14
	v_add_lshl_u32 v14, v14, v6, 2
	ds_bpermute_b32 v14, v14, v13
	v_cmp_lt_u32_e64 s[4:5], v15, v12
	v_add_u32_e32 v15, 8, v9
	s_waitcnt lgkmcnt(0)
	v_add_f32_e32 v14, v13, v14
	v_cndmask_b32_e64 v13, v13, v14, s[4:5]
	v_cmp_gt_u32_e64 s[4:5], 56, v9
	v_cndmask_b32_e64 v14, 0, 1, s[4:5]
	v_lshlrev_b32_e32 v14, 3, v14
	v_add_lshl_u32 v14, v14, v6, 2
	ds_bpermute_b32 v14, v14, v13
	;; [unrolled: 10-line block ×3, first 2 shown]
	v_cmp_lt_u32_e64 s[4:5], v15, v12
	s_waitcnt lgkmcnt(0)
	v_add_f32_e32 v14, v13, v14
	v_cndmask_b32_e64 v13, v13, v14, s[4:5]
	v_cmp_gt_u32_e64 s[4:5], 32, v9
	v_cndmask_b32_e64 v14, 0, 1, s[4:5]
	v_lshlrev_b32_e32 v14, 5, v14
	v_add_lshl_u32 v14, v14, v6, 2
	ds_bpermute_b32 v14, v14, v13
	v_add_u32_e32 v9, 32, v9
	v_cmp_lt_u32_e64 s[4:5], v9, v12
	s_waitcnt lgkmcnt(0)
	v_add_f32_e32 v14, v13, v14
	v_cndmask_b32_e64 v9, v13, v14, s[4:5]
	v_cndmask_b32_e32 v8, v8, v9, vcc
	v_cmp_eq_u32_e32 vcc, 0, v6
	s_and_saveexec_b64 s[4:5], vcc
	s_cbranch_execz .LBB29_607
; %bb.606:
	v_lshrrev_b32_e32 v9, 4, v11
	v_and_b32_e32 v9, 60, v9
	ds_write_b32 v9, v8 offset:48
.LBB29_607:
	s_or_b64 exec, exec, s[4:5]
	v_cmp_gt_u32_e32 vcc, 2, v11
	s_waitcnt lgkmcnt(0)
	s_barrier
	s_and_saveexec_b64 s[4:5], vcc
	s_cbranch_execz .LBB29_609
; %bb.608:
	v_lshlrev_b32_e32 v8, 2, v6
	ds_read_b32 v9, v8 offset:48
	v_or_b32_e32 v8, 4, v8
	v_add_u32_e32 v7, 63, v7
	v_and_b32_e32 v6, 1, v6
	v_lshrrev_b32_e32 v7, 6, v7
	s_waitcnt lgkmcnt(0)
	ds_bpermute_b32 v8, v8, v9
	v_add_u32_e32 v6, 1, v6
	v_cmp_lt_u32_e32 vcc, v6, v7
	s_waitcnt lgkmcnt(0)
	v_add_f32_e32 v8, v9, v8
	v_cndmask_b32_e32 v8, v9, v8, vcc
.LBB29_609:
	s_or_b64 exec, exec, s[4:5]
	s_or_b64 exec, exec, s[8:9]
	v_cmp_eq_u32_e32 vcc, 0, v11
	s_and_b64 exec, exec, vcc
	s_cbranch_execnz .LBB29_4
	s_branch .LBB29_5
.LBB29_610:
	s_or_b64 exec, exec, s[16:17]
	s_movk_i32 s4, 0x401
	s_add_u32 s4, 0x402, s4
	v_mov_b32_e32 v6, 0xfffff800
	s_addc_u32 s5, 0, 0
	v_add_co_u32_e32 v6, vcc, s4, v6
	s_cmp_lg_u64 vcc, 0
	v_readfirstlane_b32 s16, v6
	s_addc_u32 s4, s5, 1
	s_mul_hi_u32 s17, s16, 0x80000001
	s_mul_i32 s5, s4, 0x80000001
	s_sub_i32 s17, s17, s16
	s_add_i32 s17, s17, s5
	s_mul_i32 s19, s16, 0x80000001
	s_mul_hi_u32 s5, s16, s17
	s_mul_i32 s18, s16, s17
	s_mul_hi_u32 s16, s16, s19
	s_add_u32 s16, s16, s18
	s_addc_u32 s5, 0, s5
	s_mul_hi_u32 s20, s4, s19
	s_mul_i32 s19, s4, s19
	s_add_u32 s16, s16, s19
	s_mul_hi_u32 s18, s4, s17
	s_addc_u32 s5, s5, s20
	s_addc_u32 s16, s18, 0
	s_mul_i32 s17, s4, s17
	s_add_u32 s5, s5, s17
	s_addc_u32 s16, 0, s16
	v_add_co_u32_e32 v11, vcc, s5, v6
	s_cmp_lg_u64 vcc, 0
	s_addc_u32 s16, s4, s16
	v_mad_u64_u32 v[6:7], s[4:5], v8, s16, 0
	v_mul_hi_u32 v15, v8, v11
	v_add_co_u32_e32 v15, vcc, v15, v6
	v_addc_co_u32_e32 v18, vcc, 0, v7, vcc
	v_mad_u64_u32 v[16:17], s[4:5], v9, v11, 0
	v_add_co_u32_e32 v11, vcc, v15, v16
	v_mad_u64_u32 v[6:7], s[4:5], v9, s16, 0
	v_addc_co_u32_e32 v11, vcc, v18, v17, vcc
	v_addc_co_u32_e32 v7, vcc, 0, v7, vcc
	v_add_co_u32_e32 v6, vcc, v11, v6
	s_brev_b32 s16, -2
	v_addc_co_u32_e32 v11, vcc, 0, v7, vcc
	v_mad_u64_u32 v[6:7], s[4:5], v6, s16, 0
	v_mov_b32_e32 v16, v7
	v_mad_u64_u32 v[16:17], s[4:5], v11, s16, v[16:17]
	v_sub_co_u32_e32 v6, vcc, v8, v6
	v_subb_co_u32_e32 v7, vcc, v9, v16, vcc
	v_subrev_co_u32_e32 v8, vcc, 0x7fffffff, v6
	v_subbrev_co_u32_e32 v9, vcc, 0, v7, vcc
	s_mov_b32 s4, 0x7ffffffe
	v_cmp_lt_u32_e32 vcc, s4, v8
	v_cndmask_b32_e64 v11, 0, -1, vcc
	v_cmp_eq_u32_e32 vcc, 0, v9
	v_cndmask_b32_e32 v9, -1, v11, vcc
	v_add_u32_e32 v11, 0x80000001, v8
	v_cmp_ne_u32_e32 vcc, 0, v9
	v_cndmask_b32_e32 v8, v8, v11, vcc
	v_cmp_lt_u32_e32 vcc, s4, v6
	v_cndmask_b32_e64 v9, 0, -1, vcc
	v_cmp_eq_u32_e32 vcc, 0, v7
	v_cndmask_b32_e32 v7, -1, v9, vcc
	v_cmp_ne_u32_e32 vcc, 0, v7
	v_cndmask_b32_e32 v8, v6, v8, vcc
.LBB29_611:
	s_or_b64 exec, exec, s[14:15]
	s_movk_i32 s14, 0x1388
	v_mov_b32_e32 v7, 0
	s_mov_b32 s15, 0xbc8f1391
	s_mov_b32 s16, 0xbc8f
	s_brev_b32 s17, 12
	s_mov_b32 s18, 0xf800000
	v_mov_b32_e32 v6, 0x260
.LBB29_612:                             ; =>This Inner Loop Header: Depth=1
	v_mul_hi_u32 v9, v8, s15
	v_lshrrev_b32_e32 v9, 15, v9
	v_mul_u32_u24_e32 v15, 0xadc8, v9
	v_sub_u32_e32 v8, v8, v15
	v_mul_u32_u24_e32 v9, 0xd47, v9
	v_mul_lo_u32 v8, v8, s16
	v_xor_b32_e32 v15, 0x7fffffff, v9
	v_sub_u32_e32 v16, 0, v9
	v_cmp_lt_u32_e32 vcc, v8, v9
	v_cndmask_b32_e32 v9, v16, v15, vcc
	v_add_u32_e32 v8, v9, v8
	v_mul_hi_u32 v15, v8, s15
	v_lshrrev_b32_e32 v15, 15, v15
	v_mul_u32_u24_e32 v16, 0xadc8, v15
	v_add_u32_e32 v9, -1, v8
	v_sub_u32_e32 v8, v8, v16
	v_mul_u32_u24_e32 v15, 0xd47, v15
	v_mul_lo_u32 v8, v8, s16
	v_xor_b32_e32 v16, 0x7fffffff, v15
	v_sub_u32_e32 v17, 0, v15
	v_cmp_lt_u32_e32 vcc, v8, v15
	v_cndmask_b32_e32 v15, v17, v16, vcc
	v_add_u32_e32 v8, v15, v8
	v_mul_hi_u32 v16, v8, s15
	v_add_u32_e32 v15, -1, v8
	v_lshrrev_b32_e32 v16, 15, v16
	v_cvt_f32_u32_e32 v15, v15
	v_mul_u32_u24_e32 v17, 0xadc8, v16
	v_cvt_f32_u32_e32 v9, v9
	v_sub_u32_e32 v8, v8, v17
	v_mul_u32_u24_e32 v16, 0xd47, v16
	v_mul_lo_u32 v8, v8, s16
	v_xor_b32_e32 v17, 0x7fffffff, v16
	v_sub_u32_e32 v18, 0, v16
	v_cmp_lt_u32_e32 vcc, v8, v16
	v_fma_f32 v15, v15, s17, 0
	v_cndmask_b32_e32 v16, v18, v17, vcc
	v_fma_f32 v9, v9, s17, 0
	v_mul_f32_e32 v15, v15, v15
	v_add_u32_e32 v8, v16, v8
	v_fmac_f32_e32 v15, v9, v9
	v_mul_hi_u32 v16, v8, s15
	v_mul_f32_e32 v17, 0x4f800000, v15
	v_lshrrev_b32_e32 v16, 15, v16
	v_cmp_gt_f32_e32 vcc, s18, v15
	v_cndmask_b32_e32 v15, v15, v17, vcc
	v_mul_u32_u24_e32 v17, 0xadc8, v16
	v_add_u32_e32 v9, -1, v8
	v_sqrt_f32_e32 v18, v15
	v_sub_u32_e32 v8, v8, v17
	v_mul_u32_u24_e32 v16, 0xd47, v16
	v_mul_lo_u32 v8, v8, s16
	v_xor_b32_e32 v17, 0x7fffffff, v16
	v_sub_u32_e32 v19, 0, v16
	v_cmp_lt_u32_e64 s[4:5], v8, v16
	v_cndmask_b32_e64 v16, v19, v17, s[4:5]
	v_add_u32_e32 v8, v16, v8
	v_add_u32_e32 v16, -1, v18
	v_add_u32_e32 v17, 1, v18
	v_add_u32_e32 v19, -1, v8
	v_fma_f32 v20, -v16, v18, v15
	v_fma_f32 v21, -v17, v18, v15
	v_cvt_f32_u32_e32 v19, v19
	v_cmp_ge_f32_e64 s[4:5], 0, v20
	v_cvt_f32_u32_e32 v9, v9
	v_cndmask_b32_e64 v16, v18, v16, s[4:5]
	v_cmp_lt_f32_e64 s[4:5], 0, v21
	v_cndmask_b32_e64 v16, v16, v17, s[4:5]
	v_mul_f32_e32 v17, 0x37800000, v16
	v_cndmask_b32_e32 v16, v16, v17, vcc
	v_fma_f32 v17, v19, s17, 0
	v_cmp_class_f32_e32 vcc, v15, v6
	v_fma_f32 v9, v9, s17, 0
	v_cndmask_b32_e32 v15, v16, v15, vcc
	v_mul_f32_e32 v16, v17, v17
	v_add_f32_e32 v11, 1.0, v7
	v_cmp_nge_f32_e32 vcc, 1.0, v15
	v_fmac_f32_e32 v16, v9, v9
	v_cndmask_b32_e32 v7, v11, v7, vcc
	v_mul_f32_e32 v9, 0x4f800000, v16
	v_cmp_gt_f32_e32 vcc, s18, v16
	v_cndmask_b32_e32 v9, v16, v9, vcc
	v_sqrt_f32_e32 v15, v9
	s_add_i32 s14, s14, -2
	v_add_f32_e32 v11, 1.0, v7
	s_cmp_lg_u32 s14, 0
	v_add_u32_e32 v16, -1, v15
	v_add_u32_e32 v17, 1, v15
	v_fma_f32 v18, -v16, v15, v9
	v_fma_f32 v19, -v17, v15, v9
	v_cmp_ge_f32_e64 s[4:5], 0, v18
	v_cndmask_b32_e64 v15, v15, v16, s[4:5]
	v_cmp_lt_f32_e64 s[4:5], 0, v19
	v_cndmask_b32_e64 v15, v15, v17, s[4:5]
	v_mul_f32_e32 v16, 0x37800000, v15
	v_cndmask_b32_e32 v15, v15, v16, vcc
	v_cmp_class_f32_e32 vcc, v9, v6
	v_cndmask_b32_e32 v9, v15, v9, vcc
	v_cmp_nge_f32_e32 vcc, 1.0, v9
	v_cndmask_b32_e32 v7, v11, v7, vcc
	s_cbranch_scc1 .LBB29_612
; %bb.613:
	v_mul_f32_e32 v6, 4.0, v7
	s_mov_b32 s14, 0x459c4000
	v_div_scale_f32 v7, s[4:5], s14, s14, v6
	v_rcp_f32_e32 v8, v7
	v_fma_f32 v9, -v7, v8, 1.0
	v_fmac_f32_e32 v8, v9, v8
	v_div_scale_f32 v9, vcc, v6, s14, v6
	v_mul_f32_e32 v11, v9, v8
	v_fma_f32 v15, -v7, v11, v9
	v_fmac_f32_e32 v11, v15, v8
	v_fma_f32 v7, -v7, v11, v9
	v_div_fmas_f32 v7, v7, v8, v11
	v_div_fixup_f32 v6, v7, s14, v6
.LBB29_614:
	s_or_b64 exec, exec, s[6:7]
	v_add_u32_e32 v8, 0x80, v13
	v_cmp_lt_u32_e64 s[4:5], v8, v14
	s_and_saveexec_b64 s[14:15], s[4:5]
	s_cbranch_execz .LBB29_664
; %bb.615:
	v_add_u32_e32 v7, v10, v8
	s_movk_i32 s6, 0x1388
	v_mul_lo_u32 v8, v7, s6
	v_cmp_ne_u32_e32 vcc, 0, v8
	v_mov_b32_e32 v9, 1
	s_and_saveexec_b64 s[16:17], vcc
	s_cbranch_execz .LBB29_661
; %bb.616:
	v_mov_b32_e32 v10, 1
	v_mov_b32_e32 v9, 0
	s_mov_b64 s[20:21], 0xbc8f
	s_mov_b64 s[18:19], 0
	v_mov_b32_e32 v11, 0
	s_brev_b32 s24, -2
	s_mov_b32 s25, 0x7ffffffe
	v_mov_b32_e32 v7, 0xfffff800
	s_movk_i32 s26, 0x401
	s_branch .LBB29_618
.LBB29_617:                             ;   in Loop: Header=BB29_618 Depth=1
	s_or_b64 exec, exec, s[22:23]
	s_mul_i32 s6, s20, s21
	s_mul_hi_u32 s7, s20, s20
	s_add_i32 s7, s7, s6
	s_add_i32 s6, s7, s6
	s_mul_i32 s7, s20, s20
	s_add_u32 s20, 0x402, s26
	s_addc_u32 s21, 0, 0
	v_add_co_u32_e32 v15, vcc, s20, v7
	s_cmp_lg_u64 vcc, 0
	v_readfirstlane_b32 s22, v15
	s_addc_u32 s20, s21, 1
	s_mul_hi_u32 s23, s22, 0x80000001
	s_mul_i32 s21, s20, 0x80000001
	s_sub_i32 s23, s23, s22
	s_add_i32 s23, s23, s21
	s_mul_i32 s28, s22, 0x80000001
	s_mul_hi_u32 s21, s22, s23
	s_mul_i32 s27, s22, s23
	s_mul_hi_u32 s22, s22, s28
	s_add_u32 s22, s22, s27
	s_addc_u32 s21, 0, s21
	s_mul_hi_u32 s29, s20, s28
	s_mul_i32 s28, s20, s28
	s_add_u32 s22, s22, s28
	s_mul_hi_u32 s27, s20, s23
	s_addc_u32 s21, s21, s29
	s_addc_u32 s22, s27, 0
	s_mul_i32 s23, s20, s23
	s_add_u32 s21, s21, s23
	s_addc_u32 s22, 0, s22
	v_add_co_u32_e32 v15, vcc, s21, v15
	s_cmp_lg_u64 vcc, 0
	s_addc_u32 s20, s20, s22
	v_readfirstlane_b32 s23, v15
	s_mul_i32 s22, s7, s20
	s_mul_hi_u32 s27, s7, s23
	s_mul_hi_u32 s21, s7, s20
	s_add_u32 s22, s27, s22
	s_addc_u32 s21, 0, s21
	s_mul_hi_u32 s28, s6, s23
	s_mul_i32 s23, s6, s23
	s_add_u32 s22, s22, s23
	s_mul_hi_u32 s27, s6, s20
	s_addc_u32 s21, s21, s28
	s_addc_u32 s22, s27, 0
	s_mul_i32 s20, s6, s20
	s_add_u32 s20, s21, s20
	s_addc_u32 s21, 0, s22
	s_mul_hi_u32 s22, s20, 0x7fffffff
	s_mul_i32 s20, s20, 0x7fffffff
	s_mul_i32 s21, s21, 0x7fffffff
	v_mov_b32_e32 v15, s20
	s_add_i32 s22, s22, s21
	v_sub_co_u32_e32 v15, vcc, s7, v15
	s_cmp_lg_u64 vcc, 0
	s_subb_u32 s6, s6, s22
	v_subrev_co_u32_e32 v18, vcc, s24, v15
	s_cmp_lg_u64 vcc, 0
	s_subb_u32 s7, s6, 0
	v_subrev_co_u32_e32 v19, vcc, s24, v18
	s_cmp_lg_u64 vcc, 0
	s_subb_u32 s20, s7, 0
	v_readfirstlane_b32 s21, v18
	s_cmp_gt_u32 s21, 0x7ffffffe
	s_cselect_b32 s22, -1, 0
	s_cmp_eq_u32 s7, 0
	s_cselect_b32 s22, s22, -1
	s_cmp_lg_u32 s22, 0
	s_cselect_b32 s7, s20, s7
	v_readfirstlane_b32 s20, v19
	v_readfirstlane_b32 s22, v15
	s_cselect_b32 s20, s20, s21
	s_cmp_gt_u32 s22, 0x7ffffffe
	s_cselect_b32 s21, -1, 0
	s_cmp_eq_u32 s6, 0
	s_cselect_b32 s21, s21, -1
	v_lshrrev_b64 v[16:17], 1, v[8:9]
	s_cmp_lg_u32 s21, 0
	v_cmp_gt_u64_e32 vcc, 2, v[8:9]
	s_cselect_b32 s21, s7, s6
	s_cselect_b32 s20, s20, s22
	s_or_b64 s[18:19], vcc, s[18:19]
	v_pk_mov_b32 v[8:9], v[16:17], v[16:17] op_sel:[0,1]
	s_andn2_b64 exec, exec, s[18:19]
	s_cbranch_execz .LBB29_660
.LBB29_618:                             ; =>This Inner Loop Header: Depth=1
	v_and_b32_e32 v15, 1, v8
	v_cmp_eq_u32_e32 vcc, 1, v15
	s_and_saveexec_b64 s[22:23], vcc
	s_cbranch_execz .LBB29_617
; %bb.619:                              ;   in Loop: Header=BB29_618 Depth=1
	v_mul_lo_u32 v15, s21, v10
	v_mul_lo_u32 v16, s20, v11
	v_mad_u64_u32 v[10:11], s[6:7], s20, v10, 0
	s_add_u32 s6, 0x402, s26
	v_add3_u32 v11, v11, v16, v15
	s_addc_u32 s7, 0, 0
	v_add_co_u32_e32 v15, vcc, s6, v7
	s_cmp_lg_u64 vcc, 0
	v_readfirstlane_b32 s27, v15
	s_addc_u32 s6, s7, 1
	s_mul_hi_u32 s28, s27, 0x80000001
	s_mul_i32 s7, s6, 0x80000001
	s_sub_i32 s28, s28, s27
	s_add_i32 s28, s28, s7
	s_mul_i32 vcc_lo, s27, 0x80000001
	s_mul_hi_u32 s7, s27, s28
	s_mul_i32 s29, s27, s28
	s_mul_hi_u32 s27, s27, vcc_lo
	s_add_u32 s27, s27, s29
	s_addc_u32 s7, 0, s7
	s_mul_hi_u32 vcc_hi, s6, vcc_lo
	s_mul_i32 vcc_lo, s6, vcc_lo
	s_add_u32 s27, s27, vcc_lo
	s_mul_hi_u32 s29, s6, s28
	s_addc_u32 s7, s7, vcc_hi
	s_addc_u32 s27, s29, 0
	s_mul_i32 s28, s6, s28
	s_add_u32 s7, s7, s28
	s_addc_u32 s27, 0, s27
	v_add_co_u32_e32 v15, vcc, s7, v15
	s_cmp_lg_u64 vcc, 0
	s_addc_u32 s27, s6, s27
	v_mad_u64_u32 v[16:17], s[6:7], v10, s27, 0
	v_mul_hi_u32 v18, v10, v15
	v_add_co_u32_e32 v20, vcc, v18, v16
	v_addc_co_u32_e32 v21, vcc, 0, v17, vcc
	v_mad_u64_u32 v[18:19], s[6:7], v11, v15, 0
	v_add_co_u32_e32 v15, vcc, v20, v18
	v_mad_u64_u32 v[16:17], s[6:7], v11, s27, 0
	v_addc_co_u32_e32 v15, vcc, v21, v19, vcc
	v_addc_co_u32_e32 v17, vcc, 0, v17, vcc
	v_add_co_u32_e32 v15, vcc, v15, v16
	v_addc_co_u32_e32 v19, vcc, 0, v17, vcc
	v_mad_u64_u32 v[16:17], s[6:7], v15, s24, 0
	v_mov_b32_e32 v18, v17
	v_mad_u64_u32 v[18:19], s[6:7], v19, s24, v[18:19]
	v_sub_co_u32_e32 v10, vcc, v10, v16
	v_subb_co_u32_e32 v11, vcc, v11, v18, vcc
	v_subrev_co_u32_e32 v15, vcc, s24, v10
	v_subbrev_co_u32_e32 v16, vcc, 0, v11, vcc
	v_subrev_co_u32_e32 v17, vcc, s24, v15
	v_subbrev_co_u32_e32 v18, vcc, 0, v16, vcc
	v_cmp_lt_u32_e32 vcc, s25, v15
	v_cndmask_b32_e64 v19, 0, -1, vcc
	v_cmp_eq_u32_e32 vcc, 0, v16
	v_cndmask_b32_e32 v19, -1, v19, vcc
	v_cmp_ne_u32_e32 vcc, 0, v19
	v_cmp_lt_u32_e64 s[6:7], s25, v10
	v_cndmask_b32_e32 v16, v16, v18, vcc
	v_cndmask_b32_e64 v18, 0, -1, s[6:7]
	v_cmp_eq_u32_e64 s[6:7], 0, v11
	v_cndmask_b32_e64 v18, -1, v18, s[6:7]
	v_cmp_ne_u32_e64 s[6:7], 0, v18
	v_cndmask_b32_e32 v15, v15, v17, vcc
	v_cndmask_b32_e64 v11, v11, v16, s[6:7]
	v_cndmask_b32_e64 v10, v10, v15, s[6:7]
	s_branch .LBB29_617
.LBB29_620:
	s_or_b64 exec, exec, s[10:11]
	s_movk_i32 s4, 0x401
	s_add_u32 s4, 0x402, s4
	v_mov_b32_e32 v2, 0xfffff800
	s_addc_u32 s5, 0, 0
	v_add_co_u32_e32 v2, vcc, s4, v2
	s_cmp_lg_u64 vcc, 0
	v_readfirstlane_b32 s10, v2
	s_addc_u32 s4, s5, 1
	s_mul_hi_u32 s11, s10, 0x80000001
	s_mul_i32 s5, s4, 0x80000001
	s_sub_i32 s11, s11, s10
	s_add_i32 s11, s11, s5
	s_mul_i32 s19, s10, 0x80000001
	s_mul_hi_u32 s5, s10, s11
	s_mul_i32 s18, s10, s11
	s_mul_hi_u32 s10, s10, s19
	s_add_u32 s10, s10, s18
	s_addc_u32 s5, 0, s5
	s_mul_hi_u32 s20, s4, s19
	s_mul_i32 s19, s4, s19
	s_add_u32 s10, s10, s19
	s_mul_hi_u32 s18, s4, s11
	s_addc_u32 s5, s5, s20
	s_addc_u32 s10, s18, 0
	s_mul_i32 s11, s4, s11
	s_add_u32 s5, s5, s11
	s_addc_u32 s10, 0, s10
	v_add_co_u32_e32 v10, vcc, s5, v2
	s_cmp_lg_u64 vcc, 0
	s_addc_u32 s10, s4, s10
	v_mad_u64_u32 v[2:3], s[4:5], v4, s10, 0
	v_mul_hi_u32 v11, v4, v10
	v_add_co_u32_e32 v12, vcc, v11, v2
	v_addc_co_u32_e32 v13, vcc, 0, v3, vcc
	v_mad_u64_u32 v[10:11], s[4:5], v5, v10, 0
	v_add_co_u32_e32 v10, vcc, v12, v10
	v_mad_u64_u32 v[2:3], s[4:5], v5, s10, 0
	v_addc_co_u32_e32 v10, vcc, v13, v11, vcc
	v_addc_co_u32_e32 v3, vcc, 0, v3, vcc
	v_add_co_u32_e32 v2, vcc, v10, v2
	s_brev_b32 s10, -2
	v_addc_co_u32_e32 v11, vcc, 0, v3, vcc
	v_mad_u64_u32 v[2:3], s[4:5], v2, s10, 0
	v_mov_b32_e32 v10, v3
	v_mad_u64_u32 v[10:11], s[4:5], v11, s10, v[10:11]
	v_sub_co_u32_e32 v2, vcc, v4, v2
	v_subb_co_u32_e32 v3, vcc, v5, v10, vcc
	v_subrev_co_u32_e32 v4, vcc, 0x7fffffff, v2
	v_subbrev_co_u32_e32 v5, vcc, 0, v3, vcc
	s_mov_b32 s4, 0x7ffffffe
	v_cmp_lt_u32_e32 vcc, s4, v4
	v_cndmask_b32_e64 v10, 0, -1, vcc
	v_cmp_eq_u32_e32 vcc, 0, v5
	v_cndmask_b32_e32 v5, -1, v10, vcc
	v_add_u32_e32 v10, 0x80000001, v4
	v_cmp_ne_u32_e32 vcc, 0, v5
	v_cndmask_b32_e32 v4, v4, v10, vcc
	v_cmp_lt_u32_e32 vcc, s4, v2
	v_cndmask_b32_e64 v5, 0, -1, vcc
	v_cmp_eq_u32_e32 vcc, 0, v3
	v_cndmask_b32_e32 v3, -1, v5, vcc
	v_cmp_ne_u32_e32 vcc, 0, v3
	v_cndmask_b32_e32 v4, v2, v4, vcc
.LBB29_621:
	s_or_b64 exec, exec, s[8:9]
	s_movk_i32 s8, 0x1388
	v_mov_b32_e32 v3, 0
	s_mov_b32 s9, 0xbc8f1391
	s_mov_b32 s10, 0xbc8f
	s_brev_b32 s11, 12
	s_mov_b32 s18, 0xf800000
	v_mov_b32_e32 v2, 0x260
.LBB29_622:                             ; =>This Inner Loop Header: Depth=1
	v_mul_hi_u32 v5, v4, s9
	v_lshrrev_b32_e32 v5, 15, v5
	v_mul_u32_u24_e32 v11, 0xadc8, v5
	v_sub_u32_e32 v4, v4, v11
	v_mul_u32_u24_e32 v5, 0xd47, v5
	v_mul_lo_u32 v4, v4, s10
	v_xor_b32_e32 v11, 0x7fffffff, v5
	v_sub_u32_e32 v12, 0, v5
	v_cmp_lt_u32_e32 vcc, v4, v5
	v_cndmask_b32_e32 v5, v12, v11, vcc
	v_add_u32_e32 v4, v5, v4
	v_mul_hi_u32 v11, v4, s9
	v_lshrrev_b32_e32 v11, 15, v11
	v_mul_u32_u24_e32 v12, 0xadc8, v11
	v_add_u32_e32 v5, -1, v4
	v_sub_u32_e32 v4, v4, v12
	v_mul_u32_u24_e32 v11, 0xd47, v11
	v_mul_lo_u32 v4, v4, s10
	v_xor_b32_e32 v12, 0x7fffffff, v11
	v_sub_u32_e32 v13, 0, v11
	v_cmp_lt_u32_e32 vcc, v4, v11
	v_cndmask_b32_e32 v11, v13, v12, vcc
	v_add_u32_e32 v4, v11, v4
	v_mul_hi_u32 v12, v4, s9
	v_add_u32_e32 v11, -1, v4
	v_lshrrev_b32_e32 v12, 15, v12
	v_cvt_f32_u32_e32 v11, v11
	v_mul_u32_u24_e32 v13, 0xadc8, v12
	v_cvt_f32_u32_e32 v5, v5
	v_sub_u32_e32 v4, v4, v13
	v_mul_u32_u24_e32 v12, 0xd47, v12
	v_mul_lo_u32 v4, v4, s10
	v_xor_b32_e32 v13, 0x7fffffff, v12
	v_sub_u32_e32 v18, 0, v12
	v_cmp_lt_u32_e32 vcc, v4, v12
	v_fma_f32 v11, v11, s11, 0
	v_cndmask_b32_e32 v12, v18, v13, vcc
	v_fma_f32 v5, v5, s11, 0
	v_mul_f32_e32 v11, v11, v11
	v_add_u32_e32 v4, v12, v4
	v_fmac_f32_e32 v11, v5, v5
	v_mul_hi_u32 v12, v4, s9
	v_mul_f32_e32 v13, 0x4f800000, v11
	v_lshrrev_b32_e32 v12, 15, v12
	v_cmp_gt_f32_e32 vcc, s18, v11
	v_cndmask_b32_e32 v11, v11, v13, vcc
	v_mul_u32_u24_e32 v13, 0xadc8, v12
	v_add_u32_e32 v5, -1, v4
	v_sqrt_f32_e32 v18, v11
	v_sub_u32_e32 v4, v4, v13
	v_mul_u32_u24_e32 v12, 0xd47, v12
	v_mul_lo_u32 v4, v4, s10
	v_xor_b32_e32 v13, 0x7fffffff, v12
	v_sub_u32_e32 v19, 0, v12
	v_cmp_lt_u32_e64 s[4:5], v4, v12
	v_cndmask_b32_e64 v12, v19, v13, s[4:5]
	v_add_u32_e32 v4, v12, v4
	v_add_u32_e32 v12, -1, v18
	v_add_u32_e32 v13, 1, v18
	v_add_u32_e32 v19, -1, v4
	v_fma_f32 v20, -v12, v18, v11
	v_fma_f32 v21, -v13, v18, v11
	v_cvt_f32_u32_e32 v19, v19
	v_cmp_ge_f32_e64 s[4:5], 0, v20
	v_cvt_f32_u32_e32 v5, v5
	v_cndmask_b32_e64 v12, v18, v12, s[4:5]
	v_cmp_lt_f32_e64 s[4:5], 0, v21
	v_cndmask_b32_e64 v12, v12, v13, s[4:5]
	v_mul_f32_e32 v13, 0x37800000, v12
	v_cndmask_b32_e32 v12, v12, v13, vcc
	v_fma_f32 v13, v19, s11, 0
	v_cmp_class_f32_e32 vcc, v11, v2
	v_fma_f32 v5, v5, s11, 0
	v_cndmask_b32_e32 v11, v12, v11, vcc
	v_mul_f32_e32 v12, v13, v13
	v_add_f32_e32 v10, 1.0, v3
	v_cmp_nge_f32_e32 vcc, 1.0, v11
	v_fmac_f32_e32 v12, v5, v5
	v_cndmask_b32_e32 v3, v10, v3, vcc
	v_mul_f32_e32 v5, 0x4f800000, v12
	v_cmp_gt_f32_e32 vcc, s18, v12
	v_cndmask_b32_e32 v5, v12, v5, vcc
	v_sqrt_f32_e32 v11, v5
	s_add_i32 s8, s8, -2
	v_add_f32_e32 v10, 1.0, v3
	s_cmp_lg_u32 s8, 0
	v_add_u32_e32 v12, -1, v11
	v_add_u32_e32 v13, 1, v11
	v_fma_f32 v18, -v12, v11, v5
	v_fma_f32 v19, -v13, v11, v5
	v_cmp_ge_f32_e64 s[4:5], 0, v18
	v_cndmask_b32_e64 v11, v11, v12, s[4:5]
	v_cmp_lt_f32_e64 s[4:5], 0, v19
	v_cndmask_b32_e64 v11, v11, v13, s[4:5]
	v_mul_f32_e32 v12, 0x37800000, v11
	v_cndmask_b32_e32 v11, v11, v12, vcc
	v_cmp_class_f32_e32 vcc, v5, v2
	v_cndmask_b32_e32 v5, v11, v5, vcc
	v_cmp_nge_f32_e32 vcc, 1.0, v5
	v_cndmask_b32_e32 v3, v10, v3, vcc
	s_cbranch_scc1 .LBB29_622
; %bb.623:
	v_mul_f32_e32 v2, 4.0, v3
	s_mov_b32 s8, 0x459c4000
	v_div_scale_f32 v3, s[4:5], s8, s8, v2
	v_rcp_f32_e32 v4, v3
	v_fma_f32 v5, -v3, v4, 1.0
	v_fmac_f32_e32 v4, v5, v4
	v_div_scale_f32 v5, vcc, v2, s8, v2
	v_mul_f32_e32 v10, v5, v4
	v_fma_f32 v11, -v3, v10, v5
	v_fmac_f32_e32 v10, v11, v4
	v_fma_f32 v3, -v3, v10, v5
	v_div_fmas_f32 v3, v3, v4, v10
	v_div_fixup_f32 v2, v3, s8, v2
.LBB29_624:
	s_or_b64 exec, exec, s[6:7]
	v_add_u32_e32 v10, 0x80, v15
	v_cmp_lt_u32_e64 s[4:5], v10, v16
	s_and_saveexec_b64 s[8:9], s[4:5]
	s_cbranch_execz .LBB29_673
; %bb.625:
	v_add_u32_e32 v3, v17, v10
	s_movk_i32 s6, 0x1388
	v_mul_lo_u32 v10, v3, s6
	v_cmp_ne_u32_e32 vcc, 0, v10
	v_mov_b32_e32 v11, 1
	s_and_saveexec_b64 s[10:11], vcc
	s_cbranch_execz .LBB29_670
; %bb.626:
	v_mov_b32_e32 v12, 1
	v_mov_b32_e32 v11, 0
	s_mov_b64 s[20:21], 0xbc8f
	s_mov_b64 s[18:19], 0
	v_mov_b32_e32 v13, 0
	s_brev_b32 s24, -2
	s_mov_b32 s25, 0x7ffffffe
	v_mov_b32_e32 v3, 0xfffff800
	s_movk_i32 s26, 0x401
	s_branch .LBB29_628
.LBB29_627:                             ;   in Loop: Header=BB29_628 Depth=1
	s_or_b64 exec, exec, s[22:23]
	s_mul_i32 s6, s20, s21
	s_mul_hi_u32 s7, s20, s20
	s_add_i32 s7, s7, s6
	s_add_i32 s6, s7, s6
	s_mul_i32 s7, s20, s20
	s_add_u32 s20, 0x402, s26
	s_addc_u32 s21, 0, 0
	v_add_co_u32_e32 v20, vcc, s20, v3
	s_cmp_lg_u64 vcc, 0
	v_readfirstlane_b32 s22, v20
	s_addc_u32 s20, s21, 1
	s_mul_hi_u32 s23, s22, 0x80000001
	s_mul_i32 s21, s20, 0x80000001
	s_sub_i32 s23, s23, s22
	s_add_i32 s23, s23, s21
	s_mul_i32 s28, s22, 0x80000001
	s_mul_hi_u32 s21, s22, s23
	s_mul_i32 s27, s22, s23
	s_mul_hi_u32 s22, s22, s28
	s_add_u32 s22, s22, s27
	s_addc_u32 s21, 0, s21
	s_mul_hi_u32 s29, s20, s28
	s_mul_i32 s28, s20, s28
	s_add_u32 s22, s22, s28
	s_mul_hi_u32 s27, s20, s23
	s_addc_u32 s21, s21, s29
	s_addc_u32 s22, s27, 0
	s_mul_i32 s23, s20, s23
	s_add_u32 s21, s21, s23
	s_addc_u32 s22, 0, s22
	v_add_co_u32_e32 v20, vcc, s21, v20
	s_cmp_lg_u64 vcc, 0
	s_addc_u32 s20, s20, s22
	v_readfirstlane_b32 s23, v20
	s_mul_i32 s22, s7, s20
	s_mul_hi_u32 s27, s7, s23
	s_mul_hi_u32 s21, s7, s20
	s_add_u32 s22, s27, s22
	s_addc_u32 s21, 0, s21
	s_mul_hi_u32 s28, s6, s23
	s_mul_i32 s23, s6, s23
	s_add_u32 s22, s22, s23
	s_mul_hi_u32 s27, s6, s20
	s_addc_u32 s21, s21, s28
	s_addc_u32 s22, s27, 0
	s_mul_i32 s20, s6, s20
	s_add_u32 s20, s21, s20
	s_addc_u32 s21, 0, s22
	s_mul_hi_u32 s22, s20, 0x7fffffff
	s_mul_i32 s20, s20, 0x7fffffff
	s_mul_i32 s21, s21, 0x7fffffff
	v_mov_b32_e32 v20, s20
	s_add_i32 s22, s22, s21
	v_sub_co_u32_e32 v20, vcc, s7, v20
	s_cmp_lg_u64 vcc, 0
	s_subb_u32 s6, s6, s22
	v_subrev_co_u32_e32 v21, vcc, s24, v20
	s_cmp_lg_u64 vcc, 0
	s_subb_u32 s7, s6, 0
	v_subrev_co_u32_e32 v22, vcc, s24, v21
	s_cmp_lg_u64 vcc, 0
	s_subb_u32 s20, s7, 0
	v_readfirstlane_b32 s21, v21
	s_cmp_gt_u32 s21, 0x7ffffffe
	s_cselect_b32 s22, -1, 0
	s_cmp_eq_u32 s7, 0
	s_cselect_b32 s22, s22, -1
	s_cmp_lg_u32 s22, 0
	s_cselect_b32 s7, s20, s7
	v_readfirstlane_b32 s20, v22
	v_readfirstlane_b32 s22, v20
	s_cselect_b32 s20, s20, s21
	s_cmp_gt_u32 s22, 0x7ffffffe
	s_cselect_b32 s21, -1, 0
	s_cmp_eq_u32 s6, 0
	s_cselect_b32 s21, s21, -1
	v_lshrrev_b64 v[18:19], 1, v[10:11]
	s_cmp_lg_u32 s21, 0
	v_cmp_gt_u64_e32 vcc, 2, v[10:11]
	s_cselect_b32 s21, s7, s6
	s_cselect_b32 s20, s20, s22
	s_or_b64 s[18:19], vcc, s[18:19]
	v_pk_mov_b32 v[10:11], v[18:19], v[18:19] op_sel:[0,1]
	s_andn2_b64 exec, exec, s[18:19]
	s_cbranch_execz .LBB29_669
.LBB29_628:                             ; =>This Inner Loop Header: Depth=1
	v_and_b32_e32 v18, 1, v10
	v_cmp_eq_u32_e32 vcc, 1, v18
	s_and_saveexec_b64 s[22:23], vcc
	s_cbranch_execz .LBB29_627
; %bb.629:                              ;   in Loop: Header=BB29_628 Depth=1
	v_mul_lo_u32 v18, s21, v12
	v_mul_lo_u32 v19, s20, v13
	v_mad_u64_u32 v[12:13], s[6:7], s20, v12, 0
	s_add_u32 s6, 0x402, s26
	v_add3_u32 v13, v13, v19, v18
	s_addc_u32 s7, 0, 0
	v_add_co_u32_e32 v18, vcc, s6, v3
	s_cmp_lg_u64 vcc, 0
	v_readfirstlane_b32 s27, v18
	s_addc_u32 s6, s7, 1
	s_mul_hi_u32 s28, s27, 0x80000001
	s_mul_i32 s7, s6, 0x80000001
	s_sub_i32 s28, s28, s27
	s_add_i32 s28, s28, s7
	s_mul_i32 vcc_lo, s27, 0x80000001
	s_mul_hi_u32 s7, s27, s28
	s_mul_i32 s29, s27, s28
	s_mul_hi_u32 s27, s27, vcc_lo
	s_add_u32 s27, s27, s29
	s_addc_u32 s7, 0, s7
	s_mul_hi_u32 vcc_hi, s6, vcc_lo
	s_mul_i32 vcc_lo, s6, vcc_lo
	s_add_u32 s27, s27, vcc_lo
	s_mul_hi_u32 s29, s6, s28
	s_addc_u32 s7, s7, vcc_hi
	s_addc_u32 s27, s29, 0
	s_mul_i32 s28, s6, s28
	s_add_u32 s7, s7, s28
	s_addc_u32 s27, 0, s27
	v_add_co_u32_e32 v20, vcc, s7, v18
	s_cmp_lg_u64 vcc, 0
	s_addc_u32 s27, s6, s27
	v_mad_u64_u32 v[18:19], s[6:7], v12, s27, 0
	v_mul_hi_u32 v21, v12, v20
	v_add_co_u32_e32 v22, vcc, v21, v18
	v_addc_co_u32_e32 v23, vcc, 0, v19, vcc
	v_mad_u64_u32 v[20:21], s[6:7], v13, v20, 0
	v_add_co_u32_e32 v20, vcc, v22, v20
	v_mad_u64_u32 v[18:19], s[6:7], v13, s27, 0
	v_addc_co_u32_e32 v20, vcc, v23, v21, vcc
	v_addc_co_u32_e32 v19, vcc, 0, v19, vcc
	v_add_co_u32_e32 v18, vcc, v20, v18
	v_addc_co_u32_e32 v21, vcc, 0, v19, vcc
	v_mad_u64_u32 v[18:19], s[6:7], v18, s24, 0
	v_mov_b32_e32 v20, v19
	v_mad_u64_u32 v[20:21], s[6:7], v21, s24, v[20:21]
	v_sub_co_u32_e32 v12, vcc, v12, v18
	v_subb_co_u32_e32 v13, vcc, v13, v20, vcc
	v_subrev_co_u32_e32 v18, vcc, s24, v12
	v_subbrev_co_u32_e32 v19, vcc, 0, v13, vcc
	v_subrev_co_u32_e32 v20, vcc, s24, v18
	v_subbrev_co_u32_e32 v21, vcc, 0, v19, vcc
	v_cmp_lt_u32_e32 vcc, s25, v18
	v_cndmask_b32_e64 v22, 0, -1, vcc
	v_cmp_eq_u32_e32 vcc, 0, v19
	v_cndmask_b32_e32 v22, -1, v22, vcc
	v_cmp_ne_u32_e32 vcc, 0, v22
	v_cmp_lt_u32_e64 s[6:7], s25, v12
	v_cndmask_b32_e32 v19, v19, v21, vcc
	v_cndmask_b32_e64 v21, 0, -1, s[6:7]
	v_cmp_eq_u32_e64 s[6:7], 0, v13
	v_cndmask_b32_e64 v21, -1, v21, s[6:7]
	v_cmp_ne_u32_e64 s[6:7], 0, v21
	v_cndmask_b32_e32 v18, v18, v20, vcc
	v_cndmask_b32_e64 v13, v13, v19, s[6:7]
	v_cndmask_b32_e64 v12, v12, v18, s[6:7]
	s_branch .LBB29_627
.LBB29_630:
	s_or_b64 exec, exec, s[10:11]
	s_movk_i32 s4, 0x401
	s_add_u32 s4, 0x402, s4
	v_mov_b32_e32 v2, 0xfffff800
	s_addc_u32 s5, 0, 0
	v_add_co_u32_e32 v2, vcc, s4, v2
	s_cmp_lg_u64 vcc, 0
	v_readfirstlane_b32 s10, v2
	s_addc_u32 s4, s5, 1
	s_mul_hi_u32 s11, s10, 0x80000001
	s_mul_i32 s5, s4, 0x80000001
	s_sub_i32 s11, s11, s10
	s_add_i32 s11, s11, s5
	s_mul_i32 s15, s10, 0x80000001
	s_mul_hi_u32 s5, s10, s11
	s_mul_i32 s14, s10, s11
	s_mul_hi_u32 s10, s10, s15
	s_add_u32 s10, s10, s14
	s_addc_u32 s5, 0, s5
	s_mul_hi_u32 s16, s4, s15
	s_mul_i32 s15, s4, s15
	s_add_u32 s10, s10, s15
	s_mul_hi_u32 s14, s4, s11
	s_addc_u32 s5, s5, s16
	s_addc_u32 s10, s14, 0
	s_mul_i32 s11, s4, s11
	s_add_u32 s5, s5, s11
	s_addc_u32 s10, 0, s10
	v_add_co_u32_e32 v6, vcc, s5, v2
	s_cmp_lg_u64 vcc, 0
	s_addc_u32 s10, s4, s10
	v_mad_u64_u32 v[2:3], s[4:5], v4, s10, 0
	v_mul_hi_u32 v7, v4, v6
	v_add_co_u32_e32 v8, vcc, v7, v2
	v_addc_co_u32_e32 v9, vcc, 0, v3, vcc
	v_mad_u64_u32 v[6:7], s[4:5], v5, v6, 0
	v_add_co_u32_e32 v6, vcc, v8, v6
	v_mad_u64_u32 v[2:3], s[4:5], v5, s10, 0
	v_addc_co_u32_e32 v6, vcc, v9, v7, vcc
	v_addc_co_u32_e32 v3, vcc, 0, v3, vcc
	v_add_co_u32_e32 v2, vcc, v6, v2
	s_brev_b32 s10, -2
	v_addc_co_u32_e32 v7, vcc, 0, v3, vcc
	v_mad_u64_u32 v[2:3], s[4:5], v2, s10, 0
	v_mov_b32_e32 v6, v3
	v_mad_u64_u32 v[6:7], s[4:5], v7, s10, v[6:7]
	v_sub_co_u32_e32 v2, vcc, v4, v2
	v_subb_co_u32_e32 v3, vcc, v5, v6, vcc
	v_subrev_co_u32_e32 v4, vcc, 0x7fffffff, v2
	v_subbrev_co_u32_e32 v5, vcc, 0, v3, vcc
	s_mov_b32 s4, 0x7ffffffe
	v_cmp_lt_u32_e32 vcc, s4, v4
	v_cndmask_b32_e64 v6, 0, -1, vcc
	v_cmp_eq_u32_e32 vcc, 0, v5
	v_cndmask_b32_e32 v5, -1, v6, vcc
	v_add_u32_e32 v6, 0x80000001, v4
	v_cmp_ne_u32_e32 vcc, 0, v5
	v_cndmask_b32_e32 v4, v4, v6, vcc
	v_cmp_lt_u32_e32 vcc, s4, v2
	v_cndmask_b32_e64 v5, 0, -1, vcc
	v_cmp_eq_u32_e32 vcc, 0, v3
	v_cndmask_b32_e32 v3, -1, v5, vcc
	v_cmp_ne_u32_e32 vcc, 0, v3
	v_cndmask_b32_e32 v4, v2, v4, vcc
.LBB29_631:
	s_or_b64 exec, exec, s[8:9]
	s_movk_i32 s8, 0x1388
	v_mov_b32_e32 v3, 0
	s_mov_b32 s9, 0xbc8f1391
	s_mov_b32 s10, 0xbc8f
	s_brev_b32 s11, 12
	s_mov_b32 s14, 0xf800000
	v_mov_b32_e32 v2, 0x260
.LBB29_632:                             ; =>This Inner Loop Header: Depth=1
	v_mul_hi_u32 v5, v4, s9
	v_lshrrev_b32_e32 v5, 15, v5
	v_mul_u32_u24_e32 v7, 0xadc8, v5
	v_sub_u32_e32 v4, v4, v7
	v_mul_u32_u24_e32 v5, 0xd47, v5
	v_mul_lo_u32 v4, v4, s10
	v_xor_b32_e32 v7, 0x7fffffff, v5
	v_sub_u32_e32 v8, 0, v5
	v_cmp_lt_u32_e32 vcc, v4, v5
	v_cndmask_b32_e32 v5, v8, v7, vcc
	v_add_u32_e32 v4, v5, v4
	v_mul_hi_u32 v7, v4, s9
	v_lshrrev_b32_e32 v7, 15, v7
	v_mul_u32_u24_e32 v8, 0xadc8, v7
	v_add_u32_e32 v5, -1, v4
	v_sub_u32_e32 v4, v4, v8
	v_mul_u32_u24_e32 v7, 0xd47, v7
	v_mul_lo_u32 v4, v4, s10
	v_xor_b32_e32 v8, 0x7fffffff, v7
	v_sub_u32_e32 v9, 0, v7
	v_cmp_lt_u32_e32 vcc, v4, v7
	v_cndmask_b32_e32 v7, v9, v8, vcc
	v_add_u32_e32 v4, v7, v4
	v_mul_hi_u32 v8, v4, s9
	v_add_u32_e32 v7, -1, v4
	v_lshrrev_b32_e32 v8, 15, v8
	v_cvt_f32_u32_e32 v7, v7
	v_mul_u32_u24_e32 v9, 0xadc8, v8
	v_cvt_f32_u32_e32 v5, v5
	v_sub_u32_e32 v4, v4, v9
	v_mul_u32_u24_e32 v8, 0xd47, v8
	v_mul_lo_u32 v4, v4, s10
	v_xor_b32_e32 v9, 0x7fffffff, v8
	v_sub_u32_e32 v14, 0, v8
	v_cmp_lt_u32_e32 vcc, v4, v8
	v_fma_f32 v7, v7, s11, 0
	v_cndmask_b32_e32 v8, v14, v9, vcc
	v_fma_f32 v5, v5, s11, 0
	v_mul_f32_e32 v7, v7, v7
	v_add_u32_e32 v4, v8, v4
	v_fmac_f32_e32 v7, v5, v5
	v_mul_hi_u32 v8, v4, s9
	v_mul_f32_e32 v9, 0x4f800000, v7
	v_lshrrev_b32_e32 v8, 15, v8
	v_cmp_gt_f32_e32 vcc, s14, v7
	v_cndmask_b32_e32 v7, v7, v9, vcc
	v_mul_u32_u24_e32 v9, 0xadc8, v8
	v_add_u32_e32 v5, -1, v4
	v_sqrt_f32_e32 v14, v7
	v_sub_u32_e32 v4, v4, v9
	v_mul_u32_u24_e32 v8, 0xd47, v8
	v_mul_lo_u32 v4, v4, s10
	v_xor_b32_e32 v9, 0x7fffffff, v8
	v_sub_u32_e32 v15, 0, v8
	v_cmp_lt_u32_e64 s[4:5], v4, v8
	v_cndmask_b32_e64 v8, v15, v9, s[4:5]
	v_add_u32_e32 v4, v8, v4
	v_add_u32_e32 v8, -1, v14
	v_add_u32_e32 v9, 1, v14
	v_add_u32_e32 v15, -1, v4
	v_fma_f32 v16, -v8, v14, v7
	v_fma_f32 v17, -v9, v14, v7
	v_cvt_f32_u32_e32 v15, v15
	v_cmp_ge_f32_e64 s[4:5], 0, v16
	v_cvt_f32_u32_e32 v5, v5
	v_cndmask_b32_e64 v8, v14, v8, s[4:5]
	v_cmp_lt_f32_e64 s[4:5], 0, v17
	v_cndmask_b32_e64 v8, v8, v9, s[4:5]
	v_mul_f32_e32 v9, 0x37800000, v8
	v_cndmask_b32_e32 v8, v8, v9, vcc
	v_fma_f32 v9, v15, s11, 0
	v_cmp_class_f32_e32 vcc, v7, v2
	v_fma_f32 v5, v5, s11, 0
	v_cndmask_b32_e32 v7, v8, v7, vcc
	v_mul_f32_e32 v8, v9, v9
	v_add_f32_e32 v6, 1.0, v3
	v_cmp_nge_f32_e32 vcc, 1.0, v7
	v_fmac_f32_e32 v8, v5, v5
	v_cndmask_b32_e32 v3, v6, v3, vcc
	v_mul_f32_e32 v5, 0x4f800000, v8
	v_cmp_gt_f32_e32 vcc, s14, v8
	v_cndmask_b32_e32 v5, v8, v5, vcc
	v_sqrt_f32_e32 v7, v5
	s_add_i32 s8, s8, -2
	v_add_f32_e32 v6, 1.0, v3
	s_cmp_lg_u32 s8, 0
	v_add_u32_e32 v8, -1, v7
	v_add_u32_e32 v9, 1, v7
	v_fma_f32 v14, -v8, v7, v5
	v_fma_f32 v15, -v9, v7, v5
	v_cmp_ge_f32_e64 s[4:5], 0, v14
	v_cndmask_b32_e64 v7, v7, v8, s[4:5]
	v_cmp_lt_f32_e64 s[4:5], 0, v15
	v_cndmask_b32_e64 v7, v7, v9, s[4:5]
	v_mul_f32_e32 v8, 0x37800000, v7
	v_cndmask_b32_e32 v7, v7, v8, vcc
	v_cmp_class_f32_e32 vcc, v5, v2
	v_cndmask_b32_e32 v5, v7, v5, vcc
	v_cmp_nge_f32_e32 vcc, 1.0, v5
	v_cndmask_b32_e32 v3, v6, v3, vcc
	s_cbranch_scc1 .LBB29_632
; %bb.633:
	v_mul_f32_e32 v2, 4.0, v3
	s_mov_b32 s8, 0x459c4000
	v_div_scale_f32 v3, s[4:5], s8, s8, v2
	v_rcp_f32_e32 v4, v3
	v_fma_f32 v5, -v3, v4, 1.0
	v_fmac_f32_e32 v4, v5, v4
	v_div_scale_f32 v5, vcc, v2, s8, v2
	v_mul_f32_e32 v6, v5, v4
	v_fma_f32 v7, -v3, v6, v5
	v_fmac_f32_e32 v6, v7, v4
	v_fma_f32 v3, -v3, v6, v5
	v_div_fmas_f32 v3, v3, v4, v6
	v_div_fixup_f32 v2, v3, s8, v2
.LBB29_634:
	s_or_b64 exec, exec, s[6:7]
	v_add_u32_e32 v14, 0x80, v19
	v_cmp_lt_u32_e64 s[4:5], v14, v20
	s_and_saveexec_b64 s[8:9], s[4:5]
	s_cbranch_execz .LBB29_683
; %bb.635:
	v_add_u32_e32 v3, v21, v14
	s_movk_i32 s6, 0x1388
	v_mul_lo_u32 v14, v3, s6
	v_cmp_ne_u32_e32 vcc, 0, v14
	v_mov_b32_e32 v15, 1
	s_and_saveexec_b64 s[10:11], vcc
	s_cbranch_execz .LBB29_680
; %bb.636:
	v_mov_b32_e32 v16, 1
	v_mov_b32_e32 v15, 0
	s_mov_b64 s[16:17], 0xbc8f
	s_mov_b64 s[14:15], 0
	v_mov_b32_e32 v17, 0
	s_brev_b32 s20, -2
	s_mov_b32 s21, 0x7ffffffe
	v_mov_b32_e32 v3, 0xfffff800
	s_movk_i32 s26, 0x401
	s_branch .LBB29_638
.LBB29_637:                             ;   in Loop: Header=BB29_638 Depth=1
	s_or_b64 exec, exec, s[18:19]
	s_mul_i32 s6, s16, s17
	s_mul_hi_u32 s7, s16, s16
	s_add_i32 s7, s7, s6
	s_add_i32 s6, s7, s6
	s_mul_i32 s7, s16, s16
	s_add_u32 s16, 0x402, s26
	s_addc_u32 s17, 0, 0
	v_add_co_u32_e32 v24, vcc, s16, v3
	s_cmp_lg_u64 vcc, 0
	v_readfirstlane_b32 s18, v24
	s_addc_u32 s16, s17, 1
	s_mul_hi_u32 s19, s18, 0x80000001
	s_mul_i32 s17, s16, 0x80000001
	s_sub_i32 s19, s19, s18
	s_add_i32 s19, s19, s17
	s_mul_i32 s28, s18, 0x80000001
	s_mul_hi_u32 s17, s18, s19
	s_mul_i32 s27, s18, s19
	s_mul_hi_u32 s18, s18, s28
	s_add_u32 s18, s18, s27
	s_addc_u32 s17, 0, s17
	s_mul_hi_u32 s29, s16, s28
	s_mul_i32 s28, s16, s28
	s_add_u32 s18, s18, s28
	s_mul_hi_u32 s27, s16, s19
	s_addc_u32 s17, s17, s29
	s_addc_u32 s18, s27, 0
	s_mul_i32 s19, s16, s19
	s_add_u32 s17, s17, s19
	s_addc_u32 s18, 0, s18
	v_add_co_u32_e32 v24, vcc, s17, v24
	s_cmp_lg_u64 vcc, 0
	s_addc_u32 s16, s16, s18
	v_readfirstlane_b32 s19, v24
	s_mul_i32 s18, s7, s16
	s_mul_hi_u32 s27, s7, s19
	s_mul_hi_u32 s17, s7, s16
	s_add_u32 s18, s27, s18
	s_addc_u32 s17, 0, s17
	s_mul_hi_u32 s28, s6, s19
	s_mul_i32 s19, s6, s19
	s_add_u32 s18, s18, s19
	s_mul_hi_u32 s27, s6, s16
	s_addc_u32 s17, s17, s28
	s_addc_u32 s18, s27, 0
	s_mul_i32 s16, s6, s16
	s_add_u32 s16, s17, s16
	s_addc_u32 s17, 0, s18
	s_mul_hi_u32 s18, s16, 0x7fffffff
	s_mul_i32 s16, s16, 0x7fffffff
	s_mul_i32 s17, s17, 0x7fffffff
	v_mov_b32_e32 v24, s16
	s_add_i32 s18, s18, s17
	v_sub_co_u32_e32 v24, vcc, s7, v24
	s_cmp_lg_u64 vcc, 0
	s_subb_u32 s6, s6, s18
	v_subrev_co_u32_e32 v25, vcc, s20, v24
	s_cmp_lg_u64 vcc, 0
	s_subb_u32 s7, s6, 0
	v_subrev_co_u32_e32 v26, vcc, s20, v25
	s_cmp_lg_u64 vcc, 0
	s_subb_u32 s16, s7, 0
	v_readfirstlane_b32 s17, v25
	s_cmp_gt_u32 s17, 0x7ffffffe
	s_cselect_b32 s18, -1, 0
	s_cmp_eq_u32 s7, 0
	s_cselect_b32 s18, s18, -1
	s_cmp_lg_u32 s18, 0
	s_cselect_b32 s7, s16, s7
	v_readfirstlane_b32 s16, v26
	v_readfirstlane_b32 s18, v24
	s_cselect_b32 s16, s16, s17
	s_cmp_gt_u32 s18, 0x7ffffffe
	s_cselect_b32 s17, -1, 0
	s_cmp_eq_u32 s6, 0
	s_cselect_b32 s17, s17, -1
	v_lshrrev_b64 v[22:23], 1, v[14:15]
	s_cmp_lg_u32 s17, 0
	v_cmp_gt_u64_e32 vcc, 2, v[14:15]
	s_cselect_b32 s17, s7, s6
	s_cselect_b32 s16, s16, s18
	s_or_b64 s[14:15], vcc, s[14:15]
	v_pk_mov_b32 v[14:15], v[22:23], v[22:23] op_sel:[0,1]
	s_andn2_b64 exec, exec, s[14:15]
	s_cbranch_execz .LBB29_679
.LBB29_638:                             ; =>This Inner Loop Header: Depth=1
	v_and_b32_e32 v22, 1, v14
	v_cmp_eq_u32_e32 vcc, 1, v22
	s_and_saveexec_b64 s[18:19], vcc
	s_cbranch_execz .LBB29_637
; %bb.639:                              ;   in Loop: Header=BB29_638 Depth=1
	v_mul_lo_u32 v22, s17, v16
	v_mul_lo_u32 v23, s16, v17
	v_mad_u64_u32 v[16:17], s[6:7], s16, v16, 0
	s_add_u32 s6, 0x402, s26
	v_add3_u32 v17, v17, v23, v22
	s_addc_u32 s7, 0, 0
	v_add_co_u32_e32 v22, vcc, s6, v3
	s_cmp_lg_u64 vcc, 0
	v_readfirstlane_b32 s27, v22
	s_addc_u32 s6, s7, 1
	s_mul_hi_u32 s28, s27, 0x80000001
	s_mul_i32 s7, s6, 0x80000001
	s_sub_i32 s28, s28, s27
	s_add_i32 s28, s28, s7
	s_mul_i32 vcc_lo, s27, 0x80000001
	s_mul_hi_u32 s7, s27, s28
	s_mul_i32 s29, s27, s28
	s_mul_hi_u32 s27, s27, vcc_lo
	s_add_u32 s27, s27, s29
	s_addc_u32 s7, 0, s7
	s_mul_hi_u32 vcc_hi, s6, vcc_lo
	s_mul_i32 vcc_lo, s6, vcc_lo
	s_add_u32 s27, s27, vcc_lo
	s_mul_hi_u32 s29, s6, s28
	s_addc_u32 s7, s7, vcc_hi
	s_addc_u32 s27, s29, 0
	s_mul_i32 s28, s6, s28
	s_add_u32 s7, s7, s28
	s_addc_u32 s27, 0, s27
	v_add_co_u32_e32 v24, vcc, s7, v22
	s_cmp_lg_u64 vcc, 0
	s_addc_u32 s27, s6, s27
	v_mad_u64_u32 v[22:23], s[6:7], v16, s27, 0
	v_mul_hi_u32 v25, v16, v24
	v_add_co_u32_e32 v26, vcc, v25, v22
	v_addc_co_u32_e32 v27, vcc, 0, v23, vcc
	v_mad_u64_u32 v[24:25], s[6:7], v17, v24, 0
	v_add_co_u32_e32 v24, vcc, v26, v24
	v_mad_u64_u32 v[22:23], s[6:7], v17, s27, 0
	v_addc_co_u32_e32 v24, vcc, v27, v25, vcc
	v_addc_co_u32_e32 v23, vcc, 0, v23, vcc
	v_add_co_u32_e32 v22, vcc, v24, v22
	v_addc_co_u32_e32 v25, vcc, 0, v23, vcc
	v_mad_u64_u32 v[22:23], s[6:7], v22, s20, 0
	v_mov_b32_e32 v24, v23
	v_mad_u64_u32 v[24:25], s[6:7], v25, s20, v[24:25]
	v_sub_co_u32_e32 v16, vcc, v16, v22
	v_subb_co_u32_e32 v17, vcc, v17, v24, vcc
	v_subrev_co_u32_e32 v22, vcc, s20, v16
	v_subbrev_co_u32_e32 v23, vcc, 0, v17, vcc
	v_subrev_co_u32_e32 v24, vcc, s20, v22
	v_subbrev_co_u32_e32 v25, vcc, 0, v23, vcc
	v_cmp_lt_u32_e32 vcc, s21, v22
	v_cndmask_b32_e64 v26, 0, -1, vcc
	v_cmp_eq_u32_e32 vcc, 0, v23
	v_cndmask_b32_e32 v26, -1, v26, vcc
	v_cmp_ne_u32_e32 vcc, 0, v26
	v_cmp_lt_u32_e64 s[6:7], s21, v16
	v_cndmask_b32_e32 v23, v23, v25, vcc
	v_cndmask_b32_e64 v25, 0, -1, s[6:7]
	v_cmp_eq_u32_e64 s[6:7], 0, v17
	v_cndmask_b32_e64 v25, -1, v25, s[6:7]
	v_cmp_ne_u32_e64 s[6:7], 0, v25
	v_cndmask_b32_e32 v22, v22, v24, vcc
	v_cndmask_b32_e64 v17, v17, v23, s[6:7]
	v_cndmask_b32_e64 v16, v16, v22, s[6:7]
	s_branch .LBB29_637
.LBB29_640:
	s_or_b64 exec, exec, s[10:11]
	s_movk_i32 s4, 0x401
	s_add_u32 s4, 0x402, s4
	v_mov_b32_e32 v2, 0xfffff800
	s_addc_u32 s5, 0, 0
	v_add_co_u32_e32 v2, vcc, s4, v2
	s_cmp_lg_u64 vcc, 0
	v_readfirstlane_b32 s10, v2
	s_addc_u32 s4, s5, 1
	s_mul_hi_u32 s11, s10, 0x80000001
	s_mul_i32 s5, s4, 0x80000001
	s_sub_i32 s11, s11, s10
	s_add_i32 s11, s11, s5
	s_mul_i32 s15, s10, 0x80000001
	s_mul_hi_u32 s5, s10, s11
	s_mul_i32 s14, s10, s11
	s_mul_hi_u32 s10, s10, s15
	s_add_u32 s10, s10, s14
	s_addc_u32 s5, 0, s5
	s_mul_hi_u32 s16, s4, s15
	s_mul_i32 s15, s4, s15
	s_add_u32 s10, s10, s15
	s_mul_hi_u32 s14, s4, s11
	s_addc_u32 s5, s5, s16
	s_addc_u32 s10, s14, 0
	s_mul_i32 s11, s4, s11
	s_add_u32 s5, s5, s11
	s_addc_u32 s10, 0, s10
	v_add_co_u32_e32 v6, vcc, s5, v2
	s_cmp_lg_u64 vcc, 0
	s_addc_u32 s10, s4, s10
	v_mad_u64_u32 v[2:3], s[4:5], v4, s10, 0
	v_mul_hi_u32 v7, v4, v6
	v_add_co_u32_e32 v8, vcc, v7, v2
	v_addc_co_u32_e32 v9, vcc, 0, v3, vcc
	v_mad_u64_u32 v[6:7], s[4:5], v5, v6, 0
	v_add_co_u32_e32 v6, vcc, v8, v6
	v_mad_u64_u32 v[2:3], s[4:5], v5, s10, 0
	v_addc_co_u32_e32 v6, vcc, v9, v7, vcc
	v_addc_co_u32_e32 v3, vcc, 0, v3, vcc
	v_add_co_u32_e32 v2, vcc, v6, v2
	s_brev_b32 s10, -2
	v_addc_co_u32_e32 v7, vcc, 0, v3, vcc
	v_mad_u64_u32 v[2:3], s[4:5], v2, s10, 0
	v_mov_b32_e32 v6, v3
	v_mad_u64_u32 v[6:7], s[4:5], v7, s10, v[6:7]
	v_sub_co_u32_e32 v2, vcc, v4, v2
	v_subb_co_u32_e32 v3, vcc, v5, v6, vcc
	v_subrev_co_u32_e32 v4, vcc, 0x7fffffff, v2
	v_subbrev_co_u32_e32 v5, vcc, 0, v3, vcc
	s_mov_b32 s4, 0x7ffffffe
	v_cmp_lt_u32_e32 vcc, s4, v4
	v_cndmask_b32_e64 v6, 0, -1, vcc
	v_cmp_eq_u32_e32 vcc, 0, v5
	v_cndmask_b32_e32 v5, -1, v6, vcc
	v_add_u32_e32 v6, 0x80000001, v4
	v_cmp_ne_u32_e32 vcc, 0, v5
	v_cndmask_b32_e32 v4, v4, v6, vcc
	v_cmp_lt_u32_e32 vcc, s4, v2
	v_cndmask_b32_e64 v5, 0, -1, vcc
	v_cmp_eq_u32_e32 vcc, 0, v3
	v_cndmask_b32_e32 v3, -1, v5, vcc
	v_cmp_ne_u32_e32 vcc, 0, v3
	v_cndmask_b32_e32 v4, v2, v4, vcc
.LBB29_641:
	s_or_b64 exec, exec, s[8:9]
	s_movk_i32 s8, 0x1388
	v_mov_b32_e32 v3, 0
	s_mov_b32 s9, 0xbc8f1391
	s_mov_b32 s10, 0xbc8f
	s_brev_b32 s11, 12
	s_mov_b32 s14, 0xf800000
	v_mov_b32_e32 v2, 0x260
.LBB29_642:                             ; =>This Inner Loop Header: Depth=1
	v_mul_hi_u32 v5, v4, s9
	v_lshrrev_b32_e32 v5, 15, v5
	v_mul_u32_u24_e32 v7, 0xadc8, v5
	v_sub_u32_e32 v4, v4, v7
	v_mul_u32_u24_e32 v5, 0xd47, v5
	v_mul_lo_u32 v4, v4, s10
	v_xor_b32_e32 v7, 0x7fffffff, v5
	v_sub_u32_e32 v8, 0, v5
	v_cmp_lt_u32_e32 vcc, v4, v5
	v_cndmask_b32_e32 v5, v8, v7, vcc
	v_add_u32_e32 v4, v5, v4
	v_mul_hi_u32 v7, v4, s9
	v_lshrrev_b32_e32 v7, 15, v7
	v_mul_u32_u24_e32 v8, 0xadc8, v7
	v_add_u32_e32 v5, -1, v4
	v_sub_u32_e32 v4, v4, v8
	v_mul_u32_u24_e32 v7, 0xd47, v7
	v_mul_lo_u32 v4, v4, s10
	v_xor_b32_e32 v8, 0x7fffffff, v7
	v_sub_u32_e32 v9, 0, v7
	v_cmp_lt_u32_e32 vcc, v4, v7
	v_cndmask_b32_e32 v7, v9, v8, vcc
	v_add_u32_e32 v4, v7, v4
	v_mul_hi_u32 v8, v4, s9
	v_add_u32_e32 v7, -1, v4
	v_lshrrev_b32_e32 v8, 15, v8
	v_cvt_f32_u32_e32 v7, v7
	v_mul_u32_u24_e32 v9, 0xadc8, v8
	v_cvt_f32_u32_e32 v5, v5
	v_sub_u32_e32 v4, v4, v9
	v_mul_u32_u24_e32 v8, 0xd47, v8
	v_mul_lo_u32 v4, v4, s10
	v_xor_b32_e32 v9, 0x7fffffff, v8
	v_sub_u32_e32 v10, 0, v8
	v_cmp_lt_u32_e32 vcc, v4, v8
	v_fma_f32 v7, v7, s11, 0
	v_cndmask_b32_e32 v8, v10, v9, vcc
	v_fma_f32 v5, v5, s11, 0
	v_mul_f32_e32 v7, v7, v7
	v_add_u32_e32 v4, v8, v4
	v_fmac_f32_e32 v7, v5, v5
	v_mul_hi_u32 v8, v4, s9
	v_mul_f32_e32 v9, 0x4f800000, v7
	v_lshrrev_b32_e32 v8, 15, v8
	v_cmp_gt_f32_e32 vcc, s14, v7
	v_cndmask_b32_e32 v7, v7, v9, vcc
	v_mul_u32_u24_e32 v9, 0xadc8, v8
	v_add_u32_e32 v5, -1, v4
	v_sqrt_f32_e32 v10, v7
	v_sub_u32_e32 v4, v4, v9
	v_mul_u32_u24_e32 v8, 0xd47, v8
	v_mul_lo_u32 v4, v4, s10
	v_xor_b32_e32 v9, 0x7fffffff, v8
	v_sub_u32_e32 v11, 0, v8
	v_cmp_lt_u32_e64 s[4:5], v4, v8
	v_cndmask_b32_e64 v8, v11, v9, s[4:5]
	v_add_u32_e32 v4, v8, v4
	v_add_u32_e32 v8, -1, v10
	v_add_u32_e32 v9, 1, v10
	v_add_u32_e32 v11, -1, v4
	v_fma_f32 v12, -v8, v10, v7
	v_fma_f32 v13, -v9, v10, v7
	v_cvt_f32_u32_e32 v11, v11
	v_cmp_ge_f32_e64 s[4:5], 0, v12
	v_cvt_f32_u32_e32 v5, v5
	v_cndmask_b32_e64 v8, v10, v8, s[4:5]
	v_cmp_lt_f32_e64 s[4:5], 0, v13
	v_cndmask_b32_e64 v8, v8, v9, s[4:5]
	v_mul_f32_e32 v9, 0x37800000, v8
	v_cndmask_b32_e32 v8, v8, v9, vcc
	v_fma_f32 v9, v11, s11, 0
	v_cmp_class_f32_e32 vcc, v7, v2
	v_fma_f32 v5, v5, s11, 0
	v_cndmask_b32_e32 v7, v8, v7, vcc
	v_mul_f32_e32 v8, v9, v9
	v_add_f32_e32 v6, 1.0, v3
	v_cmp_nge_f32_e32 vcc, 1.0, v7
	v_fmac_f32_e32 v8, v5, v5
	v_cndmask_b32_e32 v3, v6, v3, vcc
	v_mul_f32_e32 v5, 0x4f800000, v8
	v_cmp_gt_f32_e32 vcc, s14, v8
	v_cndmask_b32_e32 v5, v8, v5, vcc
	v_sqrt_f32_e32 v7, v5
	s_add_i32 s8, s8, -2
	v_add_f32_e32 v6, 1.0, v3
	s_cmp_lg_u32 s8, 0
	v_add_u32_e32 v8, -1, v7
	v_add_u32_e32 v9, 1, v7
	v_fma_f32 v10, -v8, v7, v5
	v_fma_f32 v11, -v9, v7, v5
	v_cmp_ge_f32_e64 s[4:5], 0, v10
	v_cndmask_b32_e64 v7, v7, v8, s[4:5]
	v_cmp_lt_f32_e64 s[4:5], 0, v11
	v_cndmask_b32_e64 v7, v7, v9, s[4:5]
	v_mul_f32_e32 v8, 0x37800000, v7
	v_cndmask_b32_e32 v7, v7, v8, vcc
	v_cmp_class_f32_e32 vcc, v5, v2
	v_cndmask_b32_e32 v5, v7, v5, vcc
	v_cmp_nge_f32_e32 vcc, 1.0, v5
	v_cndmask_b32_e32 v3, v6, v3, vcc
	s_cbranch_scc1 .LBB29_642
; %bb.643:
	v_mul_f32_e32 v2, 4.0, v3
	s_mov_b32 s8, 0x459c4000
	v_div_scale_f32 v3, s[4:5], s8, s8, v2
	v_rcp_f32_e32 v4, v3
	v_fma_f32 v5, -v3, v4, 1.0
	v_fmac_f32_e32 v4, v5, v4
	v_div_scale_f32 v5, vcc, v2, s8, v2
	v_mul_f32_e32 v6, v5, v4
	v_fma_f32 v7, -v3, v6, v5
	v_fmac_f32_e32 v6, v7, v4
	v_fma_f32 v3, -v3, v6, v5
	v_div_fmas_f32 v3, v3, v4, v6
	v_div_fixup_f32 v2, v3, s8, v2
.LBB29_644:
	s_or_b64 exec, exec, s[6:7]
	v_add_u32_e32 v22, 0x80, v27
	v_cmp_lt_u32_e64 s[4:5], v22, v28
	s_and_saveexec_b64 s[8:9], s[4:5]
	s_cbranch_execz .LBB29_693
; %bb.645:
	v_add_u32_e32 v3, v29, v22
	s_movk_i32 s6, 0x1388
	v_mul_lo_u32 v22, v3, s6
	v_cmp_ne_u32_e32 vcc, 0, v22
	v_mov_b32_e32 v23, 1
	s_and_saveexec_b64 s[10:11], vcc
	s_cbranch_execz .LBB29_690
; %bb.646:
	v_mov_b32_e32 v24, 1
	v_mov_b32_e32 v23, 0
	s_mov_b64 s[16:17], 0xbc8f
	s_mov_b64 s[14:15], 0
	v_mov_b32_e32 v25, 0
	s_brev_b32 s20, -2
	s_mov_b32 s21, 0x7ffffffe
	v_mov_b32_e32 v3, 0xfffff800
	s_movk_i32 s22, 0x401
	s_branch .LBB29_648
.LBB29_647:                             ;   in Loop: Header=BB29_648 Depth=1
	s_or_b64 exec, exec, s[18:19]
	s_mul_i32 s6, s16, s17
	s_mul_hi_u32 s7, s16, s16
	s_add_i32 s7, s7, s6
	s_add_i32 s6, s7, s6
	s_mul_i32 s7, s16, s16
	s_add_u32 s16, 0x402, s22
	s_addc_u32 s17, 0, 0
	v_add_co_u32_e32 v30, vcc, s16, v3
	s_cmp_lg_u64 vcc, 0
	v_readfirstlane_b32 s18, v30
	s_addc_u32 s16, s17, 1
	s_mul_hi_u32 s19, s18, 0x80000001
	s_mul_i32 s17, s16, 0x80000001
	s_sub_i32 s19, s19, s18
	s_add_i32 s19, s19, s17
	s_mul_i32 s24, s18, 0x80000001
	s_mul_hi_u32 s17, s18, s19
	s_mul_i32 s23, s18, s19
	s_mul_hi_u32 s18, s18, s24
	s_add_u32 s18, s18, s23
	s_addc_u32 s17, 0, s17
	s_mul_hi_u32 s25, s16, s24
	s_mul_i32 s24, s16, s24
	s_add_u32 s18, s18, s24
	s_mul_hi_u32 s23, s16, s19
	s_addc_u32 s17, s17, s25
	s_addc_u32 s18, s23, 0
	s_mul_i32 s19, s16, s19
	s_add_u32 s17, s17, s19
	s_addc_u32 s18, 0, s18
	v_add_co_u32_e32 v30, vcc, s17, v30
	s_cmp_lg_u64 vcc, 0
	s_addc_u32 s16, s16, s18
	v_readfirstlane_b32 s19, v30
	s_mul_i32 s18, s7, s16
	s_mul_hi_u32 s23, s7, s19
	s_mul_hi_u32 s17, s7, s16
	s_add_u32 s18, s23, s18
	s_addc_u32 s17, 0, s17
	s_mul_hi_u32 s24, s6, s19
	s_mul_i32 s19, s6, s19
	s_add_u32 s18, s18, s19
	s_mul_hi_u32 s23, s6, s16
	s_addc_u32 s17, s17, s24
	s_addc_u32 s18, s23, 0
	s_mul_i32 s16, s6, s16
	s_add_u32 s16, s17, s16
	s_addc_u32 s17, 0, s18
	s_mul_hi_u32 s18, s16, 0x7fffffff
	s_mul_i32 s16, s16, 0x7fffffff
	s_mul_i32 s17, s17, 0x7fffffff
	v_mov_b32_e32 v30, s16
	s_add_i32 s18, s18, s17
	v_sub_co_u32_e32 v30, vcc, s7, v30
	s_cmp_lg_u64 vcc, 0
	s_subb_u32 s6, s6, s18
	v_subrev_co_u32_e32 v34, vcc, s20, v30
	s_cmp_lg_u64 vcc, 0
	s_subb_u32 s7, s6, 0
	v_subrev_co_u32_e32 v35, vcc, s20, v34
	s_cmp_lg_u64 vcc, 0
	s_subb_u32 s16, s7, 0
	v_readfirstlane_b32 s17, v34
	s_cmp_gt_u32 s17, 0x7ffffffe
	s_cselect_b32 s18, -1, 0
	s_cmp_eq_u32 s7, 0
	s_cselect_b32 s18, s18, -1
	s_cmp_lg_u32 s18, 0
	s_cselect_b32 s7, s16, s7
	v_readfirstlane_b32 s16, v35
	v_readfirstlane_b32 s18, v30
	s_cselect_b32 s16, s16, s17
	s_cmp_gt_u32 s18, 0x7ffffffe
	s_cselect_b32 s17, -1, 0
	s_cmp_eq_u32 s6, 0
	s_cselect_b32 s17, s17, -1
	v_lshrrev_b64 v[32:33], 1, v[22:23]
	s_cmp_lg_u32 s17, 0
	v_cmp_gt_u64_e32 vcc, 2, v[22:23]
	s_cselect_b32 s17, s7, s6
	s_cselect_b32 s16, s16, s18
	s_or_b64 s[14:15], vcc, s[14:15]
	v_pk_mov_b32 v[22:23], v[32:33], v[32:33] op_sel:[0,1]
	s_andn2_b64 exec, exec, s[14:15]
	s_cbranch_execz .LBB29_689
.LBB29_648:                             ; =>This Inner Loop Header: Depth=1
	v_and_b32_e32 v30, 1, v22
	v_cmp_eq_u32_e32 vcc, 1, v30
	s_and_saveexec_b64 s[18:19], vcc
	s_cbranch_execz .LBB29_647
; %bb.649:                              ;   in Loop: Header=BB29_648 Depth=1
	v_mul_lo_u32 v30, s17, v24
	v_mul_lo_u32 v32, s16, v25
	v_mad_u64_u32 v[24:25], s[6:7], s16, v24, 0
	s_add_u32 s6, 0x402, s22
	v_add3_u32 v25, v25, v32, v30
	s_addc_u32 s7, 0, 0
	v_add_co_u32_e32 v30, vcc, s6, v3
	s_cmp_lg_u64 vcc, 0
	v_readfirstlane_b32 s23, v30
	s_addc_u32 s6, s7, 1
	s_mul_hi_u32 s24, s23, 0x80000001
	s_mul_i32 s7, s6, 0x80000001
	s_sub_i32 s24, s24, s23
	s_add_i32 s24, s24, s7
	s_mul_i32 s26, s23, 0x80000001
	s_mul_hi_u32 s7, s23, s24
	s_mul_i32 s25, s23, s24
	s_mul_hi_u32 s23, s23, s26
	s_add_u32 s23, s23, s25
	s_addc_u32 s7, 0, s7
	s_mul_hi_u32 s27, s6, s26
	s_mul_i32 s26, s6, s26
	s_add_u32 s23, s23, s26
	s_mul_hi_u32 s25, s6, s24
	s_addc_u32 s7, s7, s27
	s_addc_u32 s23, s25, 0
	s_mul_i32 s24, s6, s24
	s_add_u32 s7, s7, s24
	s_addc_u32 s23, 0, s23
	v_add_co_u32_e32 v30, vcc, s7, v30
	s_cmp_lg_u64 vcc, 0
	s_addc_u32 s23, s6, s23
	v_mad_u64_u32 v[32:33], s[6:7], v24, s23, 0
	v_mul_hi_u32 v34, v24, v30
	v_add_co_u32_e32 v36, vcc, v34, v32
	v_addc_co_u32_e32 v37, vcc, 0, v33, vcc
	v_mad_u64_u32 v[34:35], s[6:7], v25, v30, 0
	v_add_co_u32_e32 v30, vcc, v36, v34
	v_mad_u64_u32 v[32:33], s[6:7], v25, s23, 0
	v_addc_co_u32_e32 v30, vcc, v37, v35, vcc
	v_addc_co_u32_e32 v33, vcc, 0, v33, vcc
	v_add_co_u32_e32 v30, vcc, v30, v32
	v_addc_co_u32_e32 v34, vcc, 0, v33, vcc
	v_mad_u64_u32 v[32:33], s[6:7], v30, s20, 0
	v_mov_b32_e32 v30, v33
	v_mad_u64_u32 v[34:35], s[6:7], v34, s20, v[30:31]
	v_sub_co_u32_e32 v24, vcc, v24, v32
	v_subb_co_u32_e32 v25, vcc, v25, v34, vcc
	v_subrev_co_u32_e32 v30, vcc, s20, v24
	v_subbrev_co_u32_e32 v32, vcc, 0, v25, vcc
	v_subrev_co_u32_e32 v33, vcc, s20, v30
	v_subbrev_co_u32_e32 v34, vcc, 0, v32, vcc
	v_cmp_lt_u32_e32 vcc, s21, v30
	v_cndmask_b32_e64 v35, 0, -1, vcc
	v_cmp_eq_u32_e32 vcc, 0, v32
	v_cndmask_b32_e32 v35, -1, v35, vcc
	v_cmp_ne_u32_e32 vcc, 0, v35
	v_cmp_lt_u32_e64 s[6:7], s21, v24
	v_cndmask_b32_e32 v32, v32, v34, vcc
	v_cndmask_b32_e64 v34, 0, -1, s[6:7]
	v_cmp_eq_u32_e64 s[6:7], 0, v25
	v_cndmask_b32_e64 v34, -1, v34, s[6:7]
	v_cmp_ne_u32_e64 s[6:7], 0, v34
	v_cndmask_b32_e32 v30, v30, v33, vcc
	v_cndmask_b32_e64 v25, v25, v32, s[6:7]
	v_cndmask_b32_e64 v24, v24, v30, s[6:7]
	s_branch .LBB29_647
.LBB29_650:
	s_or_b64 exec, exec, s[10:11]
	s_movk_i32 s4, 0x401
	s_add_u32 s4, 0x402, s4
	v_mov_b32_e32 v4, 0xfffff800
	s_addc_u32 s5, 0, 0
	v_add_co_u32_e32 v4, vcc, s4, v4
	s_cmp_lg_u64 vcc, 0
	v_readfirstlane_b32 s10, v4
	s_addc_u32 s4, s5, 1
	s_mul_hi_u32 s11, s10, 0x80000001
	s_mul_i32 s5, s4, 0x80000001
	s_sub_i32 s11, s11, s10
	s_add_i32 s11, s11, s5
	s_mul_i32 s15, s10, 0x80000001
	s_mul_hi_u32 s5, s10, s11
	s_mul_i32 s14, s10, s11
	s_mul_hi_u32 s10, s10, s15
	s_add_u32 s10, s10, s14
	s_addc_u32 s5, 0, s5
	s_mul_hi_u32 s16, s4, s15
	s_mul_i32 s15, s4, s15
	s_add_u32 s10, s10, s15
	s_mul_hi_u32 s14, s4, s11
	s_addc_u32 s5, s5, s16
	s_addc_u32 s10, s14, 0
	s_mul_i32 s11, s4, s11
	s_add_u32 s5, s5, s11
	s_addc_u32 s10, 0, s10
	v_add_co_u32_e32 v12, vcc, s5, v4
	s_cmp_lg_u64 vcc, 0
	s_addc_u32 s10, s4, s10
	v_mad_u64_u32 v[4:5], s[4:5], v6, s10, 0
	v_mul_hi_u32 v13, v6, v12
	v_add_co_u32_e32 v14, vcc, v13, v4
	v_addc_co_u32_e32 v15, vcc, 0, v5, vcc
	v_mad_u64_u32 v[12:13], s[4:5], v7, v12, 0
	v_add_co_u32_e32 v12, vcc, v14, v12
	v_mad_u64_u32 v[4:5], s[4:5], v7, s10, 0
	v_addc_co_u32_e32 v12, vcc, v15, v13, vcc
	v_addc_co_u32_e32 v5, vcc, 0, v5, vcc
	v_add_co_u32_e32 v4, vcc, v12, v4
	s_brev_b32 s10, -2
	v_addc_co_u32_e32 v13, vcc, 0, v5, vcc
	v_mad_u64_u32 v[4:5], s[4:5], v4, s10, 0
	v_mov_b32_e32 v12, v5
	v_mad_u64_u32 v[12:13], s[4:5], v13, s10, v[12:13]
	v_sub_co_u32_e32 v4, vcc, v6, v4
	v_subb_co_u32_e32 v5, vcc, v7, v12, vcc
	v_subrev_co_u32_e32 v6, vcc, 0x7fffffff, v4
	v_subbrev_co_u32_e32 v7, vcc, 0, v5, vcc
	s_mov_b32 s4, 0x7ffffffe
	v_cmp_lt_u32_e32 vcc, s4, v6
	v_cndmask_b32_e64 v12, 0, -1, vcc
	v_cmp_eq_u32_e32 vcc, 0, v7
	v_cndmask_b32_e32 v7, -1, v12, vcc
	v_add_u32_e32 v12, 0x80000001, v6
	v_cmp_ne_u32_e32 vcc, 0, v7
	v_cndmask_b32_e32 v6, v6, v12, vcc
	v_cmp_lt_u32_e32 vcc, s4, v4
	v_cndmask_b32_e64 v7, 0, -1, vcc
	v_cmp_eq_u32_e32 vcc, 0, v5
	v_cndmask_b32_e32 v5, -1, v7, vcc
	v_cmp_ne_u32_e32 vcc, 0, v5
	v_cndmask_b32_e32 v6, v4, v6, vcc
.LBB29_651:
	s_or_b64 exec, exec, s[8:9]
	s_movk_i32 s8, 0x1388
	v_mov_b32_e32 v5, 0
	s_mov_b32 s9, 0xbc8f1391
	s_mov_b32 s10, 0xbc8f
	s_brev_b32 s11, 12
	s_mov_b32 s14, 0xf800000
	v_mov_b32_e32 v4, 0x260
.LBB29_652:                             ; =>This Inner Loop Header: Depth=1
	v_mul_hi_u32 v7, v6, s9
	v_lshrrev_b32_e32 v7, 15, v7
	v_mul_u32_u24_e32 v13, 0xadc8, v7
	v_sub_u32_e32 v6, v6, v13
	v_mul_u32_u24_e32 v7, 0xd47, v7
	v_mul_lo_u32 v6, v6, s10
	v_xor_b32_e32 v13, 0x7fffffff, v7
	v_sub_u32_e32 v14, 0, v7
	v_cmp_lt_u32_e32 vcc, v6, v7
	v_cndmask_b32_e32 v7, v14, v13, vcc
	v_add_u32_e32 v6, v7, v6
	v_mul_hi_u32 v13, v6, s9
	v_lshrrev_b32_e32 v13, 15, v13
	v_mul_u32_u24_e32 v14, 0xadc8, v13
	v_add_u32_e32 v7, -1, v6
	v_sub_u32_e32 v6, v6, v14
	v_mul_u32_u24_e32 v13, 0xd47, v13
	v_mul_lo_u32 v6, v6, s10
	v_xor_b32_e32 v14, 0x7fffffff, v13
	v_sub_u32_e32 v15, 0, v13
	v_cmp_lt_u32_e32 vcc, v6, v13
	v_cndmask_b32_e32 v13, v15, v14, vcc
	v_add_u32_e32 v6, v13, v6
	v_mul_hi_u32 v14, v6, s9
	v_add_u32_e32 v13, -1, v6
	v_lshrrev_b32_e32 v14, 15, v14
	v_cvt_f32_u32_e32 v13, v13
	v_mul_u32_u24_e32 v15, 0xadc8, v14
	v_cvt_f32_u32_e32 v7, v7
	v_sub_u32_e32 v6, v6, v15
	v_mul_u32_u24_e32 v14, 0xd47, v14
	v_mul_lo_u32 v6, v6, s10
	v_xor_b32_e32 v15, 0x7fffffff, v14
	v_sub_u32_e32 v16, 0, v14
	v_cmp_lt_u32_e32 vcc, v6, v14
	v_fma_f32 v13, v13, s11, 0
	v_cndmask_b32_e32 v14, v16, v15, vcc
	v_fma_f32 v7, v7, s11, 0
	v_mul_f32_e32 v13, v13, v13
	v_add_u32_e32 v6, v14, v6
	v_fmac_f32_e32 v13, v7, v7
	v_mul_hi_u32 v14, v6, s9
	v_mul_f32_e32 v15, 0x4f800000, v13
	v_lshrrev_b32_e32 v14, 15, v14
	v_cmp_gt_f32_e32 vcc, s14, v13
	v_cndmask_b32_e32 v13, v13, v15, vcc
	v_mul_u32_u24_e32 v15, 0xadc8, v14
	v_add_u32_e32 v7, -1, v6
	v_sqrt_f32_e32 v16, v13
	v_sub_u32_e32 v6, v6, v15
	v_mul_u32_u24_e32 v14, 0xd47, v14
	v_mul_lo_u32 v6, v6, s10
	v_xor_b32_e32 v15, 0x7fffffff, v14
	v_sub_u32_e32 v17, 0, v14
	v_cmp_lt_u32_e64 s[4:5], v6, v14
	v_cndmask_b32_e64 v14, v17, v15, s[4:5]
	v_add_u32_e32 v6, v14, v6
	v_add_u32_e32 v14, -1, v16
	v_add_u32_e32 v15, 1, v16
	v_add_u32_e32 v17, -1, v6
	v_fma_f32 v18, -v14, v16, v13
	v_fma_f32 v19, -v15, v16, v13
	v_cvt_f32_u32_e32 v17, v17
	v_cmp_ge_f32_e64 s[4:5], 0, v18
	v_cvt_f32_u32_e32 v7, v7
	v_cndmask_b32_e64 v14, v16, v14, s[4:5]
	v_cmp_lt_f32_e64 s[4:5], 0, v19
	v_cndmask_b32_e64 v14, v14, v15, s[4:5]
	v_mul_f32_e32 v15, 0x37800000, v14
	v_cndmask_b32_e32 v14, v14, v15, vcc
	v_fma_f32 v15, v17, s11, 0
	v_cmp_class_f32_e32 vcc, v13, v4
	v_fma_f32 v7, v7, s11, 0
	v_cndmask_b32_e32 v13, v14, v13, vcc
	v_mul_f32_e32 v14, v15, v15
	v_add_f32_e32 v12, 1.0, v5
	v_cmp_nge_f32_e32 vcc, 1.0, v13
	v_fmac_f32_e32 v14, v7, v7
	v_cndmask_b32_e32 v5, v12, v5, vcc
	v_mul_f32_e32 v7, 0x4f800000, v14
	v_cmp_gt_f32_e32 vcc, s14, v14
	v_cndmask_b32_e32 v7, v14, v7, vcc
	v_sqrt_f32_e32 v13, v7
	s_add_i32 s8, s8, -2
	v_add_f32_e32 v12, 1.0, v5
	s_cmp_lg_u32 s8, 0
	v_add_u32_e32 v14, -1, v13
	v_add_u32_e32 v15, 1, v13
	v_fma_f32 v16, -v14, v13, v7
	v_fma_f32 v17, -v15, v13, v7
	v_cmp_ge_f32_e64 s[4:5], 0, v16
	v_cndmask_b32_e64 v13, v13, v14, s[4:5]
	v_cmp_lt_f32_e64 s[4:5], 0, v17
	v_cndmask_b32_e64 v13, v13, v15, s[4:5]
	v_mul_f32_e32 v14, 0x37800000, v13
	v_cndmask_b32_e32 v13, v13, v14, vcc
	v_cmp_class_f32_e32 vcc, v7, v4
	v_cndmask_b32_e32 v7, v13, v7, vcc
	v_cmp_nge_f32_e32 vcc, 1.0, v7
	v_cndmask_b32_e32 v5, v12, v5, vcc
	s_cbranch_scc1 .LBB29_652
; %bb.653:
	v_mul_f32_e32 v4, 4.0, v5
	s_mov_b32 s8, 0x459c4000
	v_div_scale_f32 v5, s[4:5], s8, s8, v4
	v_rcp_f32_e32 v6, v5
	v_fma_f32 v7, -v5, v6, 1.0
	v_fmac_f32_e32 v6, v7, v6
	v_div_scale_f32 v7, vcc, v4, s8, v4
	v_mul_f32_e32 v12, v7, v6
	v_fma_f32 v13, -v5, v12, v7
	v_fmac_f32_e32 v12, v13, v6
	v_fma_f32 v5, -v5, v12, v7
	v_div_fmas_f32 v5, v5, v6, v12
	v_div_fixup_f32 v12, v5, s8, v4
.LBB29_654:
	s_or_b64 exec, exec, s[6:7]
	v_add_u32_e32 v4, 0x80, v11
	v_cmp_lt_u32_e64 s[4:5], v4, v8
                                        ; implicit-def: $vgpr13
	s_and_saveexec_b64 s[8:9], s[4:5]
	s_cbranch_execz .LBB29_703
; %bb.655:
	v_add_u32_e32 v4, v9, v4
	s_movk_i32 s6, 0x1388
	v_mul_lo_u32 v4, v4, s6
	v_cmp_ne_u32_e32 vcc, 0, v4
	v_mov_b32_e32 v6, 1
	s_and_saveexec_b64 s[10:11], vcc
	s_cbranch_execz .LBB29_700
; %bb.656:
	v_mov_b32_e32 v6, 1
	v_mov_b32_e32 v5, 0
	s_mov_b64 s[16:17], 0xbc8f
	s_mov_b64 s[14:15], 0
	v_mov_b32_e32 v7, 0
	s_brev_b32 s20, -2
	s_mov_b32 s21, 0x7ffffffe
	v_mov_b32_e32 v13, 0xfffff800
	s_movk_i32 s22, 0x401
	s_branch .LBB29_658
.LBB29_657:                             ;   in Loop: Header=BB29_658 Depth=1
	s_or_b64 exec, exec, s[18:19]
	s_mul_i32 s6, s16, s17
	s_mul_hi_u32 s7, s16, s16
	s_add_i32 s7, s7, s6
	s_add_i32 s6, s7, s6
	s_mul_i32 s7, s16, s16
	s_add_u32 s16, 0x402, s22
	s_addc_u32 s17, 0, 0
	v_add_co_u32_e32 v16, vcc, s16, v13
	s_cmp_lg_u64 vcc, 0
	v_readfirstlane_b32 s18, v16
	s_addc_u32 s16, s17, 1
	s_mul_hi_u32 s19, s18, 0x80000001
	s_mul_i32 s17, s16, 0x80000001
	s_sub_i32 s19, s19, s18
	s_add_i32 s19, s19, s17
	s_mul_i32 s24, s18, 0x80000001
	s_mul_hi_u32 s17, s18, s19
	s_mul_i32 s23, s18, s19
	s_mul_hi_u32 s18, s18, s24
	s_add_u32 s18, s18, s23
	s_addc_u32 s17, 0, s17
	s_mul_hi_u32 s25, s16, s24
	s_mul_i32 s24, s16, s24
	s_add_u32 s18, s18, s24
	s_mul_hi_u32 s23, s16, s19
	s_addc_u32 s17, s17, s25
	s_addc_u32 s18, s23, 0
	s_mul_i32 s19, s16, s19
	s_add_u32 s17, s17, s19
	s_addc_u32 s18, 0, s18
	v_add_co_u32_e32 v16, vcc, s17, v16
	s_cmp_lg_u64 vcc, 0
	s_addc_u32 s16, s16, s18
	v_readfirstlane_b32 s19, v16
	s_mul_i32 s18, s7, s16
	s_mul_hi_u32 s23, s7, s19
	s_mul_hi_u32 s17, s7, s16
	s_add_u32 s18, s23, s18
	s_addc_u32 s17, 0, s17
	s_mul_hi_u32 s24, s6, s19
	s_mul_i32 s19, s6, s19
	s_add_u32 s18, s18, s19
	s_mul_hi_u32 s23, s6, s16
	s_addc_u32 s17, s17, s24
	s_addc_u32 s18, s23, 0
	s_mul_i32 s16, s6, s16
	s_add_u32 s16, s17, s16
	s_addc_u32 s17, 0, s18
	s_mul_hi_u32 s18, s16, 0x7fffffff
	s_mul_i32 s16, s16, 0x7fffffff
	s_mul_i32 s17, s17, 0x7fffffff
	v_mov_b32_e32 v16, s16
	s_add_i32 s18, s18, s17
	v_sub_co_u32_e32 v16, vcc, s7, v16
	s_cmp_lg_u64 vcc, 0
	s_subb_u32 s6, s6, s18
	v_subrev_co_u32_e32 v17, vcc, s20, v16
	s_cmp_lg_u64 vcc, 0
	s_subb_u32 s7, s6, 0
	v_subrev_co_u32_e32 v18, vcc, s20, v17
	s_cmp_lg_u64 vcc, 0
	s_subb_u32 s16, s7, 0
	v_readfirstlane_b32 s17, v17
	s_cmp_gt_u32 s17, 0x7ffffffe
	s_cselect_b32 s18, -1, 0
	s_cmp_eq_u32 s7, 0
	s_cselect_b32 s18, s18, -1
	s_cmp_lg_u32 s18, 0
	s_cselect_b32 s7, s16, s7
	v_readfirstlane_b32 s16, v18
	v_readfirstlane_b32 s18, v16
	s_cselect_b32 s16, s16, s17
	s_cmp_gt_u32 s18, 0x7ffffffe
	s_cselect_b32 s17, -1, 0
	s_cmp_eq_u32 s6, 0
	s_cselect_b32 s17, s17, -1
	v_lshrrev_b64 v[14:15], 1, v[4:5]
	s_cmp_lg_u32 s17, 0
	v_cmp_gt_u64_e32 vcc, 2, v[4:5]
	s_cselect_b32 s17, s7, s6
	s_cselect_b32 s16, s16, s18
	s_or_b64 s[14:15], vcc, s[14:15]
	v_pk_mov_b32 v[4:5], v[14:15], v[14:15] op_sel:[0,1]
	s_andn2_b64 exec, exec, s[14:15]
	s_cbranch_execz .LBB29_699
.LBB29_658:                             ; =>This Inner Loop Header: Depth=1
	v_and_b32_e32 v14, 1, v4
	v_cmp_eq_u32_e32 vcc, 1, v14
	s_and_saveexec_b64 s[18:19], vcc
	s_cbranch_execz .LBB29_657
; %bb.659:                              ;   in Loop: Header=BB29_658 Depth=1
	v_mul_lo_u32 v14, s17, v6
	v_mul_lo_u32 v15, s16, v7
	v_mad_u64_u32 v[6:7], s[6:7], s16, v6, 0
	s_add_u32 s6, 0x402, s22
	v_add3_u32 v7, v7, v15, v14
	s_addc_u32 s7, 0, 0
	v_add_co_u32_e32 v14, vcc, s6, v13
	s_cmp_lg_u64 vcc, 0
	v_readfirstlane_b32 s23, v14
	s_addc_u32 s6, s7, 1
	s_mul_hi_u32 s24, s23, 0x80000001
	s_mul_i32 s7, s6, 0x80000001
	s_sub_i32 s24, s24, s23
	s_add_i32 s24, s24, s7
	s_mul_i32 s26, s23, 0x80000001
	s_mul_hi_u32 s7, s23, s24
	s_mul_i32 s25, s23, s24
	s_mul_hi_u32 s23, s23, s26
	s_add_u32 s23, s23, s25
	s_addc_u32 s7, 0, s7
	s_mul_hi_u32 s27, s6, s26
	s_mul_i32 s26, s6, s26
	s_add_u32 s23, s23, s26
	s_mul_hi_u32 s25, s6, s24
	s_addc_u32 s7, s7, s27
	s_addc_u32 s23, s25, 0
	s_mul_i32 s24, s6, s24
	s_add_u32 s7, s7, s24
	s_addc_u32 s23, 0, s23
	v_add_co_u32_e32 v16, vcc, s7, v14
	s_cmp_lg_u64 vcc, 0
	s_addc_u32 s23, s6, s23
	v_mad_u64_u32 v[14:15], s[6:7], v6, s23, 0
	v_mul_hi_u32 v17, v6, v16
	v_add_co_u32_e32 v18, vcc, v17, v14
	v_addc_co_u32_e32 v19, vcc, 0, v15, vcc
	v_mad_u64_u32 v[16:17], s[6:7], v7, v16, 0
	v_add_co_u32_e32 v16, vcc, v18, v16
	v_mad_u64_u32 v[14:15], s[6:7], v7, s23, 0
	v_addc_co_u32_e32 v16, vcc, v19, v17, vcc
	v_addc_co_u32_e32 v15, vcc, 0, v15, vcc
	v_add_co_u32_e32 v14, vcc, v16, v14
	v_addc_co_u32_e32 v17, vcc, 0, v15, vcc
	v_mad_u64_u32 v[14:15], s[6:7], v14, s20, 0
	v_mov_b32_e32 v16, v15
	v_mad_u64_u32 v[16:17], s[6:7], v17, s20, v[16:17]
	v_sub_co_u32_e32 v6, vcc, v6, v14
	v_subb_co_u32_e32 v7, vcc, v7, v16, vcc
	v_subrev_co_u32_e32 v14, vcc, s20, v6
	v_subbrev_co_u32_e32 v15, vcc, 0, v7, vcc
	v_subrev_co_u32_e32 v16, vcc, s20, v14
	v_subbrev_co_u32_e32 v17, vcc, 0, v15, vcc
	v_cmp_lt_u32_e32 vcc, s21, v14
	v_cndmask_b32_e64 v18, 0, -1, vcc
	v_cmp_eq_u32_e32 vcc, 0, v15
	v_cndmask_b32_e32 v18, -1, v18, vcc
	v_cmp_ne_u32_e32 vcc, 0, v18
	v_cmp_lt_u32_e64 s[6:7], s21, v6
	v_cndmask_b32_e32 v15, v15, v17, vcc
	v_cndmask_b32_e64 v17, 0, -1, s[6:7]
	v_cmp_eq_u32_e64 s[6:7], 0, v7
	v_cndmask_b32_e64 v17, -1, v17, s[6:7]
	v_cmp_ne_u32_e64 s[6:7], 0, v17
	v_cndmask_b32_e32 v14, v14, v16, vcc
	v_cndmask_b32_e64 v7, v7, v15, s[6:7]
	v_cndmask_b32_e64 v6, v6, v14, s[6:7]
	s_branch .LBB29_657
.LBB29_660:
	s_or_b64 exec, exec, s[18:19]
	s_movk_i32 s6, 0x401
	s_add_u32 s6, 0x402, s6
	v_mov_b32_e32 v7, 0xfffff800
	s_addc_u32 s7, 0, 0
	v_add_co_u32_e32 v7, vcc, s6, v7
	s_cmp_lg_u64 vcc, 0
	v_readfirstlane_b32 s18, v7
	s_addc_u32 s6, s7, 1
	s_mul_hi_u32 s19, s18, 0x80000001
	s_mul_i32 s7, s6, 0x80000001
	s_sub_i32 s19, s19, s18
	s_add_i32 s19, s19, s7
	s_mul_i32 s21, s18, 0x80000001
	s_mul_hi_u32 s7, s18, s19
	s_mul_i32 s20, s18, s19
	s_mul_hi_u32 s18, s18, s21
	s_add_u32 s18, s18, s20
	s_addc_u32 s7, 0, s7
	s_mul_hi_u32 s22, s6, s21
	s_mul_i32 s21, s6, s21
	s_add_u32 s18, s18, s21
	s_mul_hi_u32 s20, s6, s19
	s_addc_u32 s7, s7, s22
	s_addc_u32 s18, s20, 0
	s_mul_i32 s19, s6, s19
	s_add_u32 s7, s7, s19
	s_addc_u32 s18, 0, s18
	v_add_co_u32_e32 v7, vcc, s7, v7
	s_cmp_lg_u64 vcc, 0
	s_addc_u32 s18, s6, s18
	v_mad_u64_u32 v[8:9], s[6:7], v10, s18, 0
	v_mul_hi_u32 v15, v10, v7
	v_add_co_u32_e32 v15, vcc, v15, v8
	v_addc_co_u32_e32 v18, vcc, 0, v9, vcc
	v_mad_u64_u32 v[16:17], s[6:7], v11, v7, 0
	v_add_co_u32_e32 v7, vcc, v15, v16
	v_mad_u64_u32 v[8:9], s[6:7], v11, s18, 0
	v_addc_co_u32_e32 v7, vcc, v18, v17, vcc
	v_addc_co_u32_e32 v9, vcc, 0, v9, vcc
	v_add_co_u32_e32 v7, vcc, v7, v8
	s_brev_b32 s18, -2
	v_addc_co_u32_e32 v15, vcc, 0, v9, vcc
	v_mad_u64_u32 v[8:9], s[6:7], v7, s18, 0
	v_mov_b32_e32 v16, v9
	v_mad_u64_u32 v[16:17], s[6:7], v15, s18, v[16:17]
	v_sub_co_u32_e32 v7, vcc, v10, v8
	v_subb_co_u32_e32 v8, vcc, v11, v16, vcc
	v_subrev_co_u32_e32 v9, vcc, 0x7fffffff, v7
	v_subbrev_co_u32_e32 v10, vcc, 0, v8, vcc
	s_mov_b32 s6, 0x7ffffffe
	v_cmp_lt_u32_e32 vcc, s6, v9
	v_cndmask_b32_e64 v11, 0, -1, vcc
	v_cmp_eq_u32_e32 vcc, 0, v10
	v_cndmask_b32_e32 v10, -1, v11, vcc
	v_add_u32_e32 v11, 0x80000001, v9
	v_cmp_ne_u32_e32 vcc, 0, v10
	v_cndmask_b32_e32 v9, v9, v11, vcc
	v_cmp_lt_u32_e32 vcc, s6, v7
	v_cndmask_b32_e64 v10, 0, -1, vcc
	v_cmp_eq_u32_e32 vcc, 0, v8
	v_cndmask_b32_e32 v8, -1, v10, vcc
	v_cmp_ne_u32_e32 vcc, 0, v8
	v_cndmask_b32_e32 v9, v7, v9, vcc
.LBB29_661:
	s_or_b64 exec, exec, s[16:17]
	s_movk_i32 s16, 0x1388
	v_mov_b32_e32 v8, 0
	s_mov_b32 s17, 0xbc8f1391
	s_mov_b32 s18, 0xbc8f
	s_brev_b32 s19, 12
	s_mov_b32 s20, 0xf800000
	v_mov_b32_e32 v7, 0x260
.LBB29_662:                             ; =>This Inner Loop Header: Depth=1
	v_mul_hi_u32 v10, v9, s17
	v_lshrrev_b32_e32 v10, 15, v10
	v_mul_u32_u24_e32 v15, 0xadc8, v10
	v_sub_u32_e32 v9, v9, v15
	v_mul_u32_u24_e32 v10, 0xd47, v10
	v_mul_lo_u32 v9, v9, s18
	v_xor_b32_e32 v15, 0x7fffffff, v10
	v_sub_u32_e32 v16, 0, v10
	v_cmp_lt_u32_e32 vcc, v9, v10
	v_cndmask_b32_e32 v10, v16, v15, vcc
	v_add_u32_e32 v9, v10, v9
	v_mul_hi_u32 v15, v9, s17
	v_lshrrev_b32_e32 v15, 15, v15
	v_mul_u32_u24_e32 v16, 0xadc8, v15
	v_add_u32_e32 v10, -1, v9
	v_sub_u32_e32 v9, v9, v16
	v_mul_u32_u24_e32 v15, 0xd47, v15
	v_mul_lo_u32 v9, v9, s18
	v_xor_b32_e32 v16, 0x7fffffff, v15
	v_sub_u32_e32 v17, 0, v15
	v_cmp_lt_u32_e32 vcc, v9, v15
	v_cndmask_b32_e32 v15, v17, v16, vcc
	v_add_u32_e32 v9, v15, v9
	v_mul_hi_u32 v16, v9, s17
	v_add_u32_e32 v15, -1, v9
	v_lshrrev_b32_e32 v16, 15, v16
	v_cvt_f32_u32_e32 v15, v15
	v_mul_u32_u24_e32 v17, 0xadc8, v16
	v_cvt_f32_u32_e32 v10, v10
	v_sub_u32_e32 v9, v9, v17
	v_mul_u32_u24_e32 v16, 0xd47, v16
	v_mul_lo_u32 v9, v9, s18
	v_xor_b32_e32 v17, 0x7fffffff, v16
	v_sub_u32_e32 v18, 0, v16
	v_cmp_lt_u32_e32 vcc, v9, v16
	v_fma_f32 v15, v15, s19, 0
	v_cndmask_b32_e32 v16, v18, v17, vcc
	v_fma_f32 v10, v10, s19, 0
	v_mul_f32_e32 v15, v15, v15
	v_add_u32_e32 v9, v16, v9
	v_fmac_f32_e32 v15, v10, v10
	v_mul_hi_u32 v16, v9, s17
	v_mul_f32_e32 v17, 0x4f800000, v15
	v_lshrrev_b32_e32 v16, 15, v16
	v_cmp_gt_f32_e32 vcc, s20, v15
	v_cndmask_b32_e32 v15, v15, v17, vcc
	v_mul_u32_u24_e32 v17, 0xadc8, v16
	v_add_u32_e32 v10, -1, v9
	v_sqrt_f32_e32 v18, v15
	v_sub_u32_e32 v9, v9, v17
	v_mul_u32_u24_e32 v16, 0xd47, v16
	v_mul_lo_u32 v9, v9, s18
	v_xor_b32_e32 v17, 0x7fffffff, v16
	v_sub_u32_e32 v19, 0, v16
	v_cmp_lt_u32_e64 s[6:7], v9, v16
	v_cndmask_b32_e64 v16, v19, v17, s[6:7]
	v_add_u32_e32 v9, v16, v9
	v_add_u32_e32 v16, -1, v18
	v_add_u32_e32 v17, 1, v18
	v_add_u32_e32 v19, -1, v9
	v_fma_f32 v20, -v16, v18, v15
	v_fma_f32 v21, -v17, v18, v15
	v_cvt_f32_u32_e32 v19, v19
	v_cmp_ge_f32_e64 s[6:7], 0, v20
	v_cvt_f32_u32_e32 v10, v10
	v_cndmask_b32_e64 v16, v18, v16, s[6:7]
	v_cmp_lt_f32_e64 s[6:7], 0, v21
	v_cndmask_b32_e64 v16, v16, v17, s[6:7]
	v_mul_f32_e32 v17, 0x37800000, v16
	v_cndmask_b32_e32 v16, v16, v17, vcc
	v_fma_f32 v17, v19, s19, 0
	v_cmp_class_f32_e32 vcc, v15, v7
	v_fma_f32 v10, v10, s19, 0
	v_cndmask_b32_e32 v15, v16, v15, vcc
	v_mul_f32_e32 v16, v17, v17
	v_add_f32_e32 v11, 1.0, v8
	v_cmp_nge_f32_e32 vcc, 1.0, v15
	v_fmac_f32_e32 v16, v10, v10
	v_cndmask_b32_e32 v8, v11, v8, vcc
	v_mul_f32_e32 v10, 0x4f800000, v16
	v_cmp_gt_f32_e32 vcc, s20, v16
	v_cndmask_b32_e32 v10, v16, v10, vcc
	v_sqrt_f32_e32 v15, v10
	s_add_i32 s16, s16, -2
	v_add_f32_e32 v11, 1.0, v8
	s_cmp_lg_u32 s16, 0
	v_add_u32_e32 v16, -1, v15
	v_add_u32_e32 v17, 1, v15
	v_fma_f32 v18, -v16, v15, v10
	v_fma_f32 v19, -v17, v15, v10
	v_cmp_ge_f32_e64 s[6:7], 0, v18
	v_cndmask_b32_e64 v15, v15, v16, s[6:7]
	v_cmp_lt_f32_e64 s[6:7], 0, v19
	v_cndmask_b32_e64 v15, v15, v17, s[6:7]
	v_mul_f32_e32 v16, 0x37800000, v15
	v_cndmask_b32_e32 v15, v15, v16, vcc
	v_cmp_class_f32_e32 vcc, v10, v7
	v_cndmask_b32_e32 v10, v15, v10, vcc
	v_cmp_nge_f32_e32 vcc, 1.0, v10
	v_cndmask_b32_e32 v8, v11, v8, vcc
	s_cbranch_scc1 .LBB29_662
; %bb.663:
	v_mul_f32_e32 v7, 4.0, v8
	s_mov_b32 s16, 0x459c4000
	v_div_scale_f32 v8, s[6:7], s16, s16, v7
	v_rcp_f32_e32 v9, v8
	v_fma_f32 v10, -v8, v9, 1.0
	v_fmac_f32_e32 v9, v10, v9
	v_div_scale_f32 v10, vcc, v7, s16, v7
	v_mul_f32_e32 v11, v10, v9
	v_fma_f32 v15, -v8, v11, v10
	v_fmac_f32_e32 v11, v15, v9
	v_fma_f32 v8, -v8, v11, v10
	v_div_fmas_f32 v8, v8, v9, v11
	v_div_fixup_f32 v7, v8, s16, v7
.LBB29_664:
	s_or_b64 exec, exec, s[14:15]
	v_add_f32_e32 v7, v6, v7
	v_cndmask_b32_e64 v8, v6, v7, s[4:5]
	v_mbcnt_lo_u32_b32 v6, -1, 0
	v_mbcnt_hi_u32_b32 v6, -1, v6
	v_and_b32_e32 v9, 63, v6
	v_cmp_ne_u32_e32 vcc, 63, v9
	v_addc_co_u32_e32 v7, vcc, 0, v6, vcc
	v_lshlrev_b32_e32 v7, 2, v7
	ds_bpermute_b32 v10, v7, v8
	v_min_u32_e32 v7, 0x80, v14
	v_and_b32_e32 v11, 0x3c0, v13
	v_sub_u32_e64 v11, v7, v11 clamp
	v_add_u32_e32 v14, 1, v9
	v_cmp_gt_u32_e64 s[4:5], 62, v9
	v_cmp_lt_u32_e32 vcc, v14, v11
	v_cndmask_b32_e64 v14, 0, 1, s[4:5]
	s_waitcnt lgkmcnt(0)
	v_add_f32_e32 v10, v8, v10
	v_lshlrev_b32_e32 v14, 1, v14
	v_cndmask_b32_e32 v10, v8, v10, vcc
	v_add_lshl_u32 v14, v14, v6, 2
	ds_bpermute_b32 v14, v14, v10
	v_add_u32_e32 v15, 2, v9
	v_cmp_lt_u32_e64 s[4:5], v15, v11
	v_add_u32_e32 v15, 4, v9
	s_waitcnt lgkmcnt(0)
	v_add_f32_e32 v14, v10, v14
	v_cndmask_b32_e64 v10, v10, v14, s[4:5]
	v_cmp_gt_u32_e64 s[4:5], 60, v9
	v_cndmask_b32_e64 v14, 0, 1, s[4:5]
	v_lshlrev_b32_e32 v14, 2, v14
	v_add_lshl_u32 v14, v14, v6, 2
	ds_bpermute_b32 v14, v14, v10
	v_cmp_lt_u32_e64 s[4:5], v15, v11
	v_add_u32_e32 v15, 8, v9
	s_waitcnt lgkmcnt(0)
	v_add_f32_e32 v14, v10, v14
	v_cndmask_b32_e64 v10, v10, v14, s[4:5]
	v_cmp_gt_u32_e64 s[4:5], 56, v9
	v_cndmask_b32_e64 v14, 0, 1, s[4:5]
	v_lshlrev_b32_e32 v14, 3, v14
	v_add_lshl_u32 v14, v14, v6, 2
	ds_bpermute_b32 v14, v14, v10
	;; [unrolled: 10-line block ×3, first 2 shown]
	v_cmp_lt_u32_e64 s[4:5], v15, v11
	s_waitcnt lgkmcnt(0)
	v_add_f32_e32 v14, v10, v14
	v_cndmask_b32_e64 v10, v10, v14, s[4:5]
	v_cmp_gt_u32_e64 s[4:5], 32, v9
	v_cndmask_b32_e64 v14, 0, 1, s[4:5]
	v_lshlrev_b32_e32 v14, 5, v14
	v_add_lshl_u32 v14, v14, v6, 2
	ds_bpermute_b32 v14, v14, v10
	v_add_u32_e32 v9, 32, v9
	v_cmp_lt_u32_e64 s[4:5], v9, v11
	s_waitcnt lgkmcnt(0)
	v_add_f32_e32 v14, v10, v14
	v_cndmask_b32_e64 v9, v10, v14, s[4:5]
	v_cndmask_b32_e32 v8, v8, v9, vcc
	v_cmp_eq_u32_e32 vcc, 0, v6
	s_and_saveexec_b64 s[4:5], vcc
	s_cbranch_execz .LBB29_666
; %bb.665:
	v_lshrrev_b32_e32 v9, 4, v13
	v_and_b32_e32 v9, 60, v9
	ds_write_b32 v9, v8 offset:48
.LBB29_666:
	s_or_b64 exec, exec, s[4:5]
	v_cmp_gt_u32_e32 vcc, 2, v13
	s_waitcnt lgkmcnt(0)
	s_barrier
	s_and_saveexec_b64 s[4:5], vcc
	s_cbranch_execz .LBB29_668
; %bb.667:
	v_lshlrev_b32_e32 v8, 2, v6
	ds_read_b32 v9, v8 offset:48
	v_or_b32_e32 v8, 4, v8
	v_add_u32_e32 v7, 63, v7
	v_and_b32_e32 v6, 1, v6
	v_lshrrev_b32_e32 v7, 6, v7
	s_waitcnt lgkmcnt(0)
	ds_bpermute_b32 v8, v8, v9
	v_add_u32_e32 v6, 1, v6
	v_cmp_lt_u32_e32 vcc, v6, v7
	s_waitcnt lgkmcnt(0)
	v_add_f32_e32 v8, v9, v8
	v_cndmask_b32_e32 v8, v9, v8, vcc
.LBB29_668:
	s_or_b64 exec, exec, s[4:5]
	s_or_b64 exec, exec, s[10:11]
	v_cmp_eq_u32_e32 vcc, 0, v13
	s_and_b64 exec, exec, vcc
	s_cbranch_execz .LBB29_1225
; %bb.1235:
	s_getpc_b64 s[92:93]
.Lpost_getpc5:
	s_add_u32 s92, s92, (.LBB29_9-.Lpost_getpc5)&4294967295
	s_addc_u32 s93, s93, (.LBB29_9-.Lpost_getpc5)>>32
	s_setpc_b64 s[92:93]
.LBB29_1225:
	s_getpc_b64 s[92:93]
.Lpost_getpc0:
	s_add_u32 s92, s92, (.LBB29_10-.Lpost_getpc0)&4294967295
	s_addc_u32 s93, s93, (.LBB29_10-.Lpost_getpc0)>>32
	s_setpc_b64 s[92:93]
.LBB29_669:
	s_or_b64 exec, exec, s[18:19]
	s_movk_i32 s6, 0x401
	s_add_u32 s6, 0x402, s6
	v_mov_b32_e32 v3, 0xfffff800
	s_addc_u32 s7, 0, 0
	v_add_co_u32_e32 v3, vcc, s6, v3
	s_cmp_lg_u64 vcc, 0
	v_readfirstlane_b32 s18, v3
	s_addc_u32 s6, s7, 1
	s_mul_hi_u32 s19, s18, 0x80000001
	s_mul_i32 s7, s6, 0x80000001
	s_sub_i32 s19, s19, s18
	s_add_i32 s19, s19, s7
	s_mul_i32 s21, s18, 0x80000001
	s_mul_hi_u32 s7, s18, s19
	s_mul_i32 s20, s18, s19
	s_mul_hi_u32 s18, s18, s21
	s_add_u32 s18, s18, s20
	s_addc_u32 s7, 0, s7
	s_mul_hi_u32 s22, s6, s21
	s_mul_i32 s21, s6, s21
	s_add_u32 s18, s18, s21
	s_mul_hi_u32 s20, s6, s19
	s_addc_u32 s7, s7, s22
	s_addc_u32 s18, s20, 0
	s_mul_i32 s19, s6, s19
	s_add_u32 s7, s7, s19
	s_addc_u32 s18, 0, s18
	v_add_co_u32_e32 v3, vcc, s7, v3
	s_cmp_lg_u64 vcc, 0
	s_addc_u32 s18, s6, s18
	v_mad_u64_u32 v[10:11], s[6:7], v12, s18, 0
	v_mul_hi_u32 v18, v12, v3
	v_add_co_u32_e32 v20, vcc, v18, v10
	v_addc_co_u32_e32 v21, vcc, 0, v11, vcc
	v_mad_u64_u32 v[18:19], s[6:7], v13, v3, 0
	v_add_co_u32_e32 v3, vcc, v20, v18
	v_mad_u64_u32 v[10:11], s[6:7], v13, s18, 0
	v_addc_co_u32_e32 v3, vcc, v21, v19, vcc
	v_addc_co_u32_e32 v11, vcc, 0, v11, vcc
	v_add_co_u32_e32 v3, vcc, v3, v10
	s_brev_b32 s18, -2
	v_addc_co_u32_e32 v19, vcc, 0, v11, vcc
	v_mad_u64_u32 v[10:11], s[6:7], v3, s18, 0
	v_mov_b32_e32 v18, v11
	v_mad_u64_u32 v[18:19], s[6:7], v19, s18, v[18:19]
	v_sub_co_u32_e32 v3, vcc, v12, v10
	v_subb_co_u32_e32 v10, vcc, v13, v18, vcc
	v_subrev_co_u32_e32 v11, vcc, 0x7fffffff, v3
	v_subbrev_co_u32_e32 v12, vcc, 0, v10, vcc
	s_mov_b32 s6, 0x7ffffffe
	v_cmp_lt_u32_e32 vcc, s6, v11
	v_cndmask_b32_e64 v13, 0, -1, vcc
	v_cmp_eq_u32_e32 vcc, 0, v12
	v_cndmask_b32_e32 v12, -1, v13, vcc
	v_add_u32_e32 v13, 0x80000001, v11
	v_cmp_ne_u32_e32 vcc, 0, v12
	v_cndmask_b32_e32 v11, v11, v13, vcc
	v_cmp_lt_u32_e32 vcc, s6, v3
	v_cndmask_b32_e64 v12, 0, -1, vcc
	v_cmp_eq_u32_e32 vcc, 0, v10
	v_cndmask_b32_e32 v10, -1, v12, vcc
	v_cmp_ne_u32_e32 vcc, 0, v10
	v_cndmask_b32_e32 v11, v3, v11, vcc
.LBB29_670:
	s_or_b64 exec, exec, s[10:11]
	s_movk_i32 s10, 0x1388
	v_mov_b32_e32 v10, 0
	s_mov_b32 s11, 0xbc8f1391
	s_mov_b32 s18, 0xbc8f
	s_brev_b32 s19, 12
	s_mov_b32 s20, 0xf800000
	v_mov_b32_e32 v3, 0x260
.LBB29_671:                             ; =>This Inner Loop Header: Depth=1
	v_mul_hi_u32 v12, v11, s11
	v_lshrrev_b32_e32 v12, 15, v12
	v_mul_u32_u24_e32 v18, 0xadc8, v12
	v_sub_u32_e32 v11, v11, v18
	v_mul_u32_u24_e32 v12, 0xd47, v12
	v_mul_lo_u32 v11, v11, s18
	v_xor_b32_e32 v18, 0x7fffffff, v12
	v_sub_u32_e32 v19, 0, v12
	v_cmp_lt_u32_e32 vcc, v11, v12
	v_cndmask_b32_e32 v12, v19, v18, vcc
	v_add_u32_e32 v11, v12, v11
	v_mul_hi_u32 v18, v11, s11
	v_lshrrev_b32_e32 v18, 15, v18
	v_mul_u32_u24_e32 v19, 0xadc8, v18
	v_add_u32_e32 v12, -1, v11
	v_sub_u32_e32 v11, v11, v19
	v_mul_u32_u24_e32 v18, 0xd47, v18
	v_mul_lo_u32 v11, v11, s18
	v_xor_b32_e32 v19, 0x7fffffff, v18
	v_sub_u32_e32 v20, 0, v18
	v_cmp_lt_u32_e32 vcc, v11, v18
	v_cndmask_b32_e32 v18, v20, v19, vcc
	v_add_u32_e32 v11, v18, v11
	v_mul_hi_u32 v19, v11, s11
	v_add_u32_e32 v18, -1, v11
	v_lshrrev_b32_e32 v19, 15, v19
	v_cvt_f32_u32_e32 v18, v18
	v_mul_u32_u24_e32 v20, 0xadc8, v19
	v_cvt_f32_u32_e32 v12, v12
	v_sub_u32_e32 v11, v11, v20
	v_mul_u32_u24_e32 v19, 0xd47, v19
	v_mul_lo_u32 v11, v11, s18
	v_xor_b32_e32 v20, 0x7fffffff, v19
	v_sub_u32_e32 v21, 0, v19
	v_cmp_lt_u32_e32 vcc, v11, v19
	v_fma_f32 v18, v18, s19, 0
	v_cndmask_b32_e32 v19, v21, v20, vcc
	v_fma_f32 v12, v12, s19, 0
	v_mul_f32_e32 v18, v18, v18
	v_add_u32_e32 v11, v19, v11
	v_fmac_f32_e32 v18, v12, v12
	v_mul_hi_u32 v19, v11, s11
	v_mul_f32_e32 v20, 0x4f800000, v18
	v_lshrrev_b32_e32 v19, 15, v19
	v_cmp_gt_f32_e32 vcc, s20, v18
	v_cndmask_b32_e32 v18, v18, v20, vcc
	v_mul_u32_u24_e32 v20, 0xadc8, v19
	v_add_u32_e32 v12, -1, v11
	v_sqrt_f32_e32 v21, v18
	v_sub_u32_e32 v11, v11, v20
	v_mul_u32_u24_e32 v19, 0xd47, v19
	v_mul_lo_u32 v11, v11, s18
	v_xor_b32_e32 v20, 0x7fffffff, v19
	v_sub_u32_e32 v22, 0, v19
	v_cmp_lt_u32_e64 s[6:7], v11, v19
	v_cndmask_b32_e64 v19, v22, v20, s[6:7]
	v_add_u32_e32 v11, v19, v11
	v_add_u32_e32 v19, -1, v21
	v_add_u32_e32 v20, 1, v21
	v_add_u32_e32 v22, -1, v11
	v_fma_f32 v23, -v19, v21, v18
	v_fma_f32 v24, -v20, v21, v18
	v_cvt_f32_u32_e32 v22, v22
	v_cmp_ge_f32_e64 s[6:7], 0, v23
	v_cvt_f32_u32_e32 v12, v12
	v_cndmask_b32_e64 v19, v21, v19, s[6:7]
	v_cmp_lt_f32_e64 s[6:7], 0, v24
	v_cndmask_b32_e64 v19, v19, v20, s[6:7]
	v_mul_f32_e32 v20, 0x37800000, v19
	v_cndmask_b32_e32 v19, v19, v20, vcc
	v_fma_f32 v20, v22, s19, 0
	v_cmp_class_f32_e32 vcc, v18, v3
	v_fma_f32 v12, v12, s19, 0
	v_cndmask_b32_e32 v18, v19, v18, vcc
	v_mul_f32_e32 v19, v20, v20
	v_add_f32_e32 v13, 1.0, v10
	v_cmp_nge_f32_e32 vcc, 1.0, v18
	v_fmac_f32_e32 v19, v12, v12
	v_cndmask_b32_e32 v10, v13, v10, vcc
	v_mul_f32_e32 v12, 0x4f800000, v19
	v_cmp_gt_f32_e32 vcc, s20, v19
	v_cndmask_b32_e32 v12, v19, v12, vcc
	v_sqrt_f32_e32 v18, v12
	s_add_i32 s10, s10, -2
	v_add_f32_e32 v13, 1.0, v10
	s_cmp_lg_u32 s10, 0
	v_add_u32_e32 v19, -1, v18
	v_add_u32_e32 v20, 1, v18
	v_fma_f32 v21, -v19, v18, v12
	v_fma_f32 v22, -v20, v18, v12
	v_cmp_ge_f32_e64 s[6:7], 0, v21
	v_cndmask_b32_e64 v18, v18, v19, s[6:7]
	v_cmp_lt_f32_e64 s[6:7], 0, v22
	v_cndmask_b32_e64 v18, v18, v20, s[6:7]
	v_mul_f32_e32 v19, 0x37800000, v18
	v_cndmask_b32_e32 v18, v18, v19, vcc
	v_cmp_class_f32_e32 vcc, v12, v3
	v_cndmask_b32_e32 v12, v18, v12, vcc
	v_cmp_nge_f32_e32 vcc, 1.0, v12
	v_cndmask_b32_e32 v10, v13, v10, vcc
	s_cbranch_scc1 .LBB29_671
; %bb.672:
	v_mul_f32_e32 v3, 4.0, v10
	s_mov_b32 s10, 0x459c4000
	v_div_scale_f32 v10, s[6:7], s10, s10, v3
	v_rcp_f32_e32 v11, v10
	v_fma_f32 v12, -v10, v11, 1.0
	v_fmac_f32_e32 v11, v12, v11
	v_div_scale_f32 v12, vcc, v3, s10, v3
	v_mul_f32_e32 v13, v12, v11
	v_fma_f32 v18, -v10, v13, v12
	v_fmac_f32_e32 v13, v18, v11
	v_fma_f32 v10, -v10, v13, v12
	v_div_fmas_f32 v10, v10, v11, v13
	v_div_fixup_f32 v3, v10, s10, v3
.LBB29_673:
	s_or_b64 exec, exec, s[8:9]
	v_add_u32_e32 v10, 0x100, v15
	v_cmp_lt_u32_e64 s[6:7], v10, v16
	s_and_saveexec_b64 s[10:11], s[6:7]
	s_cbranch_execz .LBB29_713
; %bb.674:
	v_add_u32_e32 v4, v17, v10
	s_movk_i32 s8, 0x1388
	v_mul_lo_u32 v10, v4, s8
	v_cmp_ne_u32_e32 vcc, 0, v10
	v_mov_b32_e32 v11, 1
	s_and_saveexec_b64 s[18:19], vcc
	s_cbranch_execz .LBB29_710
; %bb.675:
	v_mov_b32_e32 v12, 1
	v_mov_b32_e32 v11, 0
	s_mov_b64 s[22:23], 0xbc8f
	s_mov_b64 s[20:21], 0
	v_mov_b32_e32 v13, 0
	s_brev_b32 s26, -2
	s_mov_b32 s27, 0x7ffffffe
	v_mov_b32_e32 v4, 0xfffff800
	s_movk_i32 s28, 0x401
	s_branch .LBB29_677
.LBB29_676:                             ;   in Loop: Header=BB29_677 Depth=1
	s_or_b64 exec, exec, s[24:25]
	s_mul_i32 s8, s22, s23
	s_mul_hi_u32 s9, s22, s22
	s_add_i32 s9, s9, s8
	s_add_i32 s8, s9, s8
	s_mul_i32 s9, s22, s22
	s_add_u32 s22, 0x402, s28
	s_addc_u32 s23, 0, 0
	v_add_co_u32_e32 v20, vcc, s22, v4
	s_cmp_lg_u64 vcc, 0
	v_readfirstlane_b32 s24, v20
	s_addc_u32 s22, s23, 1
	s_mul_hi_u32 s25, s24, 0x80000001
	s_mul_i32 s23, s22, 0x80000001
	s_sub_i32 s25, s25, s24
	s_add_i32 s25, s25, s23
	s_mul_i32 vcc_lo, s24, 0x80000001
	s_mul_hi_u32 s23, s24, s25
	s_mul_i32 s29, s24, s25
	s_mul_hi_u32 s24, s24, vcc_lo
	s_add_u32 s24, s24, s29
	s_addc_u32 s23, 0, s23
	s_mul_hi_u32 vcc_hi, s22, vcc_lo
	s_mul_i32 vcc_lo, s22, vcc_lo
	s_add_u32 s24, s24, vcc_lo
	s_mul_hi_u32 s29, s22, s25
	s_addc_u32 s23, s23, vcc_hi
	s_addc_u32 s24, s29, 0
	s_mul_i32 s25, s22, s25
	s_add_u32 s23, s23, s25
	s_addc_u32 s24, 0, s24
	v_add_co_u32_e32 v20, vcc, s23, v20
	s_cmp_lg_u64 vcc, 0
	s_addc_u32 s22, s22, s24
	v_readfirstlane_b32 s25, v20
	s_mul_i32 s24, s9, s22
	s_mul_hi_u32 s29, s9, s25
	s_mul_hi_u32 s23, s9, s22
	s_add_u32 s24, s29, s24
	s_addc_u32 s23, 0, s23
	s_mul_hi_u32 vcc_lo, s8, s25
	s_mul_i32 s25, s8, s25
	s_add_u32 s24, s24, s25
	s_mul_hi_u32 s29, s8, s22
	s_addc_u32 s23, s23, vcc_lo
	s_addc_u32 s24, s29, 0
	s_mul_i32 s22, s8, s22
	s_add_u32 s22, s23, s22
	s_addc_u32 s23, 0, s24
	s_mul_hi_u32 s24, s22, 0x7fffffff
	s_mul_i32 s22, s22, 0x7fffffff
	s_mul_i32 s23, s23, 0x7fffffff
	v_mov_b32_e32 v20, s22
	s_add_i32 s24, s24, s23
	v_sub_co_u32_e32 v20, vcc, s9, v20
	s_cmp_lg_u64 vcc, 0
	s_subb_u32 s8, s8, s24
	v_subrev_co_u32_e32 v21, vcc, s26, v20
	s_cmp_lg_u64 vcc, 0
	s_subb_u32 s9, s8, 0
	v_subrev_co_u32_e32 v22, vcc, s26, v21
	s_cmp_lg_u64 vcc, 0
	s_subb_u32 s22, s9, 0
	v_readfirstlane_b32 s23, v21
	s_cmp_gt_u32 s23, 0x7ffffffe
	s_cselect_b32 s24, -1, 0
	s_cmp_eq_u32 s9, 0
	s_cselect_b32 s24, s24, -1
	s_cmp_lg_u32 s24, 0
	s_cselect_b32 s9, s22, s9
	v_readfirstlane_b32 s22, v22
	v_readfirstlane_b32 s24, v20
	s_cselect_b32 s22, s22, s23
	s_cmp_gt_u32 s24, 0x7ffffffe
	s_cselect_b32 s23, -1, 0
	s_cmp_eq_u32 s8, 0
	s_cselect_b32 s23, s23, -1
	v_lshrrev_b64 v[18:19], 1, v[10:11]
	s_cmp_lg_u32 s23, 0
	v_cmp_gt_u64_e32 vcc, 2, v[10:11]
	s_cselect_b32 s23, s9, s8
	s_cselect_b32 s22, s22, s24
	s_or_b64 s[20:21], vcc, s[20:21]
	v_pk_mov_b32 v[10:11], v[18:19], v[18:19] op_sel:[0,1]
	s_andn2_b64 exec, exec, s[20:21]
	s_cbranch_execz .LBB29_709
.LBB29_677:                             ; =>This Inner Loop Header: Depth=1
	v_and_b32_e32 v18, 1, v10
	v_cmp_eq_u32_e32 vcc, 1, v18
	s_and_saveexec_b64 s[24:25], vcc
	s_cbranch_execz .LBB29_676
; %bb.678:                              ;   in Loop: Header=BB29_677 Depth=1
	v_mul_lo_u32 v18, s23, v12
	v_mul_lo_u32 v19, s22, v13
	v_mad_u64_u32 v[12:13], s[8:9], s22, v12, 0
	s_add_u32 s8, 0x402, s28
	v_add3_u32 v13, v13, v19, v18
	s_addc_u32 s9, 0, 0
	v_add_co_u32_e32 v18, vcc, s8, v4
	s_cmp_lg_u64 vcc, 0
	v_readfirstlane_b32 s29, v18
	s_addc_u32 s8, s9, 1
	s_mul_hi_u32 vcc_lo, s29, 0x80000001
	s_mul_i32 s9, s8, 0x80000001
	s_sub_i32 vcc_lo, vcc_lo, s29
	s_add_i32 vcc_lo, vcc_lo, s9
	s_mul_i32 s30, s29, 0x80000001
	s_mul_hi_u32 s9, s29, vcc_lo
	s_mul_i32 vcc_hi, s29, vcc_lo
	s_mul_hi_u32 s29, s29, s30
	s_add_u32 s29, s29, vcc_hi
	s_addc_u32 s9, 0, s9
	s_mul_hi_u32 s31, s8, s30
	s_mul_i32 s30, s8, s30
	s_add_u32 s29, s29, s30
	s_mul_hi_u32 vcc_hi, s8, vcc_lo
	s_addc_u32 s9, s9, s31
	s_addc_u32 s29, vcc_hi, 0
	s_mul_i32 vcc_lo, s8, vcc_lo
	s_add_u32 s9, s9, vcc_lo
	s_addc_u32 s29, 0, s29
	v_add_co_u32_e32 v20, vcc, s9, v18
	s_cmp_lg_u64 vcc, 0
	s_addc_u32 s29, s8, s29
	v_mad_u64_u32 v[18:19], s[8:9], v12, s29, 0
	v_mul_hi_u32 v21, v12, v20
	v_add_co_u32_e32 v22, vcc, v21, v18
	v_addc_co_u32_e32 v23, vcc, 0, v19, vcc
	v_mad_u64_u32 v[20:21], s[8:9], v13, v20, 0
	v_add_co_u32_e32 v20, vcc, v22, v20
	v_mad_u64_u32 v[18:19], s[8:9], v13, s29, 0
	v_addc_co_u32_e32 v20, vcc, v23, v21, vcc
	v_addc_co_u32_e32 v19, vcc, 0, v19, vcc
	v_add_co_u32_e32 v18, vcc, v20, v18
	v_addc_co_u32_e32 v21, vcc, 0, v19, vcc
	v_mad_u64_u32 v[18:19], s[8:9], v18, s26, 0
	v_mov_b32_e32 v20, v19
	v_mad_u64_u32 v[20:21], s[8:9], v21, s26, v[20:21]
	v_sub_co_u32_e32 v12, vcc, v12, v18
	v_subb_co_u32_e32 v13, vcc, v13, v20, vcc
	v_subrev_co_u32_e32 v18, vcc, s26, v12
	v_subbrev_co_u32_e32 v19, vcc, 0, v13, vcc
	v_subrev_co_u32_e32 v20, vcc, s26, v18
	v_subbrev_co_u32_e32 v21, vcc, 0, v19, vcc
	v_cmp_lt_u32_e32 vcc, s27, v18
	v_cndmask_b32_e64 v22, 0, -1, vcc
	v_cmp_eq_u32_e32 vcc, 0, v19
	v_cndmask_b32_e32 v22, -1, v22, vcc
	v_cmp_ne_u32_e32 vcc, 0, v22
	v_cmp_lt_u32_e64 s[8:9], s27, v12
	v_cndmask_b32_e32 v19, v19, v21, vcc
	v_cndmask_b32_e64 v21, 0, -1, s[8:9]
	v_cmp_eq_u32_e64 s[8:9], 0, v13
	v_cndmask_b32_e64 v21, -1, v21, s[8:9]
	v_cmp_ne_u32_e64 s[8:9], 0, v21
	v_cndmask_b32_e32 v18, v18, v20, vcc
	v_cndmask_b32_e64 v13, v13, v19, s[8:9]
	v_cndmask_b32_e64 v12, v12, v18, s[8:9]
	s_branch .LBB29_676
.LBB29_679:
	s_or_b64 exec, exec, s[14:15]
	s_movk_i32 s6, 0x401
	s_add_u32 s6, 0x402, s6
	v_mov_b32_e32 v3, 0xfffff800
	s_addc_u32 s7, 0, 0
	v_add_co_u32_e32 v3, vcc, s6, v3
	s_cmp_lg_u64 vcc, 0
	v_readfirstlane_b32 s14, v3
	s_addc_u32 s6, s7, 1
	s_mul_hi_u32 s15, s14, 0x80000001
	s_mul_i32 s7, s6, 0x80000001
	s_sub_i32 s15, s15, s14
	s_add_i32 s15, s15, s7
	s_mul_i32 s17, s14, 0x80000001
	s_mul_hi_u32 s7, s14, s15
	s_mul_i32 s16, s14, s15
	s_mul_hi_u32 s14, s14, s17
	s_add_u32 s14, s14, s16
	s_addc_u32 s7, 0, s7
	s_mul_hi_u32 s18, s6, s17
	s_mul_i32 s17, s6, s17
	s_add_u32 s14, s14, s17
	s_mul_hi_u32 s16, s6, s15
	s_addc_u32 s7, s7, s18
	s_addc_u32 s14, s16, 0
	s_mul_i32 s15, s6, s15
	s_add_u32 s7, s7, s15
	s_addc_u32 s14, 0, s14
	v_add_co_u32_e32 v3, vcc, s7, v3
	s_cmp_lg_u64 vcc, 0
	s_addc_u32 s14, s6, s14
	v_mad_u64_u32 v[14:15], s[6:7], v16, s14, 0
	v_mul_hi_u32 v22, v16, v3
	v_add_co_u32_e32 v24, vcc, v22, v14
	v_addc_co_u32_e32 v25, vcc, 0, v15, vcc
	v_mad_u64_u32 v[22:23], s[6:7], v17, v3, 0
	v_add_co_u32_e32 v3, vcc, v24, v22
	v_mad_u64_u32 v[14:15], s[6:7], v17, s14, 0
	v_addc_co_u32_e32 v3, vcc, v25, v23, vcc
	v_addc_co_u32_e32 v15, vcc, 0, v15, vcc
	v_add_co_u32_e32 v3, vcc, v3, v14
	s_brev_b32 s14, -2
	v_addc_co_u32_e32 v23, vcc, 0, v15, vcc
	v_mad_u64_u32 v[14:15], s[6:7], v3, s14, 0
	v_mov_b32_e32 v22, v15
	v_mad_u64_u32 v[22:23], s[6:7], v23, s14, v[22:23]
	v_sub_co_u32_e32 v3, vcc, v16, v14
	v_subb_co_u32_e32 v14, vcc, v17, v22, vcc
	v_subrev_co_u32_e32 v15, vcc, 0x7fffffff, v3
	v_subbrev_co_u32_e32 v16, vcc, 0, v14, vcc
	s_mov_b32 s6, 0x7ffffffe
	v_cmp_lt_u32_e32 vcc, s6, v15
	v_cndmask_b32_e64 v17, 0, -1, vcc
	v_cmp_eq_u32_e32 vcc, 0, v16
	v_cndmask_b32_e32 v16, -1, v17, vcc
	v_add_u32_e32 v17, 0x80000001, v15
	v_cmp_ne_u32_e32 vcc, 0, v16
	v_cndmask_b32_e32 v15, v15, v17, vcc
	v_cmp_lt_u32_e32 vcc, s6, v3
	v_cndmask_b32_e64 v16, 0, -1, vcc
	v_cmp_eq_u32_e32 vcc, 0, v14
	v_cndmask_b32_e32 v14, -1, v16, vcc
	v_cmp_ne_u32_e32 vcc, 0, v14
	v_cndmask_b32_e32 v15, v3, v15, vcc
.LBB29_680:
	s_or_b64 exec, exec, s[10:11]
	s_movk_i32 s10, 0x1388
	v_mov_b32_e32 v14, 0
	s_mov_b32 s11, 0xbc8f1391
	s_mov_b32 s14, 0xbc8f
	s_brev_b32 s15, 12
	s_mov_b32 s16, 0xf800000
	v_mov_b32_e32 v3, 0x260
.LBB29_681:                             ; =>This Inner Loop Header: Depth=1
	v_mul_hi_u32 v16, v15, s11
	v_lshrrev_b32_e32 v16, 15, v16
	v_mul_u32_u24_e32 v22, 0xadc8, v16
	v_sub_u32_e32 v15, v15, v22
	v_mul_u32_u24_e32 v16, 0xd47, v16
	v_mul_lo_u32 v15, v15, s14
	v_xor_b32_e32 v22, 0x7fffffff, v16
	v_sub_u32_e32 v23, 0, v16
	v_cmp_lt_u32_e32 vcc, v15, v16
	v_cndmask_b32_e32 v16, v23, v22, vcc
	v_add_u32_e32 v15, v16, v15
	v_mul_hi_u32 v22, v15, s11
	v_lshrrev_b32_e32 v22, 15, v22
	v_mul_u32_u24_e32 v23, 0xadc8, v22
	v_add_u32_e32 v16, -1, v15
	v_sub_u32_e32 v15, v15, v23
	v_mul_u32_u24_e32 v22, 0xd47, v22
	v_mul_lo_u32 v15, v15, s14
	v_xor_b32_e32 v23, 0x7fffffff, v22
	v_sub_u32_e32 v24, 0, v22
	v_cmp_lt_u32_e32 vcc, v15, v22
	v_cndmask_b32_e32 v22, v24, v23, vcc
	v_add_u32_e32 v15, v22, v15
	v_mul_hi_u32 v23, v15, s11
	v_add_u32_e32 v22, -1, v15
	v_lshrrev_b32_e32 v23, 15, v23
	v_cvt_f32_u32_e32 v22, v22
	v_mul_u32_u24_e32 v24, 0xadc8, v23
	v_cvt_f32_u32_e32 v16, v16
	v_sub_u32_e32 v15, v15, v24
	v_mul_u32_u24_e32 v23, 0xd47, v23
	v_mul_lo_u32 v15, v15, s14
	v_xor_b32_e32 v24, 0x7fffffff, v23
	v_sub_u32_e32 v25, 0, v23
	v_cmp_lt_u32_e32 vcc, v15, v23
	v_fma_f32 v22, v22, s15, 0
	v_cndmask_b32_e32 v23, v25, v24, vcc
	v_fma_f32 v16, v16, s15, 0
	v_mul_f32_e32 v22, v22, v22
	v_add_u32_e32 v15, v23, v15
	v_fmac_f32_e32 v22, v16, v16
	v_mul_hi_u32 v23, v15, s11
	v_mul_f32_e32 v24, 0x4f800000, v22
	v_lshrrev_b32_e32 v23, 15, v23
	v_cmp_gt_f32_e32 vcc, s16, v22
	v_cndmask_b32_e32 v22, v22, v24, vcc
	v_mul_u32_u24_e32 v24, 0xadc8, v23
	v_add_u32_e32 v16, -1, v15
	v_sqrt_f32_e32 v25, v22
	v_sub_u32_e32 v15, v15, v24
	v_mul_u32_u24_e32 v23, 0xd47, v23
	v_mul_lo_u32 v15, v15, s14
	v_xor_b32_e32 v24, 0x7fffffff, v23
	v_sub_u32_e32 v26, 0, v23
	v_cmp_lt_u32_e64 s[6:7], v15, v23
	v_cndmask_b32_e64 v23, v26, v24, s[6:7]
	v_add_u32_e32 v15, v23, v15
	v_add_u32_e32 v23, -1, v25
	v_add_u32_e32 v24, 1, v25
	v_add_u32_e32 v26, -1, v15
	v_fma_f32 v27, -v23, v25, v22
	v_fma_f32 v28, -v24, v25, v22
	v_cvt_f32_u32_e32 v26, v26
	v_cmp_ge_f32_e64 s[6:7], 0, v27
	v_cvt_f32_u32_e32 v16, v16
	v_cndmask_b32_e64 v23, v25, v23, s[6:7]
	v_cmp_lt_f32_e64 s[6:7], 0, v28
	v_cndmask_b32_e64 v23, v23, v24, s[6:7]
	v_mul_f32_e32 v24, 0x37800000, v23
	v_cndmask_b32_e32 v23, v23, v24, vcc
	v_fma_f32 v24, v26, s15, 0
	v_cmp_class_f32_e32 vcc, v22, v3
	v_fma_f32 v16, v16, s15, 0
	v_cndmask_b32_e32 v22, v23, v22, vcc
	v_mul_f32_e32 v23, v24, v24
	v_add_f32_e32 v17, 1.0, v14
	v_cmp_nge_f32_e32 vcc, 1.0, v22
	v_fmac_f32_e32 v23, v16, v16
	v_cndmask_b32_e32 v14, v17, v14, vcc
	v_mul_f32_e32 v16, 0x4f800000, v23
	v_cmp_gt_f32_e32 vcc, s16, v23
	v_cndmask_b32_e32 v16, v23, v16, vcc
	v_sqrt_f32_e32 v22, v16
	s_add_i32 s10, s10, -2
	v_add_f32_e32 v17, 1.0, v14
	s_cmp_lg_u32 s10, 0
	v_add_u32_e32 v23, -1, v22
	v_add_u32_e32 v24, 1, v22
	v_fma_f32 v25, -v23, v22, v16
	v_fma_f32 v26, -v24, v22, v16
	v_cmp_ge_f32_e64 s[6:7], 0, v25
	v_cndmask_b32_e64 v22, v22, v23, s[6:7]
	v_cmp_lt_f32_e64 s[6:7], 0, v26
	v_cndmask_b32_e64 v22, v22, v24, s[6:7]
	v_mul_f32_e32 v23, 0x37800000, v22
	v_cndmask_b32_e32 v22, v22, v23, vcc
	v_cmp_class_f32_e32 vcc, v16, v3
	v_cndmask_b32_e32 v16, v22, v16, vcc
	v_cmp_nge_f32_e32 vcc, 1.0, v16
	v_cndmask_b32_e32 v14, v17, v14, vcc
	s_cbranch_scc1 .LBB29_681
; %bb.682:
	v_mul_f32_e32 v3, 4.0, v14
	s_mov_b32 s10, 0x459c4000
	v_div_scale_f32 v14, s[6:7], s10, s10, v3
	v_rcp_f32_e32 v15, v14
	v_fma_f32 v16, -v14, v15, 1.0
	v_fmac_f32_e32 v15, v16, v15
	v_div_scale_f32 v16, vcc, v3, s10, v3
	v_mul_f32_e32 v17, v16, v15
	v_fma_f32 v22, -v14, v17, v16
	v_fmac_f32_e32 v17, v22, v15
	v_fma_f32 v14, -v14, v17, v16
	v_div_fmas_f32 v14, v14, v15, v17
	v_div_fixup_f32 v3, v14, s10, v3
.LBB29_683:
	s_or_b64 exec, exec, s[8:9]
	v_add_u32_e32 v14, 0x100, v19
	v_cmp_lt_u32_e64 s[6:7], v14, v20
	s_and_saveexec_b64 s[10:11], s[6:7]
	s_cbranch_execz .LBB29_723
; %bb.684:
	v_add_u32_e32 v4, v21, v14
	s_movk_i32 s8, 0x1388
	v_mul_lo_u32 v14, v4, s8
	v_cmp_ne_u32_e32 vcc, 0, v14
	v_mov_b32_e32 v15, 1
	s_and_saveexec_b64 s[14:15], vcc
	s_cbranch_execz .LBB29_720
; %bb.685:
	v_mov_b32_e32 v16, 1
	v_mov_b32_e32 v15, 0
	s_mov_b64 s[18:19], 0xbc8f
	s_mov_b64 s[16:17], 0
	v_mov_b32_e32 v17, 0
	s_brev_b32 s26, -2
	s_mov_b32 s27, 0x7ffffffe
	v_mov_b32_e32 v4, 0xfffff800
	s_movk_i32 s28, 0x401
	s_branch .LBB29_687
.LBB29_686:                             ;   in Loop: Header=BB29_687 Depth=1
	s_or_b64 exec, exec, s[20:21]
	s_mul_i32 s8, s18, s19
	s_mul_hi_u32 s9, s18, s18
	s_add_i32 s9, s9, s8
	s_add_i32 s8, s9, s8
	s_mul_i32 s9, s18, s18
	s_add_u32 s18, 0x402, s28
	s_addc_u32 s19, 0, 0
	v_add_co_u32_e32 v24, vcc, s18, v4
	s_cmp_lg_u64 vcc, 0
	v_readfirstlane_b32 s20, v24
	s_addc_u32 s18, s19, 1
	s_mul_hi_u32 s21, s20, 0x80000001
	s_mul_i32 s19, s18, 0x80000001
	s_sub_i32 s21, s21, s20
	s_add_i32 s21, s21, s19
	s_mul_i32 vcc_lo, s20, 0x80000001
	s_mul_hi_u32 s19, s20, s21
	s_mul_i32 s29, s20, s21
	s_mul_hi_u32 s20, s20, vcc_lo
	s_add_u32 s20, s20, s29
	s_addc_u32 s19, 0, s19
	s_mul_hi_u32 vcc_hi, s18, vcc_lo
	s_mul_i32 vcc_lo, s18, vcc_lo
	s_add_u32 s20, s20, vcc_lo
	s_mul_hi_u32 s29, s18, s21
	s_addc_u32 s19, s19, vcc_hi
	s_addc_u32 s20, s29, 0
	s_mul_i32 s21, s18, s21
	s_add_u32 s19, s19, s21
	s_addc_u32 s20, 0, s20
	v_add_co_u32_e32 v24, vcc, s19, v24
	s_cmp_lg_u64 vcc, 0
	s_addc_u32 s18, s18, s20
	v_readfirstlane_b32 s21, v24
	s_mul_i32 s20, s9, s18
	s_mul_hi_u32 s29, s9, s21
	s_mul_hi_u32 s19, s9, s18
	s_add_u32 s20, s29, s20
	s_addc_u32 s19, 0, s19
	s_mul_hi_u32 vcc_lo, s8, s21
	s_mul_i32 s21, s8, s21
	s_add_u32 s20, s20, s21
	s_mul_hi_u32 s29, s8, s18
	s_addc_u32 s19, s19, vcc_lo
	s_addc_u32 s20, s29, 0
	s_mul_i32 s18, s8, s18
	s_add_u32 s18, s19, s18
	s_addc_u32 s19, 0, s20
	s_mul_hi_u32 s20, s18, 0x7fffffff
	s_mul_i32 s18, s18, 0x7fffffff
	s_mul_i32 s19, s19, 0x7fffffff
	v_mov_b32_e32 v24, s18
	s_add_i32 s20, s20, s19
	v_sub_co_u32_e32 v24, vcc, s9, v24
	s_cmp_lg_u64 vcc, 0
	s_subb_u32 s8, s8, s20
	v_subrev_co_u32_e32 v25, vcc, s26, v24
	s_cmp_lg_u64 vcc, 0
	s_subb_u32 s9, s8, 0
	v_subrev_co_u32_e32 v26, vcc, s26, v25
	s_cmp_lg_u64 vcc, 0
	s_subb_u32 s18, s9, 0
	v_readfirstlane_b32 s19, v25
	s_cmp_gt_u32 s19, 0x7ffffffe
	s_cselect_b32 s20, -1, 0
	s_cmp_eq_u32 s9, 0
	s_cselect_b32 s20, s20, -1
	s_cmp_lg_u32 s20, 0
	s_cselect_b32 s9, s18, s9
	v_readfirstlane_b32 s18, v26
	v_readfirstlane_b32 s20, v24
	s_cselect_b32 s18, s18, s19
	s_cmp_gt_u32 s20, 0x7ffffffe
	s_cselect_b32 s19, -1, 0
	s_cmp_eq_u32 s8, 0
	s_cselect_b32 s19, s19, -1
	v_lshrrev_b64 v[22:23], 1, v[14:15]
	s_cmp_lg_u32 s19, 0
	v_cmp_gt_u64_e32 vcc, 2, v[14:15]
	s_cselect_b32 s19, s9, s8
	s_cselect_b32 s18, s18, s20
	s_or_b64 s[16:17], vcc, s[16:17]
	v_pk_mov_b32 v[14:15], v[22:23], v[22:23] op_sel:[0,1]
	s_andn2_b64 exec, exec, s[16:17]
	s_cbranch_execz .LBB29_719
.LBB29_687:                             ; =>This Inner Loop Header: Depth=1
	v_and_b32_e32 v22, 1, v14
	v_cmp_eq_u32_e32 vcc, 1, v22
	s_and_saveexec_b64 s[20:21], vcc
	s_cbranch_execz .LBB29_686
; %bb.688:                              ;   in Loop: Header=BB29_687 Depth=1
	v_mul_lo_u32 v22, s19, v16
	v_mul_lo_u32 v23, s18, v17
	v_mad_u64_u32 v[16:17], s[8:9], s18, v16, 0
	s_add_u32 s8, 0x402, s28
	v_add3_u32 v17, v17, v23, v22
	s_addc_u32 s9, 0, 0
	v_add_co_u32_e32 v22, vcc, s8, v4
	s_cmp_lg_u64 vcc, 0
	v_readfirstlane_b32 s29, v22
	s_addc_u32 s8, s9, 1
	s_mul_hi_u32 vcc_lo, s29, 0x80000001
	s_mul_i32 s9, s8, 0x80000001
	s_sub_i32 vcc_lo, vcc_lo, s29
	s_add_i32 vcc_lo, vcc_lo, s9
	s_mul_i32 s30, s29, 0x80000001
	s_mul_hi_u32 s9, s29, vcc_lo
	s_mul_i32 vcc_hi, s29, vcc_lo
	s_mul_hi_u32 s29, s29, s30
	s_add_u32 s29, s29, vcc_hi
	s_addc_u32 s9, 0, s9
	s_mul_hi_u32 s31, s8, s30
	s_mul_i32 s30, s8, s30
	s_add_u32 s29, s29, s30
	s_mul_hi_u32 vcc_hi, s8, vcc_lo
	s_addc_u32 s9, s9, s31
	s_addc_u32 s29, vcc_hi, 0
	s_mul_i32 vcc_lo, s8, vcc_lo
	s_add_u32 s9, s9, vcc_lo
	s_addc_u32 s29, 0, s29
	v_add_co_u32_e32 v24, vcc, s9, v22
	s_cmp_lg_u64 vcc, 0
	s_addc_u32 s29, s8, s29
	v_mad_u64_u32 v[22:23], s[8:9], v16, s29, 0
	v_mul_hi_u32 v25, v16, v24
	v_add_co_u32_e32 v26, vcc, v25, v22
	v_addc_co_u32_e32 v27, vcc, 0, v23, vcc
	v_mad_u64_u32 v[24:25], s[8:9], v17, v24, 0
	v_add_co_u32_e32 v24, vcc, v26, v24
	v_mad_u64_u32 v[22:23], s[8:9], v17, s29, 0
	v_addc_co_u32_e32 v24, vcc, v27, v25, vcc
	v_addc_co_u32_e32 v23, vcc, 0, v23, vcc
	v_add_co_u32_e32 v22, vcc, v24, v22
	v_addc_co_u32_e32 v25, vcc, 0, v23, vcc
	v_mad_u64_u32 v[22:23], s[8:9], v22, s26, 0
	v_mov_b32_e32 v24, v23
	v_mad_u64_u32 v[24:25], s[8:9], v25, s26, v[24:25]
	v_sub_co_u32_e32 v16, vcc, v16, v22
	v_subb_co_u32_e32 v17, vcc, v17, v24, vcc
	v_subrev_co_u32_e32 v22, vcc, s26, v16
	v_subbrev_co_u32_e32 v23, vcc, 0, v17, vcc
	v_subrev_co_u32_e32 v24, vcc, s26, v22
	v_subbrev_co_u32_e32 v25, vcc, 0, v23, vcc
	v_cmp_lt_u32_e32 vcc, s27, v22
	v_cndmask_b32_e64 v26, 0, -1, vcc
	v_cmp_eq_u32_e32 vcc, 0, v23
	v_cndmask_b32_e32 v26, -1, v26, vcc
	v_cmp_ne_u32_e32 vcc, 0, v26
	v_cmp_lt_u32_e64 s[8:9], s27, v16
	v_cndmask_b32_e32 v23, v23, v25, vcc
	v_cndmask_b32_e64 v25, 0, -1, s[8:9]
	v_cmp_eq_u32_e64 s[8:9], 0, v17
	v_cndmask_b32_e64 v25, -1, v25, s[8:9]
	v_cmp_ne_u32_e64 s[8:9], 0, v25
	v_cndmask_b32_e32 v22, v22, v24, vcc
	v_cndmask_b32_e64 v17, v17, v23, s[8:9]
	v_cndmask_b32_e64 v16, v16, v22, s[8:9]
	s_branch .LBB29_686
.LBB29_689:
	s_or_b64 exec, exec, s[14:15]
	s_movk_i32 s6, 0x401
	s_add_u32 s6, 0x402, s6
	v_mov_b32_e32 v3, 0xfffff800
	s_addc_u32 s7, 0, 0
	v_add_co_u32_e32 v3, vcc, s6, v3
	s_cmp_lg_u64 vcc, 0
	v_readfirstlane_b32 s14, v3
	s_addc_u32 s6, s7, 1
	s_mul_hi_u32 s15, s14, 0x80000001
	s_mul_i32 s7, s6, 0x80000001
	s_sub_i32 s15, s15, s14
	s_add_i32 s15, s15, s7
	s_mul_i32 s17, s14, 0x80000001
	s_mul_hi_u32 s7, s14, s15
	s_mul_i32 s16, s14, s15
	s_mul_hi_u32 s14, s14, s17
	s_add_u32 s14, s14, s16
	s_addc_u32 s7, 0, s7
	s_mul_hi_u32 s18, s6, s17
	s_mul_i32 s17, s6, s17
	s_add_u32 s14, s14, s17
	s_mul_hi_u32 s16, s6, s15
	s_addc_u32 s7, s7, s18
	s_addc_u32 s14, s16, 0
	s_mul_i32 s15, s6, s15
	s_add_u32 s7, s7, s15
	s_addc_u32 s14, 0, s14
	v_add_co_u32_e32 v3, vcc, s7, v3
	s_cmp_lg_u64 vcc, 0
	s_addc_u32 s14, s6, s14
	v_mad_u64_u32 v[22:23], s[6:7], v24, s14, 0
	v_mul_hi_u32 v30, v24, v3
	v_add_co_u32_e32 v30, vcc, v30, v22
	v_addc_co_u32_e32 v34, vcc, 0, v23, vcc
	v_mad_u64_u32 v[32:33], s[6:7], v25, v3, 0
	v_add_co_u32_e32 v3, vcc, v30, v32
	v_mad_u64_u32 v[22:23], s[6:7], v25, s14, 0
	v_addc_co_u32_e32 v3, vcc, v34, v33, vcc
	v_addc_co_u32_e32 v23, vcc, 0, v23, vcc
	v_add_co_u32_e32 v3, vcc, v3, v22
	s_brev_b32 s14, -2
	v_addc_co_u32_e32 v32, vcc, 0, v23, vcc
	v_mad_u64_u32 v[22:23], s[6:7], v3, s14, 0
	v_mov_b32_e32 v30, v23
	v_mad_u64_u32 v[32:33], s[6:7], v32, s14, v[30:31]
	v_sub_co_u32_e32 v3, vcc, v24, v22
	v_subb_co_u32_e32 v22, vcc, v25, v32, vcc
	v_subrev_co_u32_e32 v23, vcc, 0x7fffffff, v3
	v_subbrev_co_u32_e32 v24, vcc, 0, v22, vcc
	s_mov_b32 s6, 0x7ffffffe
	v_cmp_lt_u32_e32 vcc, s6, v23
	v_cndmask_b32_e64 v25, 0, -1, vcc
	v_cmp_eq_u32_e32 vcc, 0, v24
	v_cndmask_b32_e32 v24, -1, v25, vcc
	v_add_u32_e32 v25, 0x80000001, v23
	v_cmp_ne_u32_e32 vcc, 0, v24
	v_cndmask_b32_e32 v23, v23, v25, vcc
	v_cmp_lt_u32_e32 vcc, s6, v3
	v_cndmask_b32_e64 v24, 0, -1, vcc
	v_cmp_eq_u32_e32 vcc, 0, v22
	v_cndmask_b32_e32 v22, -1, v24, vcc
	v_cmp_ne_u32_e32 vcc, 0, v22
	v_cndmask_b32_e32 v23, v3, v23, vcc
.LBB29_690:
	s_or_b64 exec, exec, s[10:11]
	s_movk_i32 s10, 0x1388
	v_mov_b32_e32 v22, 0
	s_mov_b32 s11, 0xbc8f1391
	s_mov_b32 s14, 0xbc8f
	s_brev_b32 s15, 12
	s_mov_b32 s16, 0xf800000
	v_mov_b32_e32 v3, 0x260
.LBB29_691:                             ; =>This Inner Loop Header: Depth=1
	v_mul_hi_u32 v24, v23, s11
	v_lshrrev_b32_e32 v24, 15, v24
	v_mul_u32_u24_e32 v30, 0xadc8, v24
	v_sub_u32_e32 v23, v23, v30
	v_mul_u32_u24_e32 v24, 0xd47, v24
	v_mul_lo_u32 v23, v23, s14
	v_xor_b32_e32 v30, 0x7fffffff, v24
	v_sub_u32_e32 v32, 0, v24
	v_cmp_lt_u32_e32 vcc, v23, v24
	v_cndmask_b32_e32 v24, v32, v30, vcc
	v_add_u32_e32 v23, v24, v23
	v_mul_hi_u32 v30, v23, s11
	v_lshrrev_b32_e32 v30, 15, v30
	v_mul_u32_u24_e32 v32, 0xadc8, v30
	v_add_u32_e32 v24, -1, v23
	v_sub_u32_e32 v23, v23, v32
	v_mul_u32_u24_e32 v30, 0xd47, v30
	v_mul_lo_u32 v23, v23, s14
	v_xor_b32_e32 v32, 0x7fffffff, v30
	v_sub_u32_e32 v33, 0, v30
	v_cmp_lt_u32_e32 vcc, v23, v30
	v_cndmask_b32_e32 v30, v33, v32, vcc
	v_add_u32_e32 v23, v30, v23
	v_mul_hi_u32 v32, v23, s11
	v_add_u32_e32 v30, -1, v23
	v_lshrrev_b32_e32 v32, 15, v32
	v_cvt_f32_u32_e32 v30, v30
	v_mul_u32_u24_e32 v33, 0xadc8, v32
	v_cvt_f32_u32_e32 v24, v24
	v_sub_u32_e32 v23, v23, v33
	v_mul_u32_u24_e32 v32, 0xd47, v32
	v_mul_lo_u32 v23, v23, s14
	v_xor_b32_e32 v33, 0x7fffffff, v32
	v_sub_u32_e32 v34, 0, v32
	v_cmp_lt_u32_e32 vcc, v23, v32
	v_fma_f32 v30, v30, s15, 0
	v_cndmask_b32_e32 v32, v34, v33, vcc
	v_fma_f32 v24, v24, s15, 0
	v_mul_f32_e32 v30, v30, v30
	v_add_u32_e32 v23, v32, v23
	v_fmac_f32_e32 v30, v24, v24
	v_mul_hi_u32 v32, v23, s11
	v_mul_f32_e32 v33, 0x4f800000, v30
	v_lshrrev_b32_e32 v32, 15, v32
	v_cmp_gt_f32_e32 vcc, s16, v30
	v_cndmask_b32_e32 v30, v30, v33, vcc
	v_mul_u32_u24_e32 v33, 0xadc8, v32
	v_add_u32_e32 v24, -1, v23
	v_sqrt_f32_e32 v34, v30
	v_sub_u32_e32 v23, v23, v33
	v_mul_u32_u24_e32 v32, 0xd47, v32
	v_mul_lo_u32 v23, v23, s14
	v_xor_b32_e32 v33, 0x7fffffff, v32
	v_sub_u32_e32 v35, 0, v32
	v_cmp_lt_u32_e64 s[6:7], v23, v32
	v_cndmask_b32_e64 v32, v35, v33, s[6:7]
	v_add_u32_e32 v23, v32, v23
	v_add_u32_e32 v32, -1, v34
	v_add_u32_e32 v33, 1, v34
	v_add_u32_e32 v35, -1, v23
	v_fma_f32 v36, -v32, v34, v30
	v_fma_f32 v37, -v33, v34, v30
	v_cvt_f32_u32_e32 v35, v35
	v_cmp_ge_f32_e64 s[6:7], 0, v36
	v_cvt_f32_u32_e32 v24, v24
	v_cndmask_b32_e64 v32, v34, v32, s[6:7]
	v_cmp_lt_f32_e64 s[6:7], 0, v37
	v_cndmask_b32_e64 v32, v32, v33, s[6:7]
	v_mul_f32_e32 v33, 0x37800000, v32
	v_cndmask_b32_e32 v32, v32, v33, vcc
	v_fma_f32 v33, v35, s15, 0
	v_cmp_class_f32_e32 vcc, v30, v3
	v_fma_f32 v24, v24, s15, 0
	v_cndmask_b32_e32 v30, v32, v30, vcc
	v_mul_f32_e32 v32, v33, v33
	v_add_f32_e32 v25, 1.0, v22
	v_cmp_nge_f32_e32 vcc, 1.0, v30
	v_fmac_f32_e32 v32, v24, v24
	v_cndmask_b32_e32 v22, v25, v22, vcc
	v_mul_f32_e32 v24, 0x4f800000, v32
	v_cmp_gt_f32_e32 vcc, s16, v32
	v_cndmask_b32_e32 v24, v32, v24, vcc
	v_sqrt_f32_e32 v30, v24
	s_add_i32 s10, s10, -2
	v_add_f32_e32 v25, 1.0, v22
	s_cmp_lg_u32 s10, 0
	v_add_u32_e32 v32, -1, v30
	v_add_u32_e32 v33, 1, v30
	v_fma_f32 v34, -v32, v30, v24
	v_fma_f32 v35, -v33, v30, v24
	v_cmp_ge_f32_e64 s[6:7], 0, v34
	v_cndmask_b32_e64 v30, v30, v32, s[6:7]
	v_cmp_lt_f32_e64 s[6:7], 0, v35
	v_cndmask_b32_e64 v30, v30, v33, s[6:7]
	v_mul_f32_e32 v32, 0x37800000, v30
	v_cndmask_b32_e32 v30, v30, v32, vcc
	v_cmp_class_f32_e32 vcc, v24, v3
	v_cndmask_b32_e32 v24, v30, v24, vcc
	v_cmp_nge_f32_e32 vcc, 1.0, v24
	v_cndmask_b32_e32 v22, v25, v22, vcc
	s_cbranch_scc1 .LBB29_691
; %bb.692:
	v_mul_f32_e32 v3, 4.0, v22
	s_mov_b32 s10, 0x459c4000
	v_div_scale_f32 v22, s[6:7], s10, s10, v3
	v_rcp_f32_e32 v23, v22
	v_fma_f32 v24, -v22, v23, 1.0
	v_fmac_f32_e32 v23, v24, v23
	v_div_scale_f32 v24, vcc, v3, s10, v3
	v_mul_f32_e32 v25, v24, v23
	v_fma_f32 v30, -v22, v25, v24
	v_fmac_f32_e32 v25, v30, v23
	v_fma_f32 v22, -v22, v25, v24
	v_div_fmas_f32 v22, v22, v23, v25
	v_div_fixup_f32 v3, v22, s10, v3
.LBB29_693:
	s_or_b64 exec, exec, s[8:9]
	v_add_u32_e32 v22, 0x100, v27
	v_cmp_lt_u32_e64 s[6:7], v22, v28
	s_and_saveexec_b64 s[10:11], s[6:7]
	s_cbranch_execz .LBB29_733
; %bb.694:
	v_add_u32_e32 v4, v29, v22
	s_movk_i32 s8, 0x1388
	v_mul_lo_u32 v22, v4, s8
	v_cmp_ne_u32_e32 vcc, 0, v22
	v_mov_b32_e32 v23, 1
	s_and_saveexec_b64 s[14:15], vcc
	s_cbranch_execz .LBB29_730
; %bb.695:
	v_mov_b32_e32 v24, 1
	v_mov_b32_e32 v23, 0
	s_mov_b64 s[18:19], 0xbc8f
	s_mov_b64 s[16:17], 0
	v_mov_b32_e32 v25, 0
	s_brev_b32 s22, -2
	s_mov_b32 s23, 0x7ffffffe
	v_mov_b32_e32 v4, 0xfffff800
	s_movk_i32 s24, 0x401
	s_branch .LBB29_697
.LBB29_696:                             ;   in Loop: Header=BB29_697 Depth=1
	s_or_b64 exec, exec, s[20:21]
	s_mul_i32 s8, s18, s19
	s_mul_hi_u32 s9, s18, s18
	s_add_i32 s9, s9, s8
	s_add_i32 s8, s9, s8
	s_mul_i32 s9, s18, s18
	s_add_u32 s18, 0x402, s24
	s_addc_u32 s19, 0, 0
	v_add_co_u32_e32 v30, vcc, s18, v4
	s_cmp_lg_u64 vcc, 0
	v_readfirstlane_b32 s20, v30
	s_addc_u32 s18, s19, 1
	s_mul_hi_u32 s21, s20, 0x80000001
	s_mul_i32 s19, s18, 0x80000001
	s_sub_i32 s21, s21, s20
	s_add_i32 s21, s21, s19
	s_mul_i32 s26, s20, 0x80000001
	s_mul_hi_u32 s19, s20, s21
	s_mul_i32 s25, s20, s21
	s_mul_hi_u32 s20, s20, s26
	s_add_u32 s20, s20, s25
	s_addc_u32 s19, 0, s19
	s_mul_hi_u32 s27, s18, s26
	s_mul_i32 s26, s18, s26
	s_add_u32 s20, s20, s26
	s_mul_hi_u32 s25, s18, s21
	s_addc_u32 s19, s19, s27
	s_addc_u32 s20, s25, 0
	s_mul_i32 s21, s18, s21
	s_add_u32 s19, s19, s21
	s_addc_u32 s20, 0, s20
	v_add_co_u32_e32 v30, vcc, s19, v30
	s_cmp_lg_u64 vcc, 0
	s_addc_u32 s18, s18, s20
	v_readfirstlane_b32 s21, v30
	s_mul_i32 s20, s9, s18
	s_mul_hi_u32 s25, s9, s21
	s_mul_hi_u32 s19, s9, s18
	s_add_u32 s20, s25, s20
	s_addc_u32 s19, 0, s19
	s_mul_hi_u32 s26, s8, s21
	s_mul_i32 s21, s8, s21
	s_add_u32 s20, s20, s21
	s_mul_hi_u32 s25, s8, s18
	s_addc_u32 s19, s19, s26
	s_addc_u32 s20, s25, 0
	s_mul_i32 s18, s8, s18
	s_add_u32 s18, s19, s18
	s_addc_u32 s19, 0, s20
	s_mul_hi_u32 s20, s18, 0x7fffffff
	s_mul_i32 s18, s18, 0x7fffffff
	s_mul_i32 s19, s19, 0x7fffffff
	v_mov_b32_e32 v30, s18
	s_add_i32 s20, s20, s19
	v_sub_co_u32_e32 v30, vcc, s9, v30
	s_cmp_lg_u64 vcc, 0
	s_subb_u32 s8, s8, s20
	v_subrev_co_u32_e32 v34, vcc, s22, v30
	s_cmp_lg_u64 vcc, 0
	s_subb_u32 s9, s8, 0
	v_subrev_co_u32_e32 v35, vcc, s22, v34
	s_cmp_lg_u64 vcc, 0
	s_subb_u32 s18, s9, 0
	v_readfirstlane_b32 s19, v34
	s_cmp_gt_u32 s19, 0x7ffffffe
	s_cselect_b32 s20, -1, 0
	s_cmp_eq_u32 s9, 0
	s_cselect_b32 s20, s20, -1
	s_cmp_lg_u32 s20, 0
	s_cselect_b32 s9, s18, s9
	v_readfirstlane_b32 s18, v35
	v_readfirstlane_b32 s20, v30
	s_cselect_b32 s18, s18, s19
	s_cmp_gt_u32 s20, 0x7ffffffe
	s_cselect_b32 s19, -1, 0
	s_cmp_eq_u32 s8, 0
	s_cselect_b32 s19, s19, -1
	v_lshrrev_b64 v[32:33], 1, v[22:23]
	s_cmp_lg_u32 s19, 0
	v_cmp_gt_u64_e32 vcc, 2, v[22:23]
	s_cselect_b32 s19, s9, s8
	s_cselect_b32 s18, s18, s20
	s_or_b64 s[16:17], vcc, s[16:17]
	v_pk_mov_b32 v[22:23], v[32:33], v[32:33] op_sel:[0,1]
	s_andn2_b64 exec, exec, s[16:17]
	s_cbranch_execz .LBB29_729
.LBB29_697:                             ; =>This Inner Loop Header: Depth=1
	v_and_b32_e32 v30, 1, v22
	v_cmp_eq_u32_e32 vcc, 1, v30
	s_and_saveexec_b64 s[20:21], vcc
	s_cbranch_execz .LBB29_696
; %bb.698:                              ;   in Loop: Header=BB29_697 Depth=1
	v_mul_lo_u32 v30, s19, v24
	v_mul_lo_u32 v32, s18, v25
	v_mad_u64_u32 v[24:25], s[8:9], s18, v24, 0
	s_add_u32 s8, 0x402, s24
	v_add3_u32 v25, v25, v32, v30
	s_addc_u32 s9, 0, 0
	v_add_co_u32_e32 v30, vcc, s8, v4
	s_cmp_lg_u64 vcc, 0
	v_readfirstlane_b32 s25, v30
	s_addc_u32 s8, s9, 1
	s_mul_hi_u32 s26, s25, 0x80000001
	s_mul_i32 s9, s8, 0x80000001
	s_sub_i32 s26, s26, s25
	s_add_i32 s26, s26, s9
	s_mul_i32 s28, s25, 0x80000001
	s_mul_hi_u32 s9, s25, s26
	s_mul_i32 s27, s25, s26
	s_mul_hi_u32 s25, s25, s28
	s_add_u32 s25, s25, s27
	s_addc_u32 s9, 0, s9
	s_mul_hi_u32 s29, s8, s28
	s_mul_i32 s28, s8, s28
	s_add_u32 s25, s25, s28
	s_mul_hi_u32 s27, s8, s26
	s_addc_u32 s9, s9, s29
	s_addc_u32 s25, s27, 0
	s_mul_i32 s26, s8, s26
	s_add_u32 s9, s9, s26
	s_addc_u32 s25, 0, s25
	v_add_co_u32_e32 v30, vcc, s9, v30
	s_cmp_lg_u64 vcc, 0
	s_addc_u32 s25, s8, s25
	v_mad_u64_u32 v[32:33], s[8:9], v24, s25, 0
	v_mul_hi_u32 v34, v24, v30
	v_add_co_u32_e32 v36, vcc, v34, v32
	v_addc_co_u32_e32 v37, vcc, 0, v33, vcc
	v_mad_u64_u32 v[34:35], s[8:9], v25, v30, 0
	v_add_co_u32_e32 v30, vcc, v36, v34
	v_mad_u64_u32 v[32:33], s[8:9], v25, s25, 0
	v_addc_co_u32_e32 v30, vcc, v37, v35, vcc
	v_addc_co_u32_e32 v33, vcc, 0, v33, vcc
	v_add_co_u32_e32 v30, vcc, v30, v32
	v_addc_co_u32_e32 v34, vcc, 0, v33, vcc
	v_mad_u64_u32 v[32:33], s[8:9], v30, s22, 0
	v_mov_b32_e32 v30, v33
	v_mad_u64_u32 v[34:35], s[8:9], v34, s22, v[30:31]
	v_sub_co_u32_e32 v24, vcc, v24, v32
	v_subb_co_u32_e32 v25, vcc, v25, v34, vcc
	v_subrev_co_u32_e32 v30, vcc, s22, v24
	v_subbrev_co_u32_e32 v32, vcc, 0, v25, vcc
	v_subrev_co_u32_e32 v33, vcc, s22, v30
	v_subbrev_co_u32_e32 v34, vcc, 0, v32, vcc
	v_cmp_lt_u32_e32 vcc, s23, v30
	v_cndmask_b32_e64 v35, 0, -1, vcc
	v_cmp_eq_u32_e32 vcc, 0, v32
	v_cndmask_b32_e32 v35, -1, v35, vcc
	v_cmp_ne_u32_e32 vcc, 0, v35
	v_cmp_lt_u32_e64 s[8:9], s23, v24
	v_cndmask_b32_e32 v32, v32, v34, vcc
	v_cndmask_b32_e64 v34, 0, -1, s[8:9]
	v_cmp_eq_u32_e64 s[8:9], 0, v25
	v_cndmask_b32_e64 v34, -1, v34, s[8:9]
	v_cmp_ne_u32_e64 s[8:9], 0, v34
	v_cndmask_b32_e32 v30, v30, v33, vcc
	v_cndmask_b32_e64 v25, v25, v32, s[8:9]
	v_cndmask_b32_e64 v24, v24, v30, s[8:9]
	s_branch .LBB29_696
.LBB29_699:
	s_or_b64 exec, exec, s[14:15]
	s_movk_i32 s6, 0x401
	s_add_u32 s6, 0x402, s6
	v_mov_b32_e32 v4, 0xfffff800
	s_addc_u32 s7, 0, 0
	v_add_co_u32_e32 v4, vcc, s6, v4
	s_cmp_lg_u64 vcc, 0
	v_readfirstlane_b32 s14, v4
	s_addc_u32 s6, s7, 1
	s_mul_hi_u32 s15, s14, 0x80000001
	s_mul_i32 s7, s6, 0x80000001
	s_sub_i32 s15, s15, s14
	s_add_i32 s15, s15, s7
	s_mul_i32 s17, s14, 0x80000001
	s_mul_hi_u32 s7, s14, s15
	s_mul_i32 s16, s14, s15
	s_mul_hi_u32 s14, s14, s17
	s_add_u32 s14, s14, s16
	s_addc_u32 s7, 0, s7
	s_mul_hi_u32 s18, s6, s17
	s_mul_i32 s17, s6, s17
	s_add_u32 s14, s14, s17
	s_mul_hi_u32 s16, s6, s15
	s_addc_u32 s7, s7, s18
	s_addc_u32 s14, s16, 0
	s_mul_i32 s15, s6, s15
	s_add_u32 s7, s7, s15
	s_addc_u32 s14, 0, s14
	v_add_co_u32_e32 v13, vcc, s7, v4
	s_cmp_lg_u64 vcc, 0
	s_addc_u32 s14, s6, s14
	v_mad_u64_u32 v[4:5], s[6:7], v6, s14, 0
	v_mul_hi_u32 v14, v6, v13
	v_add_co_u32_e32 v16, vcc, v14, v4
	v_addc_co_u32_e32 v17, vcc, 0, v5, vcc
	v_mad_u64_u32 v[14:15], s[6:7], v7, v13, 0
	v_add_co_u32_e32 v13, vcc, v16, v14
	v_mad_u64_u32 v[4:5], s[6:7], v7, s14, 0
	v_addc_co_u32_e32 v13, vcc, v17, v15, vcc
	v_addc_co_u32_e32 v5, vcc, 0, v5, vcc
	v_add_co_u32_e32 v4, vcc, v13, v4
	s_brev_b32 s14, -2
	v_addc_co_u32_e32 v13, vcc, 0, v5, vcc
	v_mad_u64_u32 v[4:5], s[6:7], v4, s14, 0
	v_mov_b32_e32 v14, v5
	v_mad_u64_u32 v[14:15], s[6:7], v13, s14, v[14:15]
	v_sub_co_u32_e32 v4, vcc, v6, v4
	v_subb_co_u32_e32 v5, vcc, v7, v14, vcc
	v_subrev_co_u32_e32 v6, vcc, 0x7fffffff, v4
	v_subbrev_co_u32_e32 v7, vcc, 0, v5, vcc
	s_mov_b32 s6, 0x7ffffffe
	v_cmp_lt_u32_e32 vcc, s6, v6
	v_cndmask_b32_e64 v13, 0, -1, vcc
	v_cmp_eq_u32_e32 vcc, 0, v7
	v_cndmask_b32_e32 v7, -1, v13, vcc
	v_add_u32_e32 v13, 0x80000001, v6
	v_cmp_ne_u32_e32 vcc, 0, v7
	v_cndmask_b32_e32 v6, v6, v13, vcc
	v_cmp_lt_u32_e32 vcc, s6, v4
	v_cndmask_b32_e64 v7, 0, -1, vcc
	v_cmp_eq_u32_e32 vcc, 0, v5
	v_cndmask_b32_e32 v5, -1, v7, vcc
	v_cmp_ne_u32_e32 vcc, 0, v5
	v_cndmask_b32_e32 v6, v4, v6, vcc
.LBB29_700:
	s_or_b64 exec, exec, s[10:11]
	s_movk_i32 s10, 0x1388
	v_mov_b32_e32 v5, 0
	s_mov_b32 s11, 0xbc8f1391
	s_mov_b32 s14, 0xbc8f
	s_brev_b32 s15, 12
	s_mov_b32 s16, 0xf800000
	v_mov_b32_e32 v4, 0x260
.LBB29_701:                             ; =>This Inner Loop Header: Depth=1
	v_mul_hi_u32 v7, v6, s11
	v_lshrrev_b32_e32 v7, 15, v7
	v_mul_u32_u24_e32 v14, 0xadc8, v7
	v_sub_u32_e32 v6, v6, v14
	v_mul_u32_u24_e32 v7, 0xd47, v7
	v_mul_lo_u32 v6, v6, s14
	v_xor_b32_e32 v14, 0x7fffffff, v7
	v_sub_u32_e32 v15, 0, v7
	v_cmp_lt_u32_e32 vcc, v6, v7
	v_cndmask_b32_e32 v7, v15, v14, vcc
	v_add_u32_e32 v6, v7, v6
	v_mul_hi_u32 v14, v6, s11
	v_lshrrev_b32_e32 v14, 15, v14
	v_mul_u32_u24_e32 v15, 0xadc8, v14
	v_add_u32_e32 v7, -1, v6
	v_sub_u32_e32 v6, v6, v15
	v_mul_u32_u24_e32 v14, 0xd47, v14
	v_mul_lo_u32 v6, v6, s14
	v_xor_b32_e32 v15, 0x7fffffff, v14
	v_sub_u32_e32 v16, 0, v14
	v_cmp_lt_u32_e32 vcc, v6, v14
	v_cndmask_b32_e32 v14, v16, v15, vcc
	v_add_u32_e32 v6, v14, v6
	v_mul_hi_u32 v15, v6, s11
	v_add_u32_e32 v14, -1, v6
	v_lshrrev_b32_e32 v15, 15, v15
	v_cvt_f32_u32_e32 v14, v14
	v_mul_u32_u24_e32 v16, 0xadc8, v15
	v_cvt_f32_u32_e32 v7, v7
	v_sub_u32_e32 v6, v6, v16
	v_mul_u32_u24_e32 v15, 0xd47, v15
	v_mul_lo_u32 v6, v6, s14
	v_xor_b32_e32 v16, 0x7fffffff, v15
	v_sub_u32_e32 v17, 0, v15
	v_cmp_lt_u32_e32 vcc, v6, v15
	v_fma_f32 v14, v14, s15, 0
	v_cndmask_b32_e32 v15, v17, v16, vcc
	v_fma_f32 v7, v7, s15, 0
	v_mul_f32_e32 v14, v14, v14
	v_add_u32_e32 v6, v15, v6
	v_fmac_f32_e32 v14, v7, v7
	v_mul_hi_u32 v15, v6, s11
	v_mul_f32_e32 v16, 0x4f800000, v14
	v_lshrrev_b32_e32 v15, 15, v15
	v_cmp_gt_f32_e32 vcc, s16, v14
	v_cndmask_b32_e32 v14, v14, v16, vcc
	v_mul_u32_u24_e32 v16, 0xadc8, v15
	v_add_u32_e32 v7, -1, v6
	v_sqrt_f32_e32 v17, v14
	v_sub_u32_e32 v6, v6, v16
	v_mul_u32_u24_e32 v15, 0xd47, v15
	v_mul_lo_u32 v6, v6, s14
	v_xor_b32_e32 v16, 0x7fffffff, v15
	v_sub_u32_e32 v18, 0, v15
	v_cmp_lt_u32_e64 s[6:7], v6, v15
	v_cndmask_b32_e64 v15, v18, v16, s[6:7]
	v_add_u32_e32 v6, v15, v6
	v_add_u32_e32 v15, -1, v17
	v_add_u32_e32 v16, 1, v17
	v_add_u32_e32 v18, -1, v6
	v_fma_f32 v19, -v15, v17, v14
	v_fma_f32 v20, -v16, v17, v14
	v_cvt_f32_u32_e32 v18, v18
	v_cmp_ge_f32_e64 s[6:7], 0, v19
	v_cvt_f32_u32_e32 v7, v7
	v_cndmask_b32_e64 v15, v17, v15, s[6:7]
	v_cmp_lt_f32_e64 s[6:7], 0, v20
	v_cndmask_b32_e64 v15, v15, v16, s[6:7]
	v_mul_f32_e32 v16, 0x37800000, v15
	v_cndmask_b32_e32 v15, v15, v16, vcc
	v_fma_f32 v16, v18, s15, 0
	v_cmp_class_f32_e32 vcc, v14, v4
	v_fma_f32 v7, v7, s15, 0
	v_cndmask_b32_e32 v14, v15, v14, vcc
	v_mul_f32_e32 v15, v16, v16
	v_add_f32_e32 v13, 1.0, v5
	v_cmp_nge_f32_e32 vcc, 1.0, v14
	v_fmac_f32_e32 v15, v7, v7
	v_cndmask_b32_e32 v5, v13, v5, vcc
	v_mul_f32_e32 v7, 0x4f800000, v15
	v_cmp_gt_f32_e32 vcc, s16, v15
	v_cndmask_b32_e32 v7, v15, v7, vcc
	v_sqrt_f32_e32 v14, v7
	s_add_i32 s10, s10, -2
	v_add_f32_e32 v13, 1.0, v5
	s_cmp_lg_u32 s10, 0
	v_add_u32_e32 v15, -1, v14
	v_add_u32_e32 v16, 1, v14
	v_fma_f32 v17, -v15, v14, v7
	v_fma_f32 v18, -v16, v14, v7
	v_cmp_ge_f32_e64 s[6:7], 0, v17
	v_cndmask_b32_e64 v14, v14, v15, s[6:7]
	v_cmp_lt_f32_e64 s[6:7], 0, v18
	v_cndmask_b32_e64 v14, v14, v16, s[6:7]
	v_mul_f32_e32 v15, 0x37800000, v14
	v_cndmask_b32_e32 v14, v14, v15, vcc
	v_cmp_class_f32_e32 vcc, v7, v4
	v_cndmask_b32_e32 v7, v14, v7, vcc
	v_cmp_nge_f32_e32 vcc, 1.0, v7
	v_cndmask_b32_e32 v5, v13, v5, vcc
	s_cbranch_scc1 .LBB29_701
; %bb.702:
	v_mul_f32_e32 v4, 4.0, v5
	s_mov_b32 s10, 0x459c4000
	v_div_scale_f32 v5, s[6:7], s10, s10, v4
	v_rcp_f32_e32 v6, v5
	v_fma_f32 v7, -v5, v6, 1.0
	v_fmac_f32_e32 v6, v7, v6
	v_div_scale_f32 v7, vcc, v4, s10, v4
	v_mul_f32_e32 v13, v7, v6
	v_fma_f32 v14, -v5, v13, v7
	v_fmac_f32_e32 v13, v14, v6
	v_fma_f32 v5, -v5, v13, v7
	v_div_fmas_f32 v5, v5, v6, v13
	v_div_fixup_f32 v13, v5, s10, v4
.LBB29_703:
	s_or_b64 exec, exec, s[8:9]
	v_add_u32_e32 v4, 0x100, v11
	v_cmp_lt_u32_e64 s[6:7], v4, v8
                                        ; implicit-def: $vgpr14
	s_and_saveexec_b64 s[10:11], s[6:7]
	s_cbranch_execz .LBB29_743
; %bb.704:
	v_add_u32_e32 v4, v9, v4
	s_movk_i32 s8, 0x1388
	v_mul_lo_u32 v4, v4, s8
	v_cmp_ne_u32_e32 vcc, 0, v4
	v_mov_b32_e32 v6, 1
	s_and_saveexec_b64 s[14:15], vcc
	s_cbranch_execz .LBB29_740
; %bb.705:
	v_mov_b32_e32 v6, 1
	v_mov_b32_e32 v5, 0
	s_mov_b64 s[18:19], 0xbc8f
	s_mov_b64 s[16:17], 0
	v_mov_b32_e32 v7, 0
	s_brev_b32 s22, -2
	s_mov_b32 s23, 0x7ffffffe
	v_mov_b32_e32 v14, 0xfffff800
	s_movk_i32 s24, 0x401
	s_branch .LBB29_707
.LBB29_706:                             ;   in Loop: Header=BB29_707 Depth=1
	s_or_b64 exec, exec, s[20:21]
	s_mul_i32 s8, s18, s19
	s_mul_hi_u32 s9, s18, s18
	s_add_i32 s9, s9, s8
	s_add_i32 s8, s9, s8
	s_mul_i32 s9, s18, s18
	s_add_u32 s18, 0x402, s24
	s_addc_u32 s19, 0, 0
	v_add_co_u32_e32 v15, vcc, s18, v14
	s_cmp_lg_u64 vcc, 0
	v_readfirstlane_b32 s20, v15
	s_addc_u32 s18, s19, 1
	s_mul_hi_u32 s21, s20, 0x80000001
	s_mul_i32 s19, s18, 0x80000001
	s_sub_i32 s21, s21, s20
	s_add_i32 s21, s21, s19
	s_mul_i32 s26, s20, 0x80000001
	s_mul_hi_u32 s19, s20, s21
	s_mul_i32 s25, s20, s21
	s_mul_hi_u32 s20, s20, s26
	s_add_u32 s20, s20, s25
	s_addc_u32 s19, 0, s19
	s_mul_hi_u32 s27, s18, s26
	s_mul_i32 s26, s18, s26
	s_add_u32 s20, s20, s26
	s_mul_hi_u32 s25, s18, s21
	s_addc_u32 s19, s19, s27
	s_addc_u32 s20, s25, 0
	s_mul_i32 s21, s18, s21
	s_add_u32 s19, s19, s21
	s_addc_u32 s20, 0, s20
	v_add_co_u32_e32 v15, vcc, s19, v15
	s_cmp_lg_u64 vcc, 0
	s_addc_u32 s18, s18, s20
	v_readfirstlane_b32 s21, v15
	s_mul_i32 s20, s9, s18
	s_mul_hi_u32 s25, s9, s21
	s_mul_hi_u32 s19, s9, s18
	s_add_u32 s20, s25, s20
	s_addc_u32 s19, 0, s19
	s_mul_hi_u32 s26, s8, s21
	s_mul_i32 s21, s8, s21
	s_add_u32 s20, s20, s21
	s_mul_hi_u32 s25, s8, s18
	s_addc_u32 s19, s19, s26
	s_addc_u32 s20, s25, 0
	s_mul_i32 s18, s8, s18
	s_add_u32 s18, s19, s18
	s_addc_u32 s19, 0, s20
	s_mul_hi_u32 s20, s18, 0x7fffffff
	s_mul_i32 s18, s18, 0x7fffffff
	s_mul_i32 s19, s19, 0x7fffffff
	v_mov_b32_e32 v15, s18
	s_add_i32 s20, s20, s19
	v_sub_co_u32_e32 v15, vcc, s9, v15
	s_cmp_lg_u64 vcc, 0
	s_subb_u32 s8, s8, s20
	v_subrev_co_u32_e32 v18, vcc, s22, v15
	s_cmp_lg_u64 vcc, 0
	s_subb_u32 s9, s8, 0
	v_subrev_co_u32_e32 v19, vcc, s22, v18
	s_cmp_lg_u64 vcc, 0
	s_subb_u32 s18, s9, 0
	v_readfirstlane_b32 s19, v18
	s_cmp_gt_u32 s19, 0x7ffffffe
	s_cselect_b32 s20, -1, 0
	s_cmp_eq_u32 s9, 0
	s_cselect_b32 s20, s20, -1
	s_cmp_lg_u32 s20, 0
	s_cselect_b32 s9, s18, s9
	v_readfirstlane_b32 s18, v19
	v_readfirstlane_b32 s20, v15
	s_cselect_b32 s18, s18, s19
	s_cmp_gt_u32 s20, 0x7ffffffe
	s_cselect_b32 s19, -1, 0
	s_cmp_eq_u32 s8, 0
	s_cselect_b32 s19, s19, -1
	v_lshrrev_b64 v[16:17], 1, v[4:5]
	s_cmp_lg_u32 s19, 0
	v_cmp_gt_u64_e32 vcc, 2, v[4:5]
	s_cselect_b32 s19, s9, s8
	s_cselect_b32 s18, s18, s20
	s_or_b64 s[16:17], vcc, s[16:17]
	v_pk_mov_b32 v[4:5], v[16:17], v[16:17] op_sel:[0,1]
	s_andn2_b64 exec, exec, s[16:17]
	s_cbranch_execz .LBB29_739
.LBB29_707:                             ; =>This Inner Loop Header: Depth=1
	v_and_b32_e32 v15, 1, v4
	v_cmp_eq_u32_e32 vcc, 1, v15
	s_and_saveexec_b64 s[20:21], vcc
	s_cbranch_execz .LBB29_706
; %bb.708:                              ;   in Loop: Header=BB29_707 Depth=1
	v_mul_lo_u32 v15, s19, v6
	v_mul_lo_u32 v16, s18, v7
	v_mad_u64_u32 v[6:7], s[8:9], s18, v6, 0
	s_add_u32 s8, 0x402, s24
	v_add3_u32 v7, v7, v16, v15
	s_addc_u32 s9, 0, 0
	v_add_co_u32_e32 v15, vcc, s8, v14
	s_cmp_lg_u64 vcc, 0
	v_readfirstlane_b32 s25, v15
	s_addc_u32 s8, s9, 1
	s_mul_hi_u32 s26, s25, 0x80000001
	s_mul_i32 s9, s8, 0x80000001
	s_sub_i32 s26, s26, s25
	s_add_i32 s26, s26, s9
	s_mul_i32 s28, s25, 0x80000001
	s_mul_hi_u32 s9, s25, s26
	s_mul_i32 s27, s25, s26
	s_mul_hi_u32 s25, s25, s28
	s_add_u32 s25, s25, s27
	s_addc_u32 s9, 0, s9
	s_mul_hi_u32 s29, s8, s28
	s_mul_i32 s28, s8, s28
	s_add_u32 s25, s25, s28
	s_mul_hi_u32 s27, s8, s26
	s_addc_u32 s9, s9, s29
	s_addc_u32 s25, s27, 0
	s_mul_i32 s26, s8, s26
	s_add_u32 s9, s9, s26
	s_addc_u32 s25, 0, s25
	v_add_co_u32_e32 v15, vcc, s9, v15
	s_cmp_lg_u64 vcc, 0
	s_addc_u32 s25, s8, s25
	v_mad_u64_u32 v[16:17], s[8:9], v6, s25, 0
	v_mul_hi_u32 v18, v6, v15
	v_add_co_u32_e32 v20, vcc, v18, v16
	v_addc_co_u32_e32 v21, vcc, 0, v17, vcc
	v_mad_u64_u32 v[18:19], s[8:9], v7, v15, 0
	v_add_co_u32_e32 v15, vcc, v20, v18
	v_mad_u64_u32 v[16:17], s[8:9], v7, s25, 0
	v_addc_co_u32_e32 v15, vcc, v21, v19, vcc
	v_addc_co_u32_e32 v17, vcc, 0, v17, vcc
	v_add_co_u32_e32 v15, vcc, v15, v16
	v_addc_co_u32_e32 v19, vcc, 0, v17, vcc
	v_mad_u64_u32 v[16:17], s[8:9], v15, s22, 0
	v_mov_b32_e32 v18, v17
	v_mad_u64_u32 v[18:19], s[8:9], v19, s22, v[18:19]
	v_sub_co_u32_e32 v6, vcc, v6, v16
	v_subb_co_u32_e32 v7, vcc, v7, v18, vcc
	v_subrev_co_u32_e32 v15, vcc, s22, v6
	v_subbrev_co_u32_e32 v16, vcc, 0, v7, vcc
	v_subrev_co_u32_e32 v17, vcc, s22, v15
	v_subbrev_co_u32_e32 v18, vcc, 0, v16, vcc
	v_cmp_lt_u32_e32 vcc, s23, v15
	v_cndmask_b32_e64 v19, 0, -1, vcc
	v_cmp_eq_u32_e32 vcc, 0, v16
	v_cndmask_b32_e32 v19, -1, v19, vcc
	v_cmp_ne_u32_e32 vcc, 0, v19
	v_cmp_lt_u32_e64 s[8:9], s23, v6
	v_cndmask_b32_e32 v16, v16, v18, vcc
	v_cndmask_b32_e64 v18, 0, -1, s[8:9]
	v_cmp_eq_u32_e64 s[8:9], 0, v7
	v_cndmask_b32_e64 v18, -1, v18, s[8:9]
	v_cmp_ne_u32_e64 s[8:9], 0, v18
	v_cndmask_b32_e32 v15, v15, v17, vcc
	v_cndmask_b32_e64 v7, v7, v16, s[8:9]
	v_cndmask_b32_e64 v6, v6, v15, s[8:9]
	s_branch .LBB29_706
.LBB29_709:
	s_or_b64 exec, exec, s[20:21]
	s_movk_i32 s8, 0x401
	s_add_u32 s8, 0x402, s8
	v_mov_b32_e32 v4, 0xfffff800
	s_addc_u32 s9, 0, 0
	v_add_co_u32_e32 v4, vcc, s8, v4
	s_cmp_lg_u64 vcc, 0
	v_readfirstlane_b32 s20, v4
	s_addc_u32 s8, s9, 1
	s_mul_hi_u32 s21, s20, 0x80000001
	s_mul_i32 s9, s8, 0x80000001
	s_sub_i32 s21, s21, s20
	s_add_i32 s21, s21, s9
	s_mul_i32 s23, s20, 0x80000001
	s_mul_hi_u32 s9, s20, s21
	s_mul_i32 s22, s20, s21
	s_mul_hi_u32 s20, s20, s23
	s_add_u32 s20, s20, s22
	s_addc_u32 s9, 0, s9
	s_mul_hi_u32 s24, s8, s23
	s_mul_i32 s23, s8, s23
	s_add_u32 s20, s20, s23
	s_mul_hi_u32 s22, s8, s21
	s_addc_u32 s9, s9, s24
	s_addc_u32 s20, s22, 0
	s_mul_i32 s21, s8, s21
	s_add_u32 s9, s9, s21
	s_addc_u32 s20, 0, s20
	v_add_co_u32_e32 v4, vcc, s9, v4
	s_cmp_lg_u64 vcc, 0
	s_addc_u32 s20, s8, s20
	v_mad_u64_u32 v[10:11], s[8:9], v12, s20, 0
	v_mul_hi_u32 v18, v12, v4
	v_add_co_u32_e32 v20, vcc, v18, v10
	v_addc_co_u32_e32 v21, vcc, 0, v11, vcc
	v_mad_u64_u32 v[18:19], s[8:9], v13, v4, 0
	v_add_co_u32_e32 v4, vcc, v20, v18
	v_mad_u64_u32 v[10:11], s[8:9], v13, s20, 0
	v_addc_co_u32_e32 v4, vcc, v21, v19, vcc
	v_addc_co_u32_e32 v11, vcc, 0, v11, vcc
	v_add_co_u32_e32 v4, vcc, v4, v10
	s_brev_b32 s20, -2
	v_addc_co_u32_e32 v18, vcc, 0, v11, vcc
	v_mad_u64_u32 v[10:11], s[8:9], v4, s20, 0
	v_mov_b32_e32 v4, v11
	v_mad_u64_u32 v[18:19], s[8:9], v18, s20, v[4:5]
	v_sub_co_u32_e32 v4, vcc, v12, v10
	v_subb_co_u32_e32 v10, vcc, v13, v18, vcc
	v_subrev_co_u32_e32 v11, vcc, 0x7fffffff, v4
	v_subbrev_co_u32_e32 v12, vcc, 0, v10, vcc
	s_mov_b32 s8, 0x7ffffffe
	v_cmp_lt_u32_e32 vcc, s8, v11
	v_cndmask_b32_e64 v13, 0, -1, vcc
	v_cmp_eq_u32_e32 vcc, 0, v12
	v_cndmask_b32_e32 v12, -1, v13, vcc
	v_add_u32_e32 v13, 0x80000001, v11
	v_cmp_ne_u32_e32 vcc, 0, v12
	v_cndmask_b32_e32 v11, v11, v13, vcc
	v_cmp_lt_u32_e32 vcc, s8, v4
	v_cndmask_b32_e64 v12, 0, -1, vcc
	v_cmp_eq_u32_e32 vcc, 0, v10
	v_cndmask_b32_e32 v10, -1, v12, vcc
	v_cmp_ne_u32_e32 vcc, 0, v10
	v_cndmask_b32_e32 v11, v4, v11, vcc
.LBB29_710:
	s_or_b64 exec, exec, s[18:19]
	s_movk_i32 s18, 0x1388
	v_mov_b32_e32 v10, 0
	s_mov_b32 s19, 0xbc8f1391
	s_mov_b32 s20, 0xbc8f
	s_brev_b32 s21, 12
	s_mov_b32 s22, 0xf800000
	v_mov_b32_e32 v4, 0x260
.LBB29_711:                             ; =>This Inner Loop Header: Depth=1
	v_mul_hi_u32 v12, v11, s19
	v_lshrrev_b32_e32 v12, 15, v12
	v_mul_u32_u24_e32 v18, 0xadc8, v12
	v_sub_u32_e32 v11, v11, v18
	v_mul_u32_u24_e32 v12, 0xd47, v12
	v_mul_lo_u32 v11, v11, s20
	v_xor_b32_e32 v18, 0x7fffffff, v12
	v_sub_u32_e32 v19, 0, v12
	v_cmp_lt_u32_e32 vcc, v11, v12
	v_cndmask_b32_e32 v12, v19, v18, vcc
	v_add_u32_e32 v11, v12, v11
	v_mul_hi_u32 v18, v11, s19
	v_lshrrev_b32_e32 v18, 15, v18
	v_mul_u32_u24_e32 v19, 0xadc8, v18
	v_add_u32_e32 v12, -1, v11
	v_sub_u32_e32 v11, v11, v19
	v_mul_u32_u24_e32 v18, 0xd47, v18
	v_mul_lo_u32 v11, v11, s20
	v_xor_b32_e32 v19, 0x7fffffff, v18
	v_sub_u32_e32 v20, 0, v18
	v_cmp_lt_u32_e32 vcc, v11, v18
	v_cndmask_b32_e32 v18, v20, v19, vcc
	v_add_u32_e32 v11, v18, v11
	v_mul_hi_u32 v19, v11, s19
	v_add_u32_e32 v18, -1, v11
	v_lshrrev_b32_e32 v19, 15, v19
	v_cvt_f32_u32_e32 v18, v18
	v_mul_u32_u24_e32 v20, 0xadc8, v19
	v_cvt_f32_u32_e32 v12, v12
	v_sub_u32_e32 v11, v11, v20
	v_mul_u32_u24_e32 v19, 0xd47, v19
	v_mul_lo_u32 v11, v11, s20
	v_xor_b32_e32 v20, 0x7fffffff, v19
	v_sub_u32_e32 v21, 0, v19
	v_cmp_lt_u32_e32 vcc, v11, v19
	v_fma_f32 v18, v18, s21, 0
	v_cndmask_b32_e32 v19, v21, v20, vcc
	v_fma_f32 v12, v12, s21, 0
	v_mul_f32_e32 v18, v18, v18
	v_add_u32_e32 v11, v19, v11
	v_fmac_f32_e32 v18, v12, v12
	v_mul_hi_u32 v19, v11, s19
	v_mul_f32_e32 v20, 0x4f800000, v18
	v_lshrrev_b32_e32 v19, 15, v19
	v_cmp_gt_f32_e32 vcc, s22, v18
	v_cndmask_b32_e32 v18, v18, v20, vcc
	v_mul_u32_u24_e32 v20, 0xadc8, v19
	v_add_u32_e32 v12, -1, v11
	v_sqrt_f32_e32 v21, v18
	v_sub_u32_e32 v11, v11, v20
	v_mul_u32_u24_e32 v19, 0xd47, v19
	v_mul_lo_u32 v11, v11, s20
	v_xor_b32_e32 v20, 0x7fffffff, v19
	v_sub_u32_e32 v22, 0, v19
	v_cmp_lt_u32_e64 s[8:9], v11, v19
	v_cndmask_b32_e64 v19, v22, v20, s[8:9]
	v_add_u32_e32 v11, v19, v11
	v_add_u32_e32 v19, -1, v21
	v_add_u32_e32 v20, 1, v21
	v_add_u32_e32 v22, -1, v11
	v_fma_f32 v23, -v19, v21, v18
	v_fma_f32 v24, -v20, v21, v18
	v_cvt_f32_u32_e32 v22, v22
	v_cmp_ge_f32_e64 s[8:9], 0, v23
	v_cvt_f32_u32_e32 v12, v12
	v_cndmask_b32_e64 v19, v21, v19, s[8:9]
	v_cmp_lt_f32_e64 s[8:9], 0, v24
	v_cndmask_b32_e64 v19, v19, v20, s[8:9]
	v_mul_f32_e32 v20, 0x37800000, v19
	v_cndmask_b32_e32 v19, v19, v20, vcc
	v_fma_f32 v20, v22, s21, 0
	v_cmp_class_f32_e32 vcc, v18, v4
	v_fma_f32 v12, v12, s21, 0
	v_cndmask_b32_e32 v18, v19, v18, vcc
	v_mul_f32_e32 v19, v20, v20
	v_add_f32_e32 v13, 1.0, v10
	v_cmp_nge_f32_e32 vcc, 1.0, v18
	v_fmac_f32_e32 v19, v12, v12
	v_cndmask_b32_e32 v10, v13, v10, vcc
	v_mul_f32_e32 v12, 0x4f800000, v19
	v_cmp_gt_f32_e32 vcc, s22, v19
	v_cndmask_b32_e32 v12, v19, v12, vcc
	v_sqrt_f32_e32 v18, v12
	s_add_i32 s18, s18, -2
	v_add_f32_e32 v13, 1.0, v10
	s_cmp_lg_u32 s18, 0
	v_add_u32_e32 v19, -1, v18
	v_add_u32_e32 v20, 1, v18
	v_fma_f32 v21, -v19, v18, v12
	v_fma_f32 v22, -v20, v18, v12
	v_cmp_ge_f32_e64 s[8:9], 0, v21
	v_cndmask_b32_e64 v18, v18, v19, s[8:9]
	v_cmp_lt_f32_e64 s[8:9], 0, v22
	v_cndmask_b32_e64 v18, v18, v20, s[8:9]
	v_mul_f32_e32 v19, 0x37800000, v18
	v_cndmask_b32_e32 v18, v18, v19, vcc
	v_cmp_class_f32_e32 vcc, v12, v4
	v_cndmask_b32_e32 v12, v18, v12, vcc
	v_cmp_nge_f32_e32 vcc, 1.0, v12
	v_cndmask_b32_e32 v10, v13, v10, vcc
	s_cbranch_scc1 .LBB29_711
; %bb.712:
	v_mul_f32_e32 v4, 4.0, v10
	s_mov_b32 s18, 0x459c4000
	v_div_scale_f32 v10, s[8:9], s18, s18, v4
	v_rcp_f32_e32 v11, v10
	v_fma_f32 v12, -v10, v11, 1.0
	v_fmac_f32_e32 v11, v12, v11
	v_div_scale_f32 v12, vcc, v4, s18, v4
	v_mul_f32_e32 v13, v12, v11
	v_fma_f32 v18, -v10, v13, v12
	v_fmac_f32_e32 v13, v18, v11
	v_fma_f32 v10, -v10, v13, v12
	v_div_fmas_f32 v10, v10, v11, v13
	v_div_fixup_f32 v4, v10, s18, v4
.LBB29_713:
	s_or_b64 exec, exec, s[10:11]
	v_add_u32_e32 v10, 0x180, v15
	v_cmp_lt_u32_e64 s[8:9], v10, v16
	s_and_saveexec_b64 s[18:19], s[8:9]
	s_cbranch_execz .LBB29_753
; %bb.714:
	v_add_u32_e32 v5, v17, v10
	s_movk_i32 s10, 0x1388
	v_mul_lo_u32 v10, v5, s10
	v_cmp_ne_u32_e32 vcc, 0, v10
	v_mov_b32_e32 v11, 1
	s_and_saveexec_b64 s[20:21], vcc
	s_cbranch_execz .LBB29_750
; %bb.715:
	v_mov_b32_e32 v12, 1
	v_mov_b32_e32 v11, 0
	s_mov_b64 s[24:25], 0xbc8f
	s_mov_b64 s[22:23], 0
	v_mov_b32_e32 v13, 0
	s_brev_b32 s28, -2
	s_mov_b32 s29, 0x7ffffffe
	v_mov_b32_e32 v5, 0xfffff800
	s_movk_i32 s30, 0x401
	s_branch .LBB29_717
.LBB29_716:                             ;   in Loop: Header=BB29_717 Depth=1
	s_or_b64 exec, exec, s[26:27]
	s_mul_i32 s10, s24, s25
	s_mul_hi_u32 s11, s24, s24
	s_add_i32 s11, s11, s10
	s_add_i32 s10, s11, s10
	s_mul_i32 s11, s24, s24
	s_add_u32 s24, 0x402, s30
	s_addc_u32 s25, 0, 0
	v_add_co_u32_e32 v17, vcc, s24, v5
	s_cmp_lg_u64 vcc, 0
	v_readfirstlane_b32 s26, v17
	s_addc_u32 s24, s25, 1
	s_mul_hi_u32 s27, s26, 0x80000001
	s_mul_i32 s25, s24, 0x80000001
	s_sub_i32 s27, s27, s26
	s_add_i32 s27, s27, s25
	s_mul_i32 vcc_hi, s26, 0x80000001
	s_mul_hi_u32 s25, s26, s27
	s_mul_i32 vcc_lo, s26, s27
	s_mul_hi_u32 s26, s26, vcc_hi
	s_add_u32 s26, s26, vcc_lo
	s_addc_u32 s25, 0, s25
	s_mul_hi_u32 s31, s24, vcc_hi
	s_mul_i32 vcc_hi, s24, vcc_hi
	s_add_u32 s26, s26, vcc_hi
	s_mul_hi_u32 vcc_lo, s24, s27
	s_addc_u32 s25, s25, s31
	s_addc_u32 s26, vcc_lo, 0
	s_mul_i32 s27, s24, s27
	s_add_u32 s25, s25, s27
	s_addc_u32 s26, 0, s26
	v_add_co_u32_e32 v17, vcc, s25, v17
	s_cmp_lg_u64 vcc, 0
	s_addc_u32 s24, s24, s26
	v_readfirstlane_b32 s27, v17
	s_mul_i32 s26, s11, s24
	s_mul_hi_u32 vcc_lo, s11, s27
	s_mul_hi_u32 s25, s11, s24
	s_add_u32 s26, vcc_lo, s26
	s_addc_u32 s25, 0, s25
	s_mul_hi_u32 vcc_hi, s10, s27
	s_mul_i32 s27, s10, s27
	s_add_u32 s26, s26, s27
	s_mul_hi_u32 vcc_lo, s10, s24
	s_addc_u32 s25, s25, vcc_hi
	s_addc_u32 s26, vcc_lo, 0
	s_mul_i32 s24, s10, s24
	s_add_u32 s24, s25, s24
	s_addc_u32 s25, 0, s26
	s_mul_hi_u32 s26, s24, 0x7fffffff
	s_mul_i32 s24, s24, 0x7fffffff
	s_mul_i32 s25, s25, 0x7fffffff
	v_mov_b32_e32 v17, s24
	s_add_i32 s26, s26, s25
	v_sub_co_u32_e32 v17, vcc, s11, v17
	s_cmp_lg_u64 vcc, 0
	s_subb_u32 s10, s10, s26
	v_subrev_co_u32_e32 v20, vcc, s28, v17
	s_cmp_lg_u64 vcc, 0
	s_subb_u32 s11, s10, 0
	v_subrev_co_u32_e32 v21, vcc, s28, v20
	s_cmp_lg_u64 vcc, 0
	s_subb_u32 s24, s11, 0
	v_readfirstlane_b32 s25, v20
	s_cmp_gt_u32 s25, 0x7ffffffe
	s_cselect_b32 s26, -1, 0
	s_cmp_eq_u32 s11, 0
	s_cselect_b32 s26, s26, -1
	s_cmp_lg_u32 s26, 0
	s_cselect_b32 s11, s24, s11
	v_readfirstlane_b32 s24, v21
	v_readfirstlane_b32 s26, v17
	s_cselect_b32 s24, s24, s25
	s_cmp_gt_u32 s26, 0x7ffffffe
	s_cselect_b32 s25, -1, 0
	s_cmp_eq_u32 s10, 0
	s_cselect_b32 s25, s25, -1
	v_lshrrev_b64 v[18:19], 1, v[10:11]
	s_cmp_lg_u32 s25, 0
	v_cmp_gt_u64_e32 vcc, 2, v[10:11]
	s_cselect_b32 s25, s11, s10
	s_cselect_b32 s24, s24, s26
	s_or_b64 s[22:23], vcc, s[22:23]
	v_pk_mov_b32 v[10:11], v[18:19], v[18:19] op_sel:[0,1]
	s_andn2_b64 exec, exec, s[22:23]
	s_cbranch_execz .LBB29_749
.LBB29_717:                             ; =>This Inner Loop Header: Depth=1
	v_and_b32_e32 v17, 1, v10
	v_cmp_eq_u32_e32 vcc, 1, v17
	s_and_saveexec_b64 s[26:27], vcc
	s_cbranch_execz .LBB29_716
; %bb.718:                              ;   in Loop: Header=BB29_717 Depth=1
	v_mul_lo_u32 v17, s25, v12
	v_mul_lo_u32 v18, s24, v13
	v_mad_u64_u32 v[12:13], s[10:11], s24, v12, 0
	s_add_u32 s10, 0x402, s30
	v_add3_u32 v13, v13, v18, v17
	s_addc_u32 s11, 0, 0
	v_add_co_u32_e32 v17, vcc, s10, v5
	s_cmp_lg_u64 vcc, 0
	v_readfirstlane_b32 vcc_lo, v17
	s_addc_u32 s10, s11, 1
	s_mul_hi_u32 vcc_hi, vcc_lo, 0x80000001
	s_mul_i32 s11, s10, 0x80000001
	s_sub_i32 vcc_hi, vcc_hi, vcc_lo
	s_add_i32 vcc_hi, vcc_hi, s11
	s_mul_i32 s34, vcc_lo, 0x80000001
	s_mul_hi_u32 s11, vcc_lo, vcc_hi
	s_mul_i32 s31, vcc_lo, vcc_hi
	s_mul_hi_u32 vcc_lo, vcc_lo, s34
	s_add_u32 vcc_lo, vcc_lo, s31
	s_addc_u32 s11, 0, s11
	s_mul_hi_u32 s35, s10, s34
	s_mul_i32 s34, s10, s34
	s_add_u32 vcc_lo, vcc_lo, s34
	s_mul_hi_u32 s31, s10, vcc_hi
	s_addc_u32 s11, s11, s35
	s_addc_u32 vcc_lo, s31, 0
	s_mul_i32 vcc_hi, s10, vcc_hi
	s_add_u32 s11, s11, vcc_hi
	s_addc_u32 s31, 0, vcc_lo
	v_add_co_u32_e32 v17, vcc, s11, v17
	s_cmp_lg_u64 vcc, 0
	s_addc_u32 s31, s10, s31
	v_mad_u64_u32 v[18:19], s[10:11], v12, s31, 0
	v_mul_hi_u32 v20, v12, v17
	v_add_co_u32_e32 v22, vcc, v20, v18
	v_addc_co_u32_e32 v23, vcc, 0, v19, vcc
	v_mad_u64_u32 v[20:21], s[10:11], v13, v17, 0
	v_add_co_u32_e32 v17, vcc, v22, v20
	v_mad_u64_u32 v[18:19], s[10:11], v13, s31, 0
	v_addc_co_u32_e32 v17, vcc, v23, v21, vcc
	v_addc_co_u32_e32 v19, vcc, 0, v19, vcc
	v_add_co_u32_e32 v17, vcc, v17, v18
	v_addc_co_u32_e32 v21, vcc, 0, v19, vcc
	v_mad_u64_u32 v[18:19], s[10:11], v17, s28, 0
	v_mov_b32_e32 v20, v19
	v_mad_u64_u32 v[20:21], s[10:11], v21, s28, v[20:21]
	v_sub_co_u32_e32 v12, vcc, v12, v18
	v_subb_co_u32_e32 v13, vcc, v13, v20, vcc
	v_subrev_co_u32_e32 v17, vcc, s28, v12
	v_subbrev_co_u32_e32 v18, vcc, 0, v13, vcc
	v_subrev_co_u32_e32 v19, vcc, s28, v17
	v_subbrev_co_u32_e32 v20, vcc, 0, v18, vcc
	v_cmp_lt_u32_e32 vcc, s29, v17
	v_cndmask_b32_e64 v21, 0, -1, vcc
	v_cmp_eq_u32_e32 vcc, 0, v18
	v_cndmask_b32_e32 v21, -1, v21, vcc
	v_cmp_ne_u32_e32 vcc, 0, v21
	v_cmp_lt_u32_e64 s[10:11], s29, v12
	v_cndmask_b32_e32 v18, v18, v20, vcc
	v_cndmask_b32_e64 v20, 0, -1, s[10:11]
	v_cmp_eq_u32_e64 s[10:11], 0, v13
	v_cndmask_b32_e64 v20, -1, v20, s[10:11]
	v_cmp_ne_u32_e64 s[10:11], 0, v20
	v_cndmask_b32_e32 v17, v17, v19, vcc
	v_cndmask_b32_e64 v13, v13, v18, s[10:11]
	v_cndmask_b32_e64 v12, v12, v17, s[10:11]
	s_branch .LBB29_716
.LBB29_719:
	s_or_b64 exec, exec, s[16:17]
	s_movk_i32 s8, 0x401
	s_add_u32 s8, 0x402, s8
	v_mov_b32_e32 v4, 0xfffff800
	s_addc_u32 s9, 0, 0
	v_add_co_u32_e32 v4, vcc, s8, v4
	s_cmp_lg_u64 vcc, 0
	v_readfirstlane_b32 s16, v4
	s_addc_u32 s8, s9, 1
	s_mul_hi_u32 s17, s16, 0x80000001
	s_mul_i32 s9, s8, 0x80000001
	s_sub_i32 s17, s17, s16
	s_add_i32 s17, s17, s9
	s_mul_i32 s19, s16, 0x80000001
	s_mul_hi_u32 s9, s16, s17
	s_mul_i32 s18, s16, s17
	s_mul_hi_u32 s16, s16, s19
	s_add_u32 s16, s16, s18
	s_addc_u32 s9, 0, s9
	s_mul_hi_u32 s20, s8, s19
	s_mul_i32 s19, s8, s19
	s_add_u32 s16, s16, s19
	s_mul_hi_u32 s18, s8, s17
	s_addc_u32 s9, s9, s20
	s_addc_u32 s16, s18, 0
	s_mul_i32 s17, s8, s17
	s_add_u32 s9, s9, s17
	s_addc_u32 s16, 0, s16
	v_add_co_u32_e32 v4, vcc, s9, v4
	s_cmp_lg_u64 vcc, 0
	s_addc_u32 s16, s8, s16
	v_mad_u64_u32 v[14:15], s[8:9], v16, s16, 0
	v_mul_hi_u32 v22, v16, v4
	v_add_co_u32_e32 v24, vcc, v22, v14
	v_addc_co_u32_e32 v25, vcc, 0, v15, vcc
	v_mad_u64_u32 v[22:23], s[8:9], v17, v4, 0
	v_add_co_u32_e32 v4, vcc, v24, v22
	v_mad_u64_u32 v[14:15], s[8:9], v17, s16, 0
	v_addc_co_u32_e32 v4, vcc, v25, v23, vcc
	v_addc_co_u32_e32 v15, vcc, 0, v15, vcc
	v_add_co_u32_e32 v4, vcc, v4, v14
	s_brev_b32 s16, -2
	v_addc_co_u32_e32 v22, vcc, 0, v15, vcc
	v_mad_u64_u32 v[14:15], s[8:9], v4, s16, 0
	v_mov_b32_e32 v4, v15
	v_mad_u64_u32 v[22:23], s[8:9], v22, s16, v[4:5]
	v_sub_co_u32_e32 v4, vcc, v16, v14
	v_subb_co_u32_e32 v14, vcc, v17, v22, vcc
	v_subrev_co_u32_e32 v15, vcc, 0x7fffffff, v4
	v_subbrev_co_u32_e32 v16, vcc, 0, v14, vcc
	s_mov_b32 s8, 0x7ffffffe
	v_cmp_lt_u32_e32 vcc, s8, v15
	v_cndmask_b32_e64 v17, 0, -1, vcc
	v_cmp_eq_u32_e32 vcc, 0, v16
	v_cndmask_b32_e32 v16, -1, v17, vcc
	v_add_u32_e32 v17, 0x80000001, v15
	v_cmp_ne_u32_e32 vcc, 0, v16
	v_cndmask_b32_e32 v15, v15, v17, vcc
	v_cmp_lt_u32_e32 vcc, s8, v4
	v_cndmask_b32_e64 v16, 0, -1, vcc
	v_cmp_eq_u32_e32 vcc, 0, v14
	v_cndmask_b32_e32 v14, -1, v16, vcc
	v_cmp_ne_u32_e32 vcc, 0, v14
	v_cndmask_b32_e32 v15, v4, v15, vcc
.LBB29_720:
	s_or_b64 exec, exec, s[14:15]
	s_movk_i32 s14, 0x1388
	v_mov_b32_e32 v14, 0
	s_mov_b32 s15, 0xbc8f1391
	s_mov_b32 s16, 0xbc8f
	s_brev_b32 s17, 12
	s_mov_b32 s18, 0xf800000
	v_mov_b32_e32 v4, 0x260
.LBB29_721:                             ; =>This Inner Loop Header: Depth=1
	v_mul_hi_u32 v16, v15, s15
	v_lshrrev_b32_e32 v16, 15, v16
	v_mul_u32_u24_e32 v22, 0xadc8, v16
	v_sub_u32_e32 v15, v15, v22
	v_mul_u32_u24_e32 v16, 0xd47, v16
	v_mul_lo_u32 v15, v15, s16
	v_xor_b32_e32 v22, 0x7fffffff, v16
	v_sub_u32_e32 v23, 0, v16
	v_cmp_lt_u32_e32 vcc, v15, v16
	v_cndmask_b32_e32 v16, v23, v22, vcc
	v_add_u32_e32 v15, v16, v15
	v_mul_hi_u32 v22, v15, s15
	v_lshrrev_b32_e32 v22, 15, v22
	v_mul_u32_u24_e32 v23, 0xadc8, v22
	v_add_u32_e32 v16, -1, v15
	v_sub_u32_e32 v15, v15, v23
	v_mul_u32_u24_e32 v22, 0xd47, v22
	v_mul_lo_u32 v15, v15, s16
	v_xor_b32_e32 v23, 0x7fffffff, v22
	v_sub_u32_e32 v24, 0, v22
	v_cmp_lt_u32_e32 vcc, v15, v22
	v_cndmask_b32_e32 v22, v24, v23, vcc
	v_add_u32_e32 v15, v22, v15
	v_mul_hi_u32 v23, v15, s15
	v_add_u32_e32 v22, -1, v15
	v_lshrrev_b32_e32 v23, 15, v23
	v_cvt_f32_u32_e32 v22, v22
	v_mul_u32_u24_e32 v24, 0xadc8, v23
	v_cvt_f32_u32_e32 v16, v16
	v_sub_u32_e32 v15, v15, v24
	v_mul_u32_u24_e32 v23, 0xd47, v23
	v_mul_lo_u32 v15, v15, s16
	v_xor_b32_e32 v24, 0x7fffffff, v23
	v_sub_u32_e32 v25, 0, v23
	v_cmp_lt_u32_e32 vcc, v15, v23
	v_fma_f32 v22, v22, s17, 0
	v_cndmask_b32_e32 v23, v25, v24, vcc
	v_fma_f32 v16, v16, s17, 0
	v_mul_f32_e32 v22, v22, v22
	v_add_u32_e32 v15, v23, v15
	v_fmac_f32_e32 v22, v16, v16
	v_mul_hi_u32 v23, v15, s15
	v_mul_f32_e32 v24, 0x4f800000, v22
	v_lshrrev_b32_e32 v23, 15, v23
	v_cmp_gt_f32_e32 vcc, s18, v22
	v_cndmask_b32_e32 v22, v22, v24, vcc
	v_mul_u32_u24_e32 v24, 0xadc8, v23
	v_add_u32_e32 v16, -1, v15
	v_sqrt_f32_e32 v25, v22
	v_sub_u32_e32 v15, v15, v24
	v_mul_u32_u24_e32 v23, 0xd47, v23
	v_mul_lo_u32 v15, v15, s16
	v_xor_b32_e32 v24, 0x7fffffff, v23
	v_sub_u32_e32 v26, 0, v23
	v_cmp_lt_u32_e64 s[8:9], v15, v23
	v_cndmask_b32_e64 v23, v26, v24, s[8:9]
	v_add_u32_e32 v15, v23, v15
	v_add_u32_e32 v23, -1, v25
	v_add_u32_e32 v24, 1, v25
	v_add_u32_e32 v26, -1, v15
	v_fma_f32 v27, -v23, v25, v22
	v_fma_f32 v28, -v24, v25, v22
	v_cvt_f32_u32_e32 v26, v26
	v_cmp_ge_f32_e64 s[8:9], 0, v27
	v_cvt_f32_u32_e32 v16, v16
	v_cndmask_b32_e64 v23, v25, v23, s[8:9]
	v_cmp_lt_f32_e64 s[8:9], 0, v28
	v_cndmask_b32_e64 v23, v23, v24, s[8:9]
	v_mul_f32_e32 v24, 0x37800000, v23
	v_cndmask_b32_e32 v23, v23, v24, vcc
	v_fma_f32 v24, v26, s17, 0
	v_cmp_class_f32_e32 vcc, v22, v4
	v_fma_f32 v16, v16, s17, 0
	v_cndmask_b32_e32 v22, v23, v22, vcc
	v_mul_f32_e32 v23, v24, v24
	v_add_f32_e32 v17, 1.0, v14
	v_cmp_nge_f32_e32 vcc, 1.0, v22
	v_fmac_f32_e32 v23, v16, v16
	v_cndmask_b32_e32 v14, v17, v14, vcc
	v_mul_f32_e32 v16, 0x4f800000, v23
	v_cmp_gt_f32_e32 vcc, s18, v23
	v_cndmask_b32_e32 v16, v23, v16, vcc
	v_sqrt_f32_e32 v22, v16
	s_add_i32 s14, s14, -2
	v_add_f32_e32 v17, 1.0, v14
	s_cmp_lg_u32 s14, 0
	v_add_u32_e32 v23, -1, v22
	v_add_u32_e32 v24, 1, v22
	v_fma_f32 v25, -v23, v22, v16
	v_fma_f32 v26, -v24, v22, v16
	v_cmp_ge_f32_e64 s[8:9], 0, v25
	v_cndmask_b32_e64 v22, v22, v23, s[8:9]
	v_cmp_lt_f32_e64 s[8:9], 0, v26
	v_cndmask_b32_e64 v22, v22, v24, s[8:9]
	v_mul_f32_e32 v23, 0x37800000, v22
	v_cndmask_b32_e32 v22, v22, v23, vcc
	v_cmp_class_f32_e32 vcc, v16, v4
	v_cndmask_b32_e32 v16, v22, v16, vcc
	v_cmp_nge_f32_e32 vcc, 1.0, v16
	v_cndmask_b32_e32 v14, v17, v14, vcc
	s_cbranch_scc1 .LBB29_721
; %bb.722:
	v_mul_f32_e32 v4, 4.0, v14
	s_mov_b32 s14, 0x459c4000
	v_div_scale_f32 v14, s[8:9], s14, s14, v4
	v_rcp_f32_e32 v15, v14
	v_fma_f32 v16, -v14, v15, 1.0
	v_fmac_f32_e32 v15, v16, v15
	v_div_scale_f32 v16, vcc, v4, s14, v4
	v_mul_f32_e32 v17, v16, v15
	v_fma_f32 v22, -v14, v17, v16
	v_fmac_f32_e32 v17, v22, v15
	v_fma_f32 v14, -v14, v17, v16
	v_div_fmas_f32 v14, v14, v15, v17
	v_div_fixup_f32 v4, v14, s14, v4
.LBB29_723:
	s_or_b64 exec, exec, s[10:11]
	v_add_u32_e32 v14, 0x180, v19
	v_cmp_lt_u32_e64 s[8:9], v14, v20
	s_and_saveexec_b64 s[14:15], s[8:9]
	s_cbranch_execz .LBB29_762
; %bb.724:
	v_add_u32_e32 v5, v21, v14
	s_movk_i32 s10, 0x1388
	v_mul_lo_u32 v14, v5, s10
	v_cmp_ne_u32_e32 vcc, 0, v14
	v_mov_b32_e32 v15, 1
	s_and_saveexec_b64 s[16:17], vcc
	s_cbranch_execz .LBB29_759
; %bb.725:
	v_mov_b32_e32 v16, 1
	v_mov_b32_e32 v15, 0
	s_mov_b64 s[20:21], 0xbc8f
	s_mov_b64 s[18:19], 0
	v_mov_b32_e32 v17, 0
	s_brev_b32 s28, -2
	s_mov_b32 s29, 0x7ffffffe
	v_mov_b32_e32 v5, 0xfffff800
	s_movk_i32 s30, 0x401
	s_branch .LBB29_727
.LBB29_726:                             ;   in Loop: Header=BB29_727 Depth=1
	s_or_b64 exec, exec, s[26:27]
	s_mul_i32 s10, s20, s21
	s_mul_hi_u32 s11, s20, s20
	s_add_i32 s11, s11, s10
	s_add_i32 s10, s11, s10
	s_mul_i32 s11, s20, s20
	s_add_u32 s20, 0x402, s30
	s_addc_u32 s21, 0, 0
	v_add_co_u32_e32 v24, vcc, s20, v5
	s_cmp_lg_u64 vcc, 0
	v_readfirstlane_b32 s26, v24
	s_addc_u32 s20, s21, 1
	s_mul_hi_u32 s27, s26, 0x80000001
	s_mul_i32 s21, s20, 0x80000001
	s_sub_i32 s27, s27, s26
	s_add_i32 s27, s27, s21
	s_mul_i32 vcc_hi, s26, 0x80000001
	s_mul_hi_u32 s21, s26, s27
	s_mul_i32 vcc_lo, s26, s27
	s_mul_hi_u32 s26, s26, vcc_hi
	s_add_u32 s26, s26, vcc_lo
	s_addc_u32 s21, 0, s21
	s_mul_hi_u32 s31, s20, vcc_hi
	s_mul_i32 vcc_hi, s20, vcc_hi
	s_add_u32 s26, s26, vcc_hi
	s_mul_hi_u32 vcc_lo, s20, s27
	s_addc_u32 s21, s21, s31
	s_addc_u32 s26, vcc_lo, 0
	s_mul_i32 s27, s20, s27
	s_add_u32 s21, s21, s27
	s_addc_u32 s26, 0, s26
	v_add_co_u32_e32 v24, vcc, s21, v24
	s_cmp_lg_u64 vcc, 0
	s_addc_u32 s20, s20, s26
	v_readfirstlane_b32 s27, v24
	s_mul_i32 s26, s11, s20
	s_mul_hi_u32 vcc_lo, s11, s27
	s_mul_hi_u32 s21, s11, s20
	s_add_u32 s26, vcc_lo, s26
	s_addc_u32 s21, 0, s21
	s_mul_hi_u32 vcc_hi, s10, s27
	s_mul_i32 s27, s10, s27
	s_add_u32 s26, s26, s27
	s_mul_hi_u32 vcc_lo, s10, s20
	s_addc_u32 s21, s21, vcc_hi
	s_addc_u32 s26, vcc_lo, 0
	s_mul_i32 s20, s10, s20
	s_add_u32 s20, s21, s20
	s_addc_u32 s21, 0, s26
	s_mul_hi_u32 s26, s20, 0x7fffffff
	s_mul_i32 s20, s20, 0x7fffffff
	s_mul_i32 s21, s21, 0x7fffffff
	v_mov_b32_e32 v24, s20
	s_add_i32 s26, s26, s21
	v_sub_co_u32_e32 v24, vcc, s11, v24
	s_cmp_lg_u64 vcc, 0
	s_subb_u32 s10, s10, s26
	v_subrev_co_u32_e32 v25, vcc, s28, v24
	s_cmp_lg_u64 vcc, 0
	s_subb_u32 s11, s10, 0
	v_subrev_co_u32_e32 v26, vcc, s28, v25
	s_cmp_lg_u64 vcc, 0
	s_subb_u32 s20, s11, 0
	v_readfirstlane_b32 s21, v25
	s_cmp_gt_u32 s21, 0x7ffffffe
	s_cselect_b32 s26, -1, 0
	s_cmp_eq_u32 s11, 0
	s_cselect_b32 s26, s26, -1
	s_cmp_lg_u32 s26, 0
	s_cselect_b32 s11, s20, s11
	v_readfirstlane_b32 s20, v26
	v_readfirstlane_b32 s26, v24
	s_cselect_b32 s20, s20, s21
	s_cmp_gt_u32 s26, 0x7ffffffe
	s_cselect_b32 s21, -1, 0
	s_cmp_eq_u32 s10, 0
	s_cselect_b32 s21, s21, -1
	v_lshrrev_b64 v[22:23], 1, v[14:15]
	s_cmp_lg_u32 s21, 0
	v_cmp_gt_u64_e32 vcc, 2, v[14:15]
	s_cselect_b32 s21, s11, s10
	s_cselect_b32 s20, s20, s26
	s_or_b64 s[18:19], vcc, s[18:19]
	v_pk_mov_b32 v[14:15], v[22:23], v[22:23] op_sel:[0,1]
	s_andn2_b64 exec, exec, s[18:19]
	s_cbranch_execz .LBB29_758
.LBB29_727:                             ; =>This Inner Loop Header: Depth=1
	v_and_b32_e32 v22, 1, v14
	v_cmp_eq_u32_e32 vcc, 1, v22
	s_and_saveexec_b64 s[26:27], vcc
	s_cbranch_execz .LBB29_726
; %bb.728:                              ;   in Loop: Header=BB29_727 Depth=1
	v_mul_lo_u32 v22, s21, v16
	v_mul_lo_u32 v23, s20, v17
	v_mad_u64_u32 v[16:17], s[10:11], s20, v16, 0
	s_add_u32 s10, 0x402, s30
	v_add3_u32 v17, v17, v23, v22
	s_addc_u32 s11, 0, 0
	v_add_co_u32_e32 v22, vcc, s10, v5
	s_cmp_lg_u64 vcc, 0
	v_readfirstlane_b32 vcc_lo, v22
	s_addc_u32 s10, s11, 1
	s_mul_hi_u32 vcc_hi, vcc_lo, 0x80000001
	s_mul_i32 s11, s10, 0x80000001
	s_sub_i32 vcc_hi, vcc_hi, vcc_lo
	s_add_i32 vcc_hi, vcc_hi, s11
	s_mul_i32 s34, vcc_lo, 0x80000001
	s_mul_hi_u32 s11, vcc_lo, vcc_hi
	s_mul_i32 s31, vcc_lo, vcc_hi
	s_mul_hi_u32 vcc_lo, vcc_lo, s34
	s_add_u32 vcc_lo, vcc_lo, s31
	s_addc_u32 s11, 0, s11
	s_mul_hi_u32 s35, s10, s34
	s_mul_i32 s34, s10, s34
	s_add_u32 vcc_lo, vcc_lo, s34
	s_mul_hi_u32 s31, s10, vcc_hi
	s_addc_u32 s11, s11, s35
	s_addc_u32 vcc_lo, s31, 0
	s_mul_i32 vcc_hi, s10, vcc_hi
	s_add_u32 s11, s11, vcc_hi
	s_addc_u32 s31, 0, vcc_lo
	v_add_co_u32_e32 v24, vcc, s11, v22
	s_cmp_lg_u64 vcc, 0
	s_addc_u32 s31, s10, s31
	v_mad_u64_u32 v[22:23], s[10:11], v16, s31, 0
	v_mul_hi_u32 v25, v16, v24
	v_add_co_u32_e32 v26, vcc, v25, v22
	v_addc_co_u32_e32 v27, vcc, 0, v23, vcc
	v_mad_u64_u32 v[24:25], s[10:11], v17, v24, 0
	v_add_co_u32_e32 v24, vcc, v26, v24
	v_mad_u64_u32 v[22:23], s[10:11], v17, s31, 0
	v_addc_co_u32_e32 v24, vcc, v27, v25, vcc
	v_addc_co_u32_e32 v23, vcc, 0, v23, vcc
	v_add_co_u32_e32 v22, vcc, v24, v22
	v_addc_co_u32_e32 v25, vcc, 0, v23, vcc
	v_mad_u64_u32 v[22:23], s[10:11], v22, s28, 0
	v_mov_b32_e32 v24, v23
	v_mad_u64_u32 v[24:25], s[10:11], v25, s28, v[24:25]
	v_sub_co_u32_e32 v16, vcc, v16, v22
	v_subb_co_u32_e32 v17, vcc, v17, v24, vcc
	v_subrev_co_u32_e32 v22, vcc, s28, v16
	v_subbrev_co_u32_e32 v23, vcc, 0, v17, vcc
	v_subrev_co_u32_e32 v24, vcc, s28, v22
	v_subbrev_co_u32_e32 v25, vcc, 0, v23, vcc
	v_cmp_lt_u32_e32 vcc, s29, v22
	v_cndmask_b32_e64 v26, 0, -1, vcc
	v_cmp_eq_u32_e32 vcc, 0, v23
	v_cndmask_b32_e32 v26, -1, v26, vcc
	v_cmp_ne_u32_e32 vcc, 0, v26
	v_cmp_lt_u32_e64 s[10:11], s29, v16
	v_cndmask_b32_e32 v23, v23, v25, vcc
	v_cndmask_b32_e64 v25, 0, -1, s[10:11]
	v_cmp_eq_u32_e64 s[10:11], 0, v17
	v_cndmask_b32_e64 v25, -1, v25, s[10:11]
	v_cmp_ne_u32_e64 s[10:11], 0, v25
	v_cndmask_b32_e32 v22, v22, v24, vcc
	v_cndmask_b32_e64 v17, v17, v23, s[10:11]
	v_cndmask_b32_e64 v16, v16, v22, s[10:11]
	s_branch .LBB29_726
.LBB29_729:
	s_or_b64 exec, exec, s[16:17]
	s_movk_i32 s8, 0x401
	s_add_u32 s8, 0x402, s8
	v_mov_b32_e32 v4, 0xfffff800
	s_addc_u32 s9, 0, 0
	v_add_co_u32_e32 v4, vcc, s8, v4
	s_cmp_lg_u64 vcc, 0
	v_readfirstlane_b32 s16, v4
	s_addc_u32 s8, s9, 1
	s_mul_hi_u32 s17, s16, 0x80000001
	s_mul_i32 s9, s8, 0x80000001
	s_sub_i32 s17, s17, s16
	s_add_i32 s17, s17, s9
	s_mul_i32 s19, s16, 0x80000001
	s_mul_hi_u32 s9, s16, s17
	s_mul_i32 s18, s16, s17
	s_mul_hi_u32 s16, s16, s19
	s_add_u32 s16, s16, s18
	s_addc_u32 s9, 0, s9
	s_mul_hi_u32 s20, s8, s19
	s_mul_i32 s19, s8, s19
	s_add_u32 s16, s16, s19
	s_mul_hi_u32 s18, s8, s17
	s_addc_u32 s9, s9, s20
	s_addc_u32 s16, s18, 0
	s_mul_i32 s17, s8, s17
	s_add_u32 s9, s9, s17
	s_addc_u32 s16, 0, s16
	v_add_co_u32_e32 v4, vcc, s9, v4
	s_cmp_lg_u64 vcc, 0
	s_addc_u32 s16, s8, s16
	v_mad_u64_u32 v[22:23], s[8:9], v24, s16, 0
	v_mul_hi_u32 v30, v24, v4
	v_add_co_u32_e32 v30, vcc, v30, v22
	v_addc_co_u32_e32 v34, vcc, 0, v23, vcc
	v_mad_u64_u32 v[32:33], s[8:9], v25, v4, 0
	v_add_co_u32_e32 v4, vcc, v30, v32
	v_mad_u64_u32 v[22:23], s[8:9], v25, s16, 0
	v_addc_co_u32_e32 v4, vcc, v34, v33, vcc
	v_addc_co_u32_e32 v23, vcc, 0, v23, vcc
	v_add_co_u32_e32 v4, vcc, v4, v22
	s_brev_b32 s16, -2
	v_addc_co_u32_e32 v30, vcc, 0, v23, vcc
	v_mad_u64_u32 v[22:23], s[8:9], v4, s16, 0
	v_mov_b32_e32 v4, v23
	v_mad_u64_u32 v[32:33], s[8:9], v30, s16, v[4:5]
	v_sub_co_u32_e32 v4, vcc, v24, v22
	v_subb_co_u32_e32 v22, vcc, v25, v32, vcc
	v_subrev_co_u32_e32 v23, vcc, 0x7fffffff, v4
	v_subbrev_co_u32_e32 v24, vcc, 0, v22, vcc
	s_mov_b32 s8, 0x7ffffffe
	v_cmp_lt_u32_e32 vcc, s8, v23
	v_cndmask_b32_e64 v25, 0, -1, vcc
	v_cmp_eq_u32_e32 vcc, 0, v24
	v_cndmask_b32_e32 v24, -1, v25, vcc
	v_add_u32_e32 v25, 0x80000001, v23
	v_cmp_ne_u32_e32 vcc, 0, v24
	v_cndmask_b32_e32 v23, v23, v25, vcc
	v_cmp_lt_u32_e32 vcc, s8, v4
	v_cndmask_b32_e64 v24, 0, -1, vcc
	v_cmp_eq_u32_e32 vcc, 0, v22
	v_cndmask_b32_e32 v22, -1, v24, vcc
	v_cmp_ne_u32_e32 vcc, 0, v22
	v_cndmask_b32_e32 v23, v4, v23, vcc
.LBB29_730:
	s_or_b64 exec, exec, s[14:15]
	s_movk_i32 s14, 0x1388
	v_mov_b32_e32 v22, 0
	s_mov_b32 s15, 0xbc8f1391
	s_mov_b32 s16, 0xbc8f
	s_brev_b32 s17, 12
	s_mov_b32 s18, 0xf800000
	v_mov_b32_e32 v4, 0x260
.LBB29_731:                             ; =>This Inner Loop Header: Depth=1
	v_mul_hi_u32 v24, v23, s15
	v_lshrrev_b32_e32 v24, 15, v24
	v_mul_u32_u24_e32 v30, 0xadc8, v24
	v_sub_u32_e32 v23, v23, v30
	v_mul_u32_u24_e32 v24, 0xd47, v24
	v_mul_lo_u32 v23, v23, s16
	v_xor_b32_e32 v30, 0x7fffffff, v24
	v_sub_u32_e32 v32, 0, v24
	v_cmp_lt_u32_e32 vcc, v23, v24
	v_cndmask_b32_e32 v24, v32, v30, vcc
	v_add_u32_e32 v23, v24, v23
	v_mul_hi_u32 v30, v23, s15
	v_lshrrev_b32_e32 v30, 15, v30
	v_mul_u32_u24_e32 v32, 0xadc8, v30
	v_add_u32_e32 v24, -1, v23
	v_sub_u32_e32 v23, v23, v32
	v_mul_u32_u24_e32 v30, 0xd47, v30
	v_mul_lo_u32 v23, v23, s16
	v_xor_b32_e32 v32, 0x7fffffff, v30
	v_sub_u32_e32 v33, 0, v30
	v_cmp_lt_u32_e32 vcc, v23, v30
	v_cndmask_b32_e32 v30, v33, v32, vcc
	v_add_u32_e32 v23, v30, v23
	v_mul_hi_u32 v32, v23, s15
	v_add_u32_e32 v30, -1, v23
	v_lshrrev_b32_e32 v32, 15, v32
	v_cvt_f32_u32_e32 v30, v30
	v_mul_u32_u24_e32 v33, 0xadc8, v32
	v_cvt_f32_u32_e32 v24, v24
	v_sub_u32_e32 v23, v23, v33
	v_mul_u32_u24_e32 v32, 0xd47, v32
	v_mul_lo_u32 v23, v23, s16
	v_xor_b32_e32 v33, 0x7fffffff, v32
	v_sub_u32_e32 v34, 0, v32
	v_cmp_lt_u32_e32 vcc, v23, v32
	v_fma_f32 v30, v30, s17, 0
	v_cndmask_b32_e32 v32, v34, v33, vcc
	v_fma_f32 v24, v24, s17, 0
	v_mul_f32_e32 v30, v30, v30
	v_add_u32_e32 v23, v32, v23
	v_fmac_f32_e32 v30, v24, v24
	v_mul_hi_u32 v32, v23, s15
	v_mul_f32_e32 v33, 0x4f800000, v30
	v_lshrrev_b32_e32 v32, 15, v32
	v_cmp_gt_f32_e32 vcc, s18, v30
	v_cndmask_b32_e32 v30, v30, v33, vcc
	v_mul_u32_u24_e32 v33, 0xadc8, v32
	v_add_u32_e32 v24, -1, v23
	v_sqrt_f32_e32 v34, v30
	v_sub_u32_e32 v23, v23, v33
	v_mul_u32_u24_e32 v32, 0xd47, v32
	v_mul_lo_u32 v23, v23, s16
	v_xor_b32_e32 v33, 0x7fffffff, v32
	v_sub_u32_e32 v35, 0, v32
	v_cmp_lt_u32_e64 s[8:9], v23, v32
	v_cndmask_b32_e64 v32, v35, v33, s[8:9]
	v_add_u32_e32 v23, v32, v23
	v_add_u32_e32 v32, -1, v34
	v_add_u32_e32 v33, 1, v34
	v_add_u32_e32 v35, -1, v23
	v_fma_f32 v36, -v32, v34, v30
	v_fma_f32 v37, -v33, v34, v30
	v_cvt_f32_u32_e32 v35, v35
	v_cmp_ge_f32_e64 s[8:9], 0, v36
	v_cvt_f32_u32_e32 v24, v24
	v_cndmask_b32_e64 v32, v34, v32, s[8:9]
	v_cmp_lt_f32_e64 s[8:9], 0, v37
	v_cndmask_b32_e64 v32, v32, v33, s[8:9]
	v_mul_f32_e32 v33, 0x37800000, v32
	v_cndmask_b32_e32 v32, v32, v33, vcc
	v_fma_f32 v33, v35, s17, 0
	v_cmp_class_f32_e32 vcc, v30, v4
	v_fma_f32 v24, v24, s17, 0
	v_cndmask_b32_e32 v30, v32, v30, vcc
	v_mul_f32_e32 v32, v33, v33
	v_add_f32_e32 v25, 1.0, v22
	v_cmp_nge_f32_e32 vcc, 1.0, v30
	v_fmac_f32_e32 v32, v24, v24
	v_cndmask_b32_e32 v22, v25, v22, vcc
	v_mul_f32_e32 v24, 0x4f800000, v32
	v_cmp_gt_f32_e32 vcc, s18, v32
	v_cndmask_b32_e32 v24, v32, v24, vcc
	v_sqrt_f32_e32 v30, v24
	s_add_i32 s14, s14, -2
	v_add_f32_e32 v25, 1.0, v22
	s_cmp_lg_u32 s14, 0
	v_add_u32_e32 v32, -1, v30
	v_add_u32_e32 v33, 1, v30
	v_fma_f32 v34, -v32, v30, v24
	v_fma_f32 v35, -v33, v30, v24
	v_cmp_ge_f32_e64 s[8:9], 0, v34
	v_cndmask_b32_e64 v30, v30, v32, s[8:9]
	v_cmp_lt_f32_e64 s[8:9], 0, v35
	v_cndmask_b32_e64 v30, v30, v33, s[8:9]
	v_mul_f32_e32 v32, 0x37800000, v30
	v_cndmask_b32_e32 v30, v30, v32, vcc
	v_cmp_class_f32_e32 vcc, v24, v4
	v_cndmask_b32_e32 v24, v30, v24, vcc
	v_cmp_nge_f32_e32 vcc, 1.0, v24
	v_cndmask_b32_e32 v22, v25, v22, vcc
	s_cbranch_scc1 .LBB29_731
; %bb.732:
	v_mul_f32_e32 v4, 4.0, v22
	s_mov_b32 s14, 0x459c4000
	v_div_scale_f32 v22, s[8:9], s14, s14, v4
	v_rcp_f32_e32 v23, v22
	v_fma_f32 v24, -v22, v23, 1.0
	v_fmac_f32_e32 v23, v24, v23
	v_div_scale_f32 v24, vcc, v4, s14, v4
	v_mul_f32_e32 v25, v24, v23
	v_fma_f32 v30, -v22, v25, v24
	v_fmac_f32_e32 v25, v30, v23
	v_fma_f32 v22, -v22, v25, v24
	v_div_fmas_f32 v22, v22, v23, v25
	v_div_fixup_f32 v4, v22, s14, v4
.LBB29_733:
	s_or_b64 exec, exec, s[10:11]
	v_add_u32_e32 v22, 0x180, v27
	v_cmp_lt_u32_e64 s[8:9], v22, v28
	s_and_saveexec_b64 s[14:15], s[8:9]
	s_cbranch_execz .LBB29_772
; %bb.734:
	v_add_u32_e32 v5, v29, v22
	s_movk_i32 s10, 0x1388
	v_mul_lo_u32 v22, v5, s10
	v_cmp_ne_u32_e32 vcc, 0, v22
	v_mov_b32_e32 v23, 1
	s_and_saveexec_b64 s[16:17], vcc
	s_cbranch_execz .LBB29_769
; %bb.735:
	v_mov_b32_e32 v24, 1
	v_mov_b32_e32 v23, 0
	s_mov_b64 s[20:21], 0xbc8f
	s_mov_b64 s[18:19], 0
	v_mov_b32_e32 v25, 0
	s_brev_b32 s24, -2
	s_mov_b32 s25, 0x7ffffffe
	v_mov_b32_e32 v5, 0xfffff800
	s_movk_i32 s26, 0x401
	s_branch .LBB29_737
.LBB29_736:                             ;   in Loop: Header=BB29_737 Depth=1
	s_or_b64 exec, exec, s[22:23]
	s_mul_i32 s10, s20, s21
	s_mul_hi_u32 s11, s20, s20
	s_add_i32 s11, s11, s10
	s_add_i32 s10, s11, s10
	s_mul_i32 s11, s20, s20
	s_add_u32 s20, 0x402, s26
	s_addc_u32 s21, 0, 0
	v_add_co_u32_e32 v30, vcc, s20, v5
	s_cmp_lg_u64 vcc, 0
	v_readfirstlane_b32 s22, v30
	s_addc_u32 s20, s21, 1
	s_mul_hi_u32 s23, s22, 0x80000001
	s_mul_i32 s21, s20, 0x80000001
	s_sub_i32 s23, s23, s22
	s_add_i32 s23, s23, s21
	s_mul_i32 s28, s22, 0x80000001
	s_mul_hi_u32 s21, s22, s23
	s_mul_i32 s27, s22, s23
	s_mul_hi_u32 s22, s22, s28
	s_add_u32 s22, s22, s27
	s_addc_u32 s21, 0, s21
	s_mul_hi_u32 s29, s20, s28
	s_mul_i32 s28, s20, s28
	s_add_u32 s22, s22, s28
	s_mul_hi_u32 s27, s20, s23
	s_addc_u32 s21, s21, s29
	s_addc_u32 s22, s27, 0
	s_mul_i32 s23, s20, s23
	s_add_u32 s21, s21, s23
	s_addc_u32 s22, 0, s22
	v_add_co_u32_e32 v30, vcc, s21, v30
	s_cmp_lg_u64 vcc, 0
	s_addc_u32 s20, s20, s22
	v_readfirstlane_b32 s23, v30
	s_mul_i32 s22, s11, s20
	s_mul_hi_u32 s27, s11, s23
	s_mul_hi_u32 s21, s11, s20
	s_add_u32 s22, s27, s22
	s_addc_u32 s21, 0, s21
	s_mul_hi_u32 s28, s10, s23
	s_mul_i32 s23, s10, s23
	s_add_u32 s22, s22, s23
	s_mul_hi_u32 s27, s10, s20
	s_addc_u32 s21, s21, s28
	s_addc_u32 s22, s27, 0
	s_mul_i32 s20, s10, s20
	s_add_u32 s20, s21, s20
	s_addc_u32 s21, 0, s22
	s_mul_hi_u32 s22, s20, 0x7fffffff
	s_mul_i32 s20, s20, 0x7fffffff
	s_mul_i32 s21, s21, 0x7fffffff
	v_mov_b32_e32 v30, s20
	s_add_i32 s22, s22, s21
	v_sub_co_u32_e32 v30, vcc, s11, v30
	s_cmp_lg_u64 vcc, 0
	s_subb_u32 s10, s10, s22
	v_subrev_co_u32_e32 v34, vcc, s24, v30
	s_cmp_lg_u64 vcc, 0
	s_subb_u32 s11, s10, 0
	v_subrev_co_u32_e32 v35, vcc, s24, v34
	s_cmp_lg_u64 vcc, 0
	s_subb_u32 s20, s11, 0
	v_readfirstlane_b32 s21, v34
	s_cmp_gt_u32 s21, 0x7ffffffe
	s_cselect_b32 s22, -1, 0
	s_cmp_eq_u32 s11, 0
	s_cselect_b32 s22, s22, -1
	s_cmp_lg_u32 s22, 0
	s_cselect_b32 s11, s20, s11
	v_readfirstlane_b32 s20, v35
	v_readfirstlane_b32 s22, v30
	s_cselect_b32 s20, s20, s21
	s_cmp_gt_u32 s22, 0x7ffffffe
	s_cselect_b32 s21, -1, 0
	s_cmp_eq_u32 s10, 0
	s_cselect_b32 s21, s21, -1
	v_lshrrev_b64 v[32:33], 1, v[22:23]
	s_cmp_lg_u32 s21, 0
	v_cmp_gt_u64_e32 vcc, 2, v[22:23]
	s_cselect_b32 s21, s11, s10
	s_cselect_b32 s20, s20, s22
	s_or_b64 s[18:19], vcc, s[18:19]
	v_pk_mov_b32 v[22:23], v[32:33], v[32:33] op_sel:[0,1]
	s_andn2_b64 exec, exec, s[18:19]
	s_cbranch_execz .LBB29_768
.LBB29_737:                             ; =>This Inner Loop Header: Depth=1
	v_and_b32_e32 v30, 1, v22
	v_cmp_eq_u32_e32 vcc, 1, v30
	s_and_saveexec_b64 s[22:23], vcc
	s_cbranch_execz .LBB29_736
; %bb.738:                              ;   in Loop: Header=BB29_737 Depth=1
	v_mul_lo_u32 v30, s21, v24
	v_mul_lo_u32 v32, s20, v25
	v_mad_u64_u32 v[24:25], s[10:11], s20, v24, 0
	s_add_u32 s10, 0x402, s26
	v_add3_u32 v25, v25, v32, v30
	s_addc_u32 s11, 0, 0
	v_add_co_u32_e32 v30, vcc, s10, v5
	s_cmp_lg_u64 vcc, 0
	v_readfirstlane_b32 s27, v30
	s_addc_u32 s10, s11, 1
	s_mul_hi_u32 s28, s27, 0x80000001
	s_mul_i32 s11, s10, 0x80000001
	s_sub_i32 s28, s28, s27
	s_add_i32 s28, s28, s11
	s_mul_i32 vcc_lo, s27, 0x80000001
	s_mul_hi_u32 s11, s27, s28
	s_mul_i32 s29, s27, s28
	s_mul_hi_u32 s27, s27, vcc_lo
	s_add_u32 s27, s27, s29
	s_addc_u32 s11, 0, s11
	s_mul_hi_u32 vcc_hi, s10, vcc_lo
	s_mul_i32 vcc_lo, s10, vcc_lo
	s_add_u32 s27, s27, vcc_lo
	s_mul_hi_u32 s29, s10, s28
	s_addc_u32 s11, s11, vcc_hi
	s_addc_u32 s27, s29, 0
	s_mul_i32 s28, s10, s28
	s_add_u32 s11, s11, s28
	s_addc_u32 s27, 0, s27
	v_add_co_u32_e32 v30, vcc, s11, v30
	s_cmp_lg_u64 vcc, 0
	s_addc_u32 s27, s10, s27
	v_mad_u64_u32 v[32:33], s[10:11], v24, s27, 0
	v_mul_hi_u32 v34, v24, v30
	v_add_co_u32_e32 v36, vcc, v34, v32
	v_addc_co_u32_e32 v37, vcc, 0, v33, vcc
	v_mad_u64_u32 v[34:35], s[10:11], v25, v30, 0
	v_add_co_u32_e32 v30, vcc, v36, v34
	v_mad_u64_u32 v[32:33], s[10:11], v25, s27, 0
	v_addc_co_u32_e32 v30, vcc, v37, v35, vcc
	v_addc_co_u32_e32 v33, vcc, 0, v33, vcc
	v_add_co_u32_e32 v30, vcc, v30, v32
	v_addc_co_u32_e32 v34, vcc, 0, v33, vcc
	v_mad_u64_u32 v[32:33], s[10:11], v30, s24, 0
	v_mov_b32_e32 v30, v33
	v_mad_u64_u32 v[34:35], s[10:11], v34, s24, v[30:31]
	v_sub_co_u32_e32 v24, vcc, v24, v32
	v_subb_co_u32_e32 v25, vcc, v25, v34, vcc
	v_subrev_co_u32_e32 v30, vcc, s24, v24
	v_subbrev_co_u32_e32 v32, vcc, 0, v25, vcc
	v_subrev_co_u32_e32 v33, vcc, s24, v30
	v_subbrev_co_u32_e32 v34, vcc, 0, v32, vcc
	v_cmp_lt_u32_e32 vcc, s25, v30
	v_cndmask_b32_e64 v35, 0, -1, vcc
	v_cmp_eq_u32_e32 vcc, 0, v32
	v_cndmask_b32_e32 v35, -1, v35, vcc
	v_cmp_ne_u32_e32 vcc, 0, v35
	v_cmp_lt_u32_e64 s[10:11], s25, v24
	v_cndmask_b32_e32 v32, v32, v34, vcc
	v_cndmask_b32_e64 v34, 0, -1, s[10:11]
	v_cmp_eq_u32_e64 s[10:11], 0, v25
	v_cndmask_b32_e64 v34, -1, v34, s[10:11]
	v_cmp_ne_u32_e64 s[10:11], 0, v34
	v_cndmask_b32_e32 v30, v30, v33, vcc
	v_cndmask_b32_e64 v25, v25, v32, s[10:11]
	v_cndmask_b32_e64 v24, v24, v30, s[10:11]
	s_branch .LBB29_736
.LBB29_739:
	s_or_b64 exec, exec, s[16:17]
	s_movk_i32 s8, 0x401
	s_add_u32 s8, 0x402, s8
	v_mov_b32_e32 v4, 0xfffff800
	s_addc_u32 s9, 0, 0
	v_add_co_u32_e32 v4, vcc, s8, v4
	s_cmp_lg_u64 vcc, 0
	v_readfirstlane_b32 s16, v4
	s_addc_u32 s8, s9, 1
	s_mul_hi_u32 s17, s16, 0x80000001
	s_mul_i32 s9, s8, 0x80000001
	s_sub_i32 s17, s17, s16
	s_add_i32 s17, s17, s9
	s_mul_i32 s19, s16, 0x80000001
	s_mul_hi_u32 s9, s16, s17
	s_mul_i32 s18, s16, s17
	s_mul_hi_u32 s16, s16, s19
	s_add_u32 s16, s16, s18
	s_addc_u32 s9, 0, s9
	s_mul_hi_u32 s20, s8, s19
	s_mul_i32 s19, s8, s19
	s_add_u32 s16, s16, s19
	s_mul_hi_u32 s18, s8, s17
	s_addc_u32 s9, s9, s20
	s_addc_u32 s16, s18, 0
	s_mul_i32 s17, s8, s17
	s_add_u32 s9, s9, s17
	s_addc_u32 s16, 0, s16
	v_add_co_u32_e32 v14, vcc, s9, v4
	s_cmp_lg_u64 vcc, 0
	s_addc_u32 s16, s8, s16
	v_mad_u64_u32 v[4:5], s[8:9], v6, s16, 0
	v_mul_hi_u32 v15, v6, v14
	v_add_co_u32_e32 v16, vcc, v15, v4
	v_addc_co_u32_e32 v17, vcc, 0, v5, vcc
	v_mad_u64_u32 v[14:15], s[8:9], v7, v14, 0
	v_add_co_u32_e32 v14, vcc, v16, v14
	v_mad_u64_u32 v[4:5], s[8:9], v7, s16, 0
	v_addc_co_u32_e32 v14, vcc, v17, v15, vcc
	v_addc_co_u32_e32 v5, vcc, 0, v5, vcc
	v_add_co_u32_e32 v4, vcc, v14, v4
	s_brev_b32 s16, -2
	v_addc_co_u32_e32 v15, vcc, 0, v5, vcc
	v_mad_u64_u32 v[4:5], s[8:9], v4, s16, 0
	v_mov_b32_e32 v14, v5
	v_mad_u64_u32 v[14:15], s[8:9], v15, s16, v[14:15]
	v_sub_co_u32_e32 v4, vcc, v6, v4
	v_subb_co_u32_e32 v5, vcc, v7, v14, vcc
	v_subrev_co_u32_e32 v6, vcc, 0x7fffffff, v4
	v_subbrev_co_u32_e32 v7, vcc, 0, v5, vcc
	s_mov_b32 s8, 0x7ffffffe
	v_cmp_lt_u32_e32 vcc, s8, v6
	v_cndmask_b32_e64 v14, 0, -1, vcc
	v_cmp_eq_u32_e32 vcc, 0, v7
	v_cndmask_b32_e32 v7, -1, v14, vcc
	v_add_u32_e32 v14, 0x80000001, v6
	v_cmp_ne_u32_e32 vcc, 0, v7
	v_cndmask_b32_e32 v6, v6, v14, vcc
	v_cmp_lt_u32_e32 vcc, s8, v4
	v_cndmask_b32_e64 v7, 0, -1, vcc
	v_cmp_eq_u32_e32 vcc, 0, v5
	v_cndmask_b32_e32 v5, -1, v7, vcc
	v_cmp_ne_u32_e32 vcc, 0, v5
	v_cndmask_b32_e32 v6, v4, v6, vcc
.LBB29_740:
	s_or_b64 exec, exec, s[14:15]
	s_movk_i32 s14, 0x1388
	v_mov_b32_e32 v5, 0
	s_mov_b32 s15, 0xbc8f1391
	s_mov_b32 s16, 0xbc8f
	s_brev_b32 s17, 12
	s_mov_b32 s18, 0xf800000
	v_mov_b32_e32 v4, 0x260
.LBB29_741:                             ; =>This Inner Loop Header: Depth=1
	v_mul_hi_u32 v7, v6, s15
	v_lshrrev_b32_e32 v7, 15, v7
	v_mul_u32_u24_e32 v15, 0xadc8, v7
	v_sub_u32_e32 v6, v6, v15
	v_mul_u32_u24_e32 v7, 0xd47, v7
	v_mul_lo_u32 v6, v6, s16
	v_xor_b32_e32 v15, 0x7fffffff, v7
	v_sub_u32_e32 v16, 0, v7
	v_cmp_lt_u32_e32 vcc, v6, v7
	v_cndmask_b32_e32 v7, v16, v15, vcc
	v_add_u32_e32 v6, v7, v6
	v_mul_hi_u32 v15, v6, s15
	v_lshrrev_b32_e32 v15, 15, v15
	v_mul_u32_u24_e32 v16, 0xadc8, v15
	v_add_u32_e32 v7, -1, v6
	v_sub_u32_e32 v6, v6, v16
	v_mul_u32_u24_e32 v15, 0xd47, v15
	v_mul_lo_u32 v6, v6, s16
	v_xor_b32_e32 v16, 0x7fffffff, v15
	v_sub_u32_e32 v17, 0, v15
	v_cmp_lt_u32_e32 vcc, v6, v15
	v_cndmask_b32_e32 v15, v17, v16, vcc
	v_add_u32_e32 v6, v15, v6
	v_mul_hi_u32 v16, v6, s15
	v_add_u32_e32 v15, -1, v6
	v_lshrrev_b32_e32 v16, 15, v16
	v_cvt_f32_u32_e32 v15, v15
	v_mul_u32_u24_e32 v17, 0xadc8, v16
	v_cvt_f32_u32_e32 v7, v7
	v_sub_u32_e32 v6, v6, v17
	v_mul_u32_u24_e32 v16, 0xd47, v16
	v_mul_lo_u32 v6, v6, s16
	v_xor_b32_e32 v17, 0x7fffffff, v16
	v_sub_u32_e32 v18, 0, v16
	v_cmp_lt_u32_e32 vcc, v6, v16
	v_fma_f32 v15, v15, s17, 0
	v_cndmask_b32_e32 v16, v18, v17, vcc
	v_fma_f32 v7, v7, s17, 0
	v_mul_f32_e32 v15, v15, v15
	v_add_u32_e32 v6, v16, v6
	v_fmac_f32_e32 v15, v7, v7
	v_mul_hi_u32 v16, v6, s15
	v_mul_f32_e32 v17, 0x4f800000, v15
	v_lshrrev_b32_e32 v16, 15, v16
	v_cmp_gt_f32_e32 vcc, s18, v15
	v_cndmask_b32_e32 v15, v15, v17, vcc
	v_mul_u32_u24_e32 v17, 0xadc8, v16
	v_add_u32_e32 v7, -1, v6
	v_sqrt_f32_e32 v18, v15
	v_sub_u32_e32 v6, v6, v17
	v_mul_u32_u24_e32 v16, 0xd47, v16
	v_mul_lo_u32 v6, v6, s16
	v_xor_b32_e32 v17, 0x7fffffff, v16
	v_sub_u32_e32 v19, 0, v16
	v_cmp_lt_u32_e64 s[8:9], v6, v16
	v_cndmask_b32_e64 v16, v19, v17, s[8:9]
	v_add_u32_e32 v6, v16, v6
	v_add_u32_e32 v16, -1, v18
	v_add_u32_e32 v17, 1, v18
	v_add_u32_e32 v19, -1, v6
	v_fma_f32 v20, -v16, v18, v15
	v_fma_f32 v21, -v17, v18, v15
	v_cvt_f32_u32_e32 v19, v19
	v_cmp_ge_f32_e64 s[8:9], 0, v20
	v_cvt_f32_u32_e32 v7, v7
	v_cndmask_b32_e64 v16, v18, v16, s[8:9]
	v_cmp_lt_f32_e64 s[8:9], 0, v21
	v_cndmask_b32_e64 v16, v16, v17, s[8:9]
	v_mul_f32_e32 v17, 0x37800000, v16
	v_cndmask_b32_e32 v16, v16, v17, vcc
	v_fma_f32 v17, v19, s17, 0
	v_cmp_class_f32_e32 vcc, v15, v4
	v_fma_f32 v7, v7, s17, 0
	v_cndmask_b32_e32 v15, v16, v15, vcc
	v_mul_f32_e32 v16, v17, v17
	v_add_f32_e32 v14, 1.0, v5
	v_cmp_nge_f32_e32 vcc, 1.0, v15
	v_fmac_f32_e32 v16, v7, v7
	v_cndmask_b32_e32 v5, v14, v5, vcc
	v_mul_f32_e32 v7, 0x4f800000, v16
	v_cmp_gt_f32_e32 vcc, s18, v16
	v_cndmask_b32_e32 v7, v16, v7, vcc
	v_sqrt_f32_e32 v15, v7
	s_add_i32 s14, s14, -2
	v_add_f32_e32 v14, 1.0, v5
	s_cmp_lg_u32 s14, 0
	v_add_u32_e32 v16, -1, v15
	v_add_u32_e32 v17, 1, v15
	v_fma_f32 v18, -v16, v15, v7
	v_fma_f32 v19, -v17, v15, v7
	v_cmp_ge_f32_e64 s[8:9], 0, v18
	v_cndmask_b32_e64 v15, v15, v16, s[8:9]
	v_cmp_lt_f32_e64 s[8:9], 0, v19
	v_cndmask_b32_e64 v15, v15, v17, s[8:9]
	v_mul_f32_e32 v16, 0x37800000, v15
	v_cndmask_b32_e32 v15, v15, v16, vcc
	v_cmp_class_f32_e32 vcc, v7, v4
	v_cndmask_b32_e32 v7, v15, v7, vcc
	v_cmp_nge_f32_e32 vcc, 1.0, v7
	v_cndmask_b32_e32 v5, v14, v5, vcc
	s_cbranch_scc1 .LBB29_741
; %bb.742:
	v_mul_f32_e32 v4, 4.0, v5
	s_mov_b32 s14, 0x459c4000
	v_div_scale_f32 v5, s[8:9], s14, s14, v4
	v_rcp_f32_e32 v6, v5
	v_fma_f32 v7, -v5, v6, 1.0
	v_fmac_f32_e32 v6, v7, v6
	v_div_scale_f32 v7, vcc, v4, s14, v4
	v_mul_f32_e32 v14, v7, v6
	v_fma_f32 v15, -v5, v14, v7
	v_fmac_f32_e32 v14, v15, v6
	v_fma_f32 v5, -v5, v14, v7
	v_div_fmas_f32 v5, v5, v6, v14
	v_div_fixup_f32 v14, v5, s14, v4
.LBB29_743:
	s_or_b64 exec, exec, s[10:11]
	v_add_u32_e32 v4, 0x180, v11
	v_cmp_lt_u32_e64 s[8:9], v4, v8
                                        ; implicit-def: $vgpr15
	s_and_saveexec_b64 s[14:15], s[8:9]
	s_cbranch_execz .LBB29_782
; %bb.744:
	v_add_u32_e32 v4, v9, v4
	s_movk_i32 s10, 0x1388
	v_mul_lo_u32 v4, v4, s10
	v_cmp_ne_u32_e32 vcc, 0, v4
	v_mov_b32_e32 v6, 1
	s_and_saveexec_b64 s[16:17], vcc
	s_cbranch_execz .LBB29_779
; %bb.745:
	v_mov_b32_e32 v6, 1
	v_mov_b32_e32 v5, 0
	s_mov_b64 s[20:21], 0xbc8f
	s_mov_b64 s[18:19], 0
	v_mov_b32_e32 v7, 0
	s_brev_b32 s24, -2
	s_mov_b32 s25, 0x7ffffffe
	v_mov_b32_e32 v15, 0xfffff800
	s_movk_i32 s26, 0x401
	s_branch .LBB29_747
.LBB29_746:                             ;   in Loop: Header=BB29_747 Depth=1
	s_or_b64 exec, exec, s[22:23]
	s_mul_i32 s10, s20, s21
	s_mul_hi_u32 s11, s20, s20
	s_add_i32 s11, s11, s10
	s_add_i32 s10, s11, s10
	s_mul_i32 s11, s20, s20
	s_add_u32 s20, 0x402, s26
	s_addc_u32 s21, 0, 0
	v_add_co_u32_e32 v18, vcc, s20, v15
	s_cmp_lg_u64 vcc, 0
	v_readfirstlane_b32 s22, v18
	s_addc_u32 s20, s21, 1
	s_mul_hi_u32 s23, s22, 0x80000001
	s_mul_i32 s21, s20, 0x80000001
	s_sub_i32 s23, s23, s22
	s_add_i32 s23, s23, s21
	s_mul_i32 s28, s22, 0x80000001
	s_mul_hi_u32 s21, s22, s23
	s_mul_i32 s27, s22, s23
	s_mul_hi_u32 s22, s22, s28
	s_add_u32 s22, s22, s27
	s_addc_u32 s21, 0, s21
	s_mul_hi_u32 s29, s20, s28
	s_mul_i32 s28, s20, s28
	s_add_u32 s22, s22, s28
	s_mul_hi_u32 s27, s20, s23
	s_addc_u32 s21, s21, s29
	s_addc_u32 s22, s27, 0
	s_mul_i32 s23, s20, s23
	s_add_u32 s21, s21, s23
	s_addc_u32 s22, 0, s22
	v_add_co_u32_e32 v18, vcc, s21, v18
	s_cmp_lg_u64 vcc, 0
	s_addc_u32 s20, s20, s22
	v_readfirstlane_b32 s23, v18
	s_mul_i32 s22, s11, s20
	s_mul_hi_u32 s27, s11, s23
	s_mul_hi_u32 s21, s11, s20
	s_add_u32 s22, s27, s22
	s_addc_u32 s21, 0, s21
	s_mul_hi_u32 s28, s10, s23
	s_mul_i32 s23, s10, s23
	s_add_u32 s22, s22, s23
	s_mul_hi_u32 s27, s10, s20
	s_addc_u32 s21, s21, s28
	s_addc_u32 s22, s27, 0
	s_mul_i32 s20, s10, s20
	s_add_u32 s20, s21, s20
	s_addc_u32 s21, 0, s22
	s_mul_hi_u32 s22, s20, 0x7fffffff
	s_mul_i32 s20, s20, 0x7fffffff
	s_mul_i32 s21, s21, 0x7fffffff
	v_mov_b32_e32 v18, s20
	s_add_i32 s22, s22, s21
	v_sub_co_u32_e32 v18, vcc, s11, v18
	s_cmp_lg_u64 vcc, 0
	s_subb_u32 s10, s10, s22
	v_subrev_co_u32_e32 v19, vcc, s24, v18
	s_cmp_lg_u64 vcc, 0
	s_subb_u32 s11, s10, 0
	v_subrev_co_u32_e32 v20, vcc, s24, v19
	s_cmp_lg_u64 vcc, 0
	s_subb_u32 s20, s11, 0
	v_readfirstlane_b32 s21, v19
	s_cmp_gt_u32 s21, 0x7ffffffe
	s_cselect_b32 s22, -1, 0
	s_cmp_eq_u32 s11, 0
	s_cselect_b32 s22, s22, -1
	s_cmp_lg_u32 s22, 0
	s_cselect_b32 s11, s20, s11
	v_readfirstlane_b32 s20, v20
	v_readfirstlane_b32 s22, v18
	s_cselect_b32 s20, s20, s21
	s_cmp_gt_u32 s22, 0x7ffffffe
	s_cselect_b32 s21, -1, 0
	s_cmp_eq_u32 s10, 0
	s_cselect_b32 s21, s21, -1
	v_lshrrev_b64 v[16:17], 1, v[4:5]
	s_cmp_lg_u32 s21, 0
	v_cmp_gt_u64_e32 vcc, 2, v[4:5]
	s_cselect_b32 s21, s11, s10
	s_cselect_b32 s20, s20, s22
	s_or_b64 s[18:19], vcc, s[18:19]
	v_pk_mov_b32 v[4:5], v[16:17], v[16:17] op_sel:[0,1]
	s_andn2_b64 exec, exec, s[18:19]
	s_cbranch_execz .LBB29_778
.LBB29_747:                             ; =>This Inner Loop Header: Depth=1
	v_and_b32_e32 v16, 1, v4
	v_cmp_eq_u32_e32 vcc, 1, v16
	s_and_saveexec_b64 s[22:23], vcc
	s_cbranch_execz .LBB29_746
; %bb.748:                              ;   in Loop: Header=BB29_747 Depth=1
	v_mul_lo_u32 v16, s21, v6
	v_mul_lo_u32 v17, s20, v7
	v_mad_u64_u32 v[6:7], s[10:11], s20, v6, 0
	s_add_u32 s10, 0x402, s26
	v_add3_u32 v7, v7, v17, v16
	s_addc_u32 s11, 0, 0
	v_add_co_u32_e32 v16, vcc, s10, v15
	s_cmp_lg_u64 vcc, 0
	v_readfirstlane_b32 s27, v16
	s_addc_u32 s10, s11, 1
	s_mul_hi_u32 s28, s27, 0x80000001
	s_mul_i32 s11, s10, 0x80000001
	s_sub_i32 s28, s28, s27
	s_add_i32 s28, s28, s11
	s_mul_i32 vcc_lo, s27, 0x80000001
	s_mul_hi_u32 s11, s27, s28
	s_mul_i32 s29, s27, s28
	s_mul_hi_u32 s27, s27, vcc_lo
	s_add_u32 s27, s27, s29
	s_addc_u32 s11, 0, s11
	s_mul_hi_u32 vcc_hi, s10, vcc_lo
	s_mul_i32 vcc_lo, s10, vcc_lo
	s_add_u32 s27, s27, vcc_lo
	s_mul_hi_u32 s29, s10, s28
	s_addc_u32 s11, s11, vcc_hi
	s_addc_u32 s27, s29, 0
	s_mul_i32 s28, s10, s28
	s_add_u32 s11, s11, s28
	s_addc_u32 s27, 0, s27
	v_add_co_u32_e32 v18, vcc, s11, v16
	s_cmp_lg_u64 vcc, 0
	s_addc_u32 s27, s10, s27
	v_mad_u64_u32 v[16:17], s[10:11], v6, s27, 0
	v_mul_hi_u32 v19, v6, v18
	v_add_co_u32_e32 v20, vcc, v19, v16
	v_addc_co_u32_e32 v21, vcc, 0, v17, vcc
	v_mad_u64_u32 v[18:19], s[10:11], v7, v18, 0
	v_add_co_u32_e32 v18, vcc, v20, v18
	v_mad_u64_u32 v[16:17], s[10:11], v7, s27, 0
	v_addc_co_u32_e32 v18, vcc, v21, v19, vcc
	v_addc_co_u32_e32 v17, vcc, 0, v17, vcc
	v_add_co_u32_e32 v16, vcc, v18, v16
	v_addc_co_u32_e32 v19, vcc, 0, v17, vcc
	v_mad_u64_u32 v[16:17], s[10:11], v16, s24, 0
	v_mov_b32_e32 v18, v17
	v_mad_u64_u32 v[18:19], s[10:11], v19, s24, v[18:19]
	v_sub_co_u32_e32 v6, vcc, v6, v16
	v_subb_co_u32_e32 v7, vcc, v7, v18, vcc
	v_subrev_co_u32_e32 v16, vcc, s24, v6
	v_subbrev_co_u32_e32 v17, vcc, 0, v7, vcc
	v_subrev_co_u32_e32 v18, vcc, s24, v16
	v_subbrev_co_u32_e32 v19, vcc, 0, v17, vcc
	v_cmp_lt_u32_e32 vcc, s25, v16
	v_cndmask_b32_e64 v20, 0, -1, vcc
	v_cmp_eq_u32_e32 vcc, 0, v17
	v_cndmask_b32_e32 v20, -1, v20, vcc
	v_cmp_ne_u32_e32 vcc, 0, v20
	v_cmp_lt_u32_e64 s[10:11], s25, v6
	v_cndmask_b32_e32 v17, v17, v19, vcc
	v_cndmask_b32_e64 v19, 0, -1, s[10:11]
	v_cmp_eq_u32_e64 s[10:11], 0, v7
	v_cndmask_b32_e64 v19, -1, v19, s[10:11]
	v_cmp_ne_u32_e64 s[10:11], 0, v19
	v_cndmask_b32_e32 v16, v16, v18, vcc
	v_cndmask_b32_e64 v7, v7, v17, s[10:11]
	v_cndmask_b32_e64 v6, v6, v16, s[10:11]
	s_branch .LBB29_746
.LBB29_749:
	s_or_b64 exec, exec, s[22:23]
	s_movk_i32 s10, 0x401
	s_add_u32 s10, 0x402, s10
	v_mov_b32_e32 v5, 0xfffff800
	s_addc_u32 s11, 0, 0
	v_add_co_u32_e32 v5, vcc, s10, v5
	s_cmp_lg_u64 vcc, 0
	v_readfirstlane_b32 s22, v5
	s_addc_u32 s10, s11, 1
	s_mul_hi_u32 s23, s22, 0x80000001
	s_mul_i32 s11, s10, 0x80000001
	s_sub_i32 s23, s23, s22
	s_add_i32 s23, s23, s11
	s_mul_i32 s25, s22, 0x80000001
	s_mul_hi_u32 s11, s22, s23
	s_mul_i32 s24, s22, s23
	s_mul_hi_u32 s22, s22, s25
	s_add_u32 s22, s22, s24
	s_addc_u32 s11, 0, s11
	s_mul_hi_u32 s26, s10, s25
	s_mul_i32 s25, s10, s25
	s_add_u32 s22, s22, s25
	s_mul_hi_u32 s24, s10, s23
	s_addc_u32 s11, s11, s26
	s_addc_u32 s22, s24, 0
	s_mul_i32 s23, s10, s23
	s_add_u32 s11, s11, s23
	s_addc_u32 s22, 0, s22
	v_add_co_u32_e32 v5, vcc, s11, v5
	s_cmp_lg_u64 vcc, 0
	s_addc_u32 s22, s10, s22
	v_mad_u64_u32 v[10:11], s[10:11], v12, s22, 0
	v_mul_hi_u32 v17, v12, v5
	v_add_co_u32_e32 v17, vcc, v17, v10
	v_addc_co_u32_e32 v20, vcc, 0, v11, vcc
	v_mad_u64_u32 v[18:19], s[10:11], v13, v5, 0
	v_add_co_u32_e32 v5, vcc, v17, v18
	v_mad_u64_u32 v[10:11], s[10:11], v13, s22, 0
	v_addc_co_u32_e32 v5, vcc, v20, v19, vcc
	v_addc_co_u32_e32 v11, vcc, 0, v11, vcc
	v_add_co_u32_e32 v5, vcc, v5, v10
	s_brev_b32 s22, -2
	v_addc_co_u32_e32 v17, vcc, 0, v11, vcc
	v_mad_u64_u32 v[10:11], s[10:11], v5, s22, 0
	v_mov_b32_e32 v18, v11
	v_mad_u64_u32 v[18:19], s[10:11], v17, s22, v[18:19]
	v_sub_co_u32_e32 v5, vcc, v12, v10
	v_subb_co_u32_e32 v10, vcc, v13, v18, vcc
	v_subrev_co_u32_e32 v11, vcc, 0x7fffffff, v5
	v_subbrev_co_u32_e32 v12, vcc, 0, v10, vcc
	s_mov_b32 s10, 0x7ffffffe
	v_cmp_lt_u32_e32 vcc, s10, v11
	v_cndmask_b32_e64 v13, 0, -1, vcc
	v_cmp_eq_u32_e32 vcc, 0, v12
	v_cndmask_b32_e32 v12, -1, v13, vcc
	v_add_u32_e32 v13, 0x80000001, v11
	v_cmp_ne_u32_e32 vcc, 0, v12
	v_cndmask_b32_e32 v11, v11, v13, vcc
	v_cmp_lt_u32_e32 vcc, s10, v5
	v_cndmask_b32_e64 v12, 0, -1, vcc
	v_cmp_eq_u32_e32 vcc, 0, v10
	v_cndmask_b32_e32 v10, -1, v12, vcc
	v_cmp_ne_u32_e32 vcc, 0, v10
	v_cndmask_b32_e32 v11, v5, v11, vcc
.LBB29_750:
	s_or_b64 exec, exec, s[20:21]
	s_movk_i32 s20, 0x1388
	v_mov_b32_e32 v10, 0
	s_mov_b32 s21, 0xbc8f1391
	s_mov_b32 s22, 0xbc8f
	s_brev_b32 s23, 12
	s_mov_b32 s24, 0xf800000
	v_mov_b32_e32 v5, 0x260
.LBB29_751:                             ; =>This Inner Loop Header: Depth=1
	v_mul_hi_u32 v12, v11, s21
	v_lshrrev_b32_e32 v12, 15, v12
	v_mul_u32_u24_e32 v17, 0xadc8, v12
	v_sub_u32_e32 v11, v11, v17
	v_mul_u32_u24_e32 v12, 0xd47, v12
	v_mul_lo_u32 v11, v11, s22
	v_xor_b32_e32 v17, 0x7fffffff, v12
	v_sub_u32_e32 v18, 0, v12
	v_cmp_lt_u32_e32 vcc, v11, v12
	v_cndmask_b32_e32 v12, v18, v17, vcc
	v_add_u32_e32 v11, v12, v11
	v_mul_hi_u32 v17, v11, s21
	v_lshrrev_b32_e32 v17, 15, v17
	v_mul_u32_u24_e32 v18, 0xadc8, v17
	v_add_u32_e32 v12, -1, v11
	v_sub_u32_e32 v11, v11, v18
	v_mul_u32_u24_e32 v17, 0xd47, v17
	v_mul_lo_u32 v11, v11, s22
	v_xor_b32_e32 v18, 0x7fffffff, v17
	v_sub_u32_e32 v19, 0, v17
	v_cmp_lt_u32_e32 vcc, v11, v17
	v_cndmask_b32_e32 v17, v19, v18, vcc
	v_add_u32_e32 v11, v17, v11
	v_mul_hi_u32 v18, v11, s21
	v_add_u32_e32 v17, -1, v11
	v_lshrrev_b32_e32 v18, 15, v18
	v_cvt_f32_u32_e32 v17, v17
	v_mul_u32_u24_e32 v19, 0xadc8, v18
	v_cvt_f32_u32_e32 v12, v12
	v_sub_u32_e32 v11, v11, v19
	v_mul_u32_u24_e32 v18, 0xd47, v18
	v_mul_lo_u32 v11, v11, s22
	v_xor_b32_e32 v19, 0x7fffffff, v18
	v_sub_u32_e32 v20, 0, v18
	v_cmp_lt_u32_e32 vcc, v11, v18
	v_fma_f32 v17, v17, s23, 0
	v_cndmask_b32_e32 v18, v20, v19, vcc
	v_fma_f32 v12, v12, s23, 0
	v_mul_f32_e32 v17, v17, v17
	v_add_u32_e32 v11, v18, v11
	v_fmac_f32_e32 v17, v12, v12
	v_mul_hi_u32 v18, v11, s21
	v_mul_f32_e32 v19, 0x4f800000, v17
	v_lshrrev_b32_e32 v18, 15, v18
	v_cmp_gt_f32_e32 vcc, s24, v17
	v_cndmask_b32_e32 v17, v17, v19, vcc
	v_mul_u32_u24_e32 v19, 0xadc8, v18
	v_add_u32_e32 v12, -1, v11
	v_sqrt_f32_e32 v20, v17
	v_sub_u32_e32 v11, v11, v19
	v_mul_u32_u24_e32 v18, 0xd47, v18
	v_mul_lo_u32 v11, v11, s22
	v_xor_b32_e32 v19, 0x7fffffff, v18
	v_sub_u32_e32 v21, 0, v18
	v_cmp_lt_u32_e64 s[10:11], v11, v18
	v_cndmask_b32_e64 v18, v21, v19, s[10:11]
	v_add_u32_e32 v11, v18, v11
	v_add_u32_e32 v18, -1, v20
	v_add_u32_e32 v19, 1, v20
	v_add_u32_e32 v21, -1, v11
	v_fma_f32 v22, -v18, v20, v17
	v_fma_f32 v23, -v19, v20, v17
	v_cvt_f32_u32_e32 v21, v21
	v_cmp_ge_f32_e64 s[10:11], 0, v22
	v_cvt_f32_u32_e32 v12, v12
	v_cndmask_b32_e64 v18, v20, v18, s[10:11]
	v_cmp_lt_f32_e64 s[10:11], 0, v23
	v_cndmask_b32_e64 v18, v18, v19, s[10:11]
	v_mul_f32_e32 v19, 0x37800000, v18
	v_cndmask_b32_e32 v18, v18, v19, vcc
	v_fma_f32 v19, v21, s23, 0
	v_cmp_class_f32_e32 vcc, v17, v5
	v_fma_f32 v12, v12, s23, 0
	v_cndmask_b32_e32 v17, v18, v17, vcc
	v_mul_f32_e32 v18, v19, v19
	v_add_f32_e32 v13, 1.0, v10
	v_cmp_nge_f32_e32 vcc, 1.0, v17
	v_fmac_f32_e32 v18, v12, v12
	v_cndmask_b32_e32 v10, v13, v10, vcc
	v_mul_f32_e32 v12, 0x4f800000, v18
	v_cmp_gt_f32_e32 vcc, s24, v18
	v_cndmask_b32_e32 v12, v18, v12, vcc
	v_sqrt_f32_e32 v17, v12
	s_add_i32 s20, s20, -2
	v_add_f32_e32 v13, 1.0, v10
	s_cmp_lg_u32 s20, 0
	v_add_u32_e32 v18, -1, v17
	v_add_u32_e32 v19, 1, v17
	v_fma_f32 v20, -v18, v17, v12
	v_fma_f32 v21, -v19, v17, v12
	v_cmp_ge_f32_e64 s[10:11], 0, v20
	v_cndmask_b32_e64 v17, v17, v18, s[10:11]
	v_cmp_lt_f32_e64 s[10:11], 0, v21
	v_cndmask_b32_e64 v17, v17, v19, s[10:11]
	v_mul_f32_e32 v18, 0x37800000, v17
	v_cndmask_b32_e32 v17, v17, v18, vcc
	v_cmp_class_f32_e32 vcc, v12, v5
	v_cndmask_b32_e32 v12, v17, v12, vcc
	v_cmp_nge_f32_e32 vcc, 1.0, v12
	v_cndmask_b32_e32 v10, v13, v10, vcc
	s_cbranch_scc1 .LBB29_751
; %bb.752:
	v_mul_f32_e32 v5, 4.0, v10
	s_mov_b32 s20, 0x459c4000
	v_div_scale_f32 v10, s[10:11], s20, s20, v5
	v_rcp_f32_e32 v11, v10
	v_fma_f32 v12, -v10, v11, 1.0
	v_fmac_f32_e32 v11, v12, v11
	v_div_scale_f32 v12, vcc, v5, s20, v5
	v_mul_f32_e32 v13, v12, v11
	v_fma_f32 v17, -v10, v13, v12
	v_fmac_f32_e32 v13, v17, v11
	v_fma_f32 v10, -v10, v13, v12
	v_div_fmas_f32 v10, v10, v11, v13
	v_div_fixup_f32 v5, v10, s20, v5
.LBB29_753:
	s_or_b64 exec, exec, s[18:19]
	v_add_f32_e32 v3, v2, v3
	v_cndmask_b32_e64 v2, v2, v3, s[4:5]
	v_add_f32_e32 v3, v4, v2
	v_cndmask_b32_e64 v2, v2, v3, s[6:7]
	;; [unrolled: 2-line block ×3, first 2 shown]
	v_mbcnt_lo_u32_b32 v2, -1, 0
	v_mbcnt_hi_u32_b32 v2, -1, v2
	v_and_b32_e32 v5, 63, v2
	v_cmp_ne_u32_e32 vcc, 63, v5
	v_addc_co_u32_e32 v3, vcc, 0, v2, vcc
	v_lshlrev_b32_e32 v3, 2, v3
	ds_bpermute_b32 v10, v3, v4
	v_min_u32_e32 v3, 0x80, v16
	v_and_b32_e32 v11, 0x3c0, v15
	v_sub_u32_e64 v11, v3, v11 clamp
	v_add_u32_e32 v12, 1, v5
	v_cmp_gt_u32_e64 s[4:5], 62, v5
	v_cmp_lt_u32_e32 vcc, v12, v11
	v_cndmask_b32_e64 v12, 0, 1, s[4:5]
	s_waitcnt lgkmcnt(0)
	v_add_f32_e32 v10, v4, v10
	v_lshlrev_b32_e32 v12, 1, v12
	v_cndmask_b32_e32 v10, v4, v10, vcc
	v_add_lshl_u32 v12, v12, v2, 2
	ds_bpermute_b32 v12, v12, v10
	v_add_u32_e32 v13, 2, v5
	v_cmp_lt_u32_e64 s[4:5], v13, v11
	v_add_u32_e32 v13, 4, v5
	s_waitcnt lgkmcnt(0)
	v_add_f32_e32 v12, v10, v12
	v_cndmask_b32_e64 v10, v10, v12, s[4:5]
	v_cmp_gt_u32_e64 s[4:5], 60, v5
	v_cndmask_b32_e64 v12, 0, 1, s[4:5]
	v_lshlrev_b32_e32 v12, 2, v12
	v_add_lshl_u32 v12, v12, v2, 2
	ds_bpermute_b32 v12, v12, v10
	v_cmp_lt_u32_e64 s[4:5], v13, v11
	v_add_u32_e32 v13, 8, v5
	s_waitcnt lgkmcnt(0)
	v_add_f32_e32 v12, v10, v12
	v_cndmask_b32_e64 v10, v10, v12, s[4:5]
	v_cmp_gt_u32_e64 s[4:5], 56, v5
	v_cndmask_b32_e64 v12, 0, 1, s[4:5]
	v_lshlrev_b32_e32 v12, 3, v12
	v_add_lshl_u32 v12, v12, v2, 2
	ds_bpermute_b32 v12, v12, v10
	;; [unrolled: 10-line block ×3, first 2 shown]
	v_cmp_lt_u32_e64 s[4:5], v13, v11
	s_waitcnt lgkmcnt(0)
	v_add_f32_e32 v12, v10, v12
	v_cndmask_b32_e64 v10, v10, v12, s[4:5]
	v_cmp_gt_u32_e64 s[4:5], 32, v5
	v_cndmask_b32_e64 v12, 0, 1, s[4:5]
	v_lshlrev_b32_e32 v12, 5, v12
	v_add_lshl_u32 v12, v12, v2, 2
	ds_bpermute_b32 v12, v12, v10
	v_add_u32_e32 v5, 32, v5
	v_cmp_lt_u32_e64 s[4:5], v5, v11
	s_waitcnt lgkmcnt(0)
	v_add_f32_e32 v12, v10, v12
	v_cndmask_b32_e64 v5, v10, v12, s[4:5]
	v_cndmask_b32_e32 v4, v4, v5, vcc
	v_cmp_eq_u32_e32 vcc, 0, v2
	s_and_saveexec_b64 s[4:5], vcc
	s_cbranch_execz .LBB29_755
; %bb.754:
	v_lshrrev_b32_e32 v5, 4, v15
	v_and_b32_e32 v5, 60, v5
	ds_write_b32 v5, v4 offset:48
.LBB29_755:
	s_or_b64 exec, exec, s[4:5]
	v_cmp_gt_u32_e32 vcc, 2, v15
	s_waitcnt lgkmcnt(0)
	s_barrier
	s_and_saveexec_b64 s[4:5], vcc
	s_cbranch_execz .LBB29_757
; %bb.756:
	v_lshlrev_b32_e32 v4, 2, v2
	ds_read_b32 v5, v4 offset:48
	v_or_b32_e32 v4, 4, v4
	v_add_u32_e32 v3, 63, v3
	v_and_b32_e32 v2, 1, v2
	v_lshrrev_b32_e32 v3, 6, v3
	s_waitcnt lgkmcnt(0)
	ds_bpermute_b32 v4, v4, v5
	v_add_u32_e32 v2, 1, v2
	v_cmp_lt_u32_e32 vcc, v2, v3
	s_waitcnt lgkmcnt(0)
	v_add_f32_e32 v4, v5, v4
	v_cndmask_b32_e32 v4, v5, v4, vcc
.LBB29_757:
	s_or_b64 exec, exec, s[4:5]
	s_or_b64 exec, exec, s[16:17]
	v_cmp_eq_u32_e32 vcc, 0, v15
	s_and_b64 exec, exec, vcc
	s_cbranch_execz .LBB29_1227
; %bb.1237:
	s_getpc_b64 s[92:93]
.Lpost_getpc6:
	s_add_u32 s92, s92, (.LBB29_14-.Lpost_getpc6)&4294967295
	s_addc_u32 s93, s93, (.LBB29_14-.Lpost_getpc6)>>32
	s_setpc_b64 s[92:93]
.LBB29_1227:
	s_getpc_b64 s[92:93]
.Lpost_getpc1:
	s_add_u32 s92, s92, (.LBB29_15-.Lpost_getpc1)&4294967295
	s_addc_u32 s93, s93, (.LBB29_15-.Lpost_getpc1)>>32
	s_setpc_b64 s[92:93]
.LBB29_758:
	s_or_b64 exec, exec, s[18:19]
	s_movk_i32 s10, 0x401
	s_add_u32 s10, 0x402, s10
	v_mov_b32_e32 v5, 0xfffff800
	s_addc_u32 s11, 0, 0
	v_add_co_u32_e32 v5, vcc, s10, v5
	s_cmp_lg_u64 vcc, 0
	v_readfirstlane_b32 s18, v5
	s_addc_u32 s10, s11, 1
	s_mul_hi_u32 s19, s18, 0x80000001
	s_mul_i32 s11, s10, 0x80000001
	s_sub_i32 s19, s19, s18
	s_add_i32 s19, s19, s11
	s_mul_i32 s21, s18, 0x80000001
	s_mul_hi_u32 s11, s18, s19
	s_mul_i32 s20, s18, s19
	s_mul_hi_u32 s18, s18, s21
	s_add_u32 s18, s18, s20
	s_addc_u32 s11, 0, s11
	s_mul_hi_u32 s26, s10, s21
	s_mul_i32 s21, s10, s21
	s_add_u32 s18, s18, s21
	s_mul_hi_u32 s20, s10, s19
	s_addc_u32 s11, s11, s26
	s_addc_u32 s18, s20, 0
	s_mul_i32 s19, s10, s19
	s_add_u32 s11, s11, s19
	s_addc_u32 s18, 0, s18
	v_add_co_u32_e32 v5, vcc, s11, v5
	s_cmp_lg_u64 vcc, 0
	s_addc_u32 s18, s10, s18
	v_mad_u64_u32 v[14:15], s[10:11], v16, s18, 0
	v_mul_hi_u32 v22, v16, v5
	v_add_co_u32_e32 v24, vcc, v22, v14
	v_addc_co_u32_e32 v25, vcc, 0, v15, vcc
	v_mad_u64_u32 v[22:23], s[10:11], v17, v5, 0
	v_add_co_u32_e32 v5, vcc, v24, v22
	v_mad_u64_u32 v[14:15], s[10:11], v17, s18, 0
	v_addc_co_u32_e32 v5, vcc, v25, v23, vcc
	v_addc_co_u32_e32 v15, vcc, 0, v15, vcc
	v_add_co_u32_e32 v5, vcc, v5, v14
	s_brev_b32 s18, -2
	v_addc_co_u32_e32 v23, vcc, 0, v15, vcc
	v_mad_u64_u32 v[14:15], s[10:11], v5, s18, 0
	v_mov_b32_e32 v22, v15
	v_mad_u64_u32 v[22:23], s[10:11], v23, s18, v[22:23]
	v_sub_co_u32_e32 v5, vcc, v16, v14
	v_subb_co_u32_e32 v14, vcc, v17, v22, vcc
	v_subrev_co_u32_e32 v15, vcc, 0x7fffffff, v5
	v_subbrev_co_u32_e32 v16, vcc, 0, v14, vcc
	s_mov_b32 s10, 0x7ffffffe
	v_cmp_lt_u32_e32 vcc, s10, v15
	v_cndmask_b32_e64 v17, 0, -1, vcc
	v_cmp_eq_u32_e32 vcc, 0, v16
	v_cndmask_b32_e32 v16, -1, v17, vcc
	v_add_u32_e32 v17, 0x80000001, v15
	v_cmp_ne_u32_e32 vcc, 0, v16
	v_cndmask_b32_e32 v15, v15, v17, vcc
	v_cmp_lt_u32_e32 vcc, s10, v5
	v_cndmask_b32_e64 v16, 0, -1, vcc
	v_cmp_eq_u32_e32 vcc, 0, v14
	v_cndmask_b32_e32 v14, -1, v16, vcc
	v_cmp_ne_u32_e32 vcc, 0, v14
	v_cndmask_b32_e32 v15, v5, v15, vcc
.LBB29_759:
	s_or_b64 exec, exec, s[16:17]
	s_movk_i32 s16, 0x1388
	v_mov_b32_e32 v14, 0
	s_mov_b32 s17, 0xbc8f1391
	s_mov_b32 s18, 0xbc8f
	s_brev_b32 s19, 12
	s_mov_b32 s20, 0xf800000
	v_mov_b32_e32 v5, 0x260
.LBB29_760:                             ; =>This Inner Loop Header: Depth=1
	v_mul_hi_u32 v16, v15, s17
	v_lshrrev_b32_e32 v16, 15, v16
	v_mul_u32_u24_e32 v22, 0xadc8, v16
	v_sub_u32_e32 v15, v15, v22
	v_mul_u32_u24_e32 v16, 0xd47, v16
	v_mul_lo_u32 v15, v15, s18
	v_xor_b32_e32 v22, 0x7fffffff, v16
	v_sub_u32_e32 v23, 0, v16
	v_cmp_lt_u32_e32 vcc, v15, v16
	v_cndmask_b32_e32 v16, v23, v22, vcc
	v_add_u32_e32 v15, v16, v15
	v_mul_hi_u32 v22, v15, s17
	v_lshrrev_b32_e32 v22, 15, v22
	v_mul_u32_u24_e32 v23, 0xadc8, v22
	v_add_u32_e32 v16, -1, v15
	v_sub_u32_e32 v15, v15, v23
	v_mul_u32_u24_e32 v22, 0xd47, v22
	v_mul_lo_u32 v15, v15, s18
	v_xor_b32_e32 v23, 0x7fffffff, v22
	v_sub_u32_e32 v24, 0, v22
	v_cmp_lt_u32_e32 vcc, v15, v22
	v_cndmask_b32_e32 v22, v24, v23, vcc
	v_add_u32_e32 v15, v22, v15
	v_mul_hi_u32 v23, v15, s17
	v_add_u32_e32 v22, -1, v15
	v_lshrrev_b32_e32 v23, 15, v23
	v_cvt_f32_u32_e32 v22, v22
	v_mul_u32_u24_e32 v24, 0xadc8, v23
	v_cvt_f32_u32_e32 v16, v16
	v_sub_u32_e32 v15, v15, v24
	v_mul_u32_u24_e32 v23, 0xd47, v23
	v_mul_lo_u32 v15, v15, s18
	v_xor_b32_e32 v24, 0x7fffffff, v23
	v_sub_u32_e32 v25, 0, v23
	v_cmp_lt_u32_e32 vcc, v15, v23
	v_fma_f32 v22, v22, s19, 0
	v_cndmask_b32_e32 v23, v25, v24, vcc
	v_fma_f32 v16, v16, s19, 0
	v_mul_f32_e32 v22, v22, v22
	v_add_u32_e32 v15, v23, v15
	v_fmac_f32_e32 v22, v16, v16
	v_mul_hi_u32 v23, v15, s17
	v_mul_f32_e32 v24, 0x4f800000, v22
	v_lshrrev_b32_e32 v23, 15, v23
	v_cmp_gt_f32_e32 vcc, s20, v22
	v_cndmask_b32_e32 v22, v22, v24, vcc
	v_mul_u32_u24_e32 v24, 0xadc8, v23
	v_add_u32_e32 v16, -1, v15
	v_sqrt_f32_e32 v25, v22
	v_sub_u32_e32 v15, v15, v24
	v_mul_u32_u24_e32 v23, 0xd47, v23
	v_mul_lo_u32 v15, v15, s18
	v_xor_b32_e32 v24, 0x7fffffff, v23
	v_sub_u32_e32 v26, 0, v23
	v_cmp_lt_u32_e64 s[10:11], v15, v23
	v_cndmask_b32_e64 v23, v26, v24, s[10:11]
	v_add_u32_e32 v15, v23, v15
	v_add_u32_e32 v23, -1, v25
	v_add_u32_e32 v24, 1, v25
	v_add_u32_e32 v26, -1, v15
	v_fma_f32 v27, -v23, v25, v22
	v_fma_f32 v28, -v24, v25, v22
	v_cvt_f32_u32_e32 v26, v26
	v_cmp_ge_f32_e64 s[10:11], 0, v27
	v_cvt_f32_u32_e32 v16, v16
	v_cndmask_b32_e64 v23, v25, v23, s[10:11]
	v_cmp_lt_f32_e64 s[10:11], 0, v28
	v_cndmask_b32_e64 v23, v23, v24, s[10:11]
	v_mul_f32_e32 v24, 0x37800000, v23
	v_cndmask_b32_e32 v23, v23, v24, vcc
	v_fma_f32 v24, v26, s19, 0
	v_cmp_class_f32_e32 vcc, v22, v5
	v_fma_f32 v16, v16, s19, 0
	v_cndmask_b32_e32 v22, v23, v22, vcc
	v_mul_f32_e32 v23, v24, v24
	v_add_f32_e32 v17, 1.0, v14
	v_cmp_nge_f32_e32 vcc, 1.0, v22
	v_fmac_f32_e32 v23, v16, v16
	v_cndmask_b32_e32 v14, v17, v14, vcc
	v_mul_f32_e32 v16, 0x4f800000, v23
	v_cmp_gt_f32_e32 vcc, s20, v23
	v_cndmask_b32_e32 v16, v23, v16, vcc
	v_sqrt_f32_e32 v22, v16
	s_add_i32 s16, s16, -2
	v_add_f32_e32 v17, 1.0, v14
	s_cmp_lg_u32 s16, 0
	v_add_u32_e32 v23, -1, v22
	v_add_u32_e32 v24, 1, v22
	v_fma_f32 v25, -v23, v22, v16
	v_fma_f32 v26, -v24, v22, v16
	v_cmp_ge_f32_e64 s[10:11], 0, v25
	v_cndmask_b32_e64 v22, v22, v23, s[10:11]
	v_cmp_lt_f32_e64 s[10:11], 0, v26
	v_cndmask_b32_e64 v22, v22, v24, s[10:11]
	v_mul_f32_e32 v23, 0x37800000, v22
	v_cndmask_b32_e32 v22, v22, v23, vcc
	v_cmp_class_f32_e32 vcc, v16, v5
	v_cndmask_b32_e32 v16, v22, v16, vcc
	v_cmp_nge_f32_e32 vcc, 1.0, v16
	v_cndmask_b32_e32 v14, v17, v14, vcc
	s_cbranch_scc1 .LBB29_760
; %bb.761:
	v_mul_f32_e32 v5, 4.0, v14
	s_mov_b32 s16, 0x459c4000
	v_div_scale_f32 v14, s[10:11], s16, s16, v5
	v_rcp_f32_e32 v15, v14
	v_fma_f32 v16, -v14, v15, 1.0
	v_fmac_f32_e32 v15, v16, v15
	v_div_scale_f32 v16, vcc, v5, s16, v5
	v_mul_f32_e32 v17, v16, v15
	v_fma_f32 v22, -v14, v17, v16
	v_fmac_f32_e32 v17, v22, v15
	v_fma_f32 v14, -v14, v17, v16
	v_div_fmas_f32 v14, v14, v15, v17
	v_div_fixup_f32 v5, v14, s16, v5
.LBB29_762:
	s_or_b64 exec, exec, s[14:15]
	v_add_u32_e32 v14, 0x200, v19
	v_cmp_lt_u32_e64 s[10:11], v14, v20
	s_and_saveexec_b64 s[16:17], s[10:11]
	s_cbranch_execz .LBB29_792
; %bb.763:
	v_add_u32_e32 v6, v21, v14
	s_movk_i32 s14, 0x1388
	v_mul_lo_u32 v14, v6, s14
	v_cmp_ne_u32_e32 vcc, 0, v14
	v_mov_b32_e32 v15, 1
	s_and_saveexec_b64 s[18:19], vcc
	s_cbranch_execz .LBB29_789
; %bb.764:
	v_mov_b32_e32 v16, 1
	v_mov_b32_e32 v15, 0
	s_mov_b64 s[26:27], 0xbc8f
	s_mov_b64 s[20:21], 0
	v_mov_b32_e32 v17, 0
	s_brev_b32 s30, -2
	s_mov_b32 s31, 0x7ffffffe
	v_mov_b32_e32 v6, 0xfffff800
	s_movk_i32 s34, 0x401
	s_branch .LBB29_766
.LBB29_765:                             ;   in Loop: Header=BB29_766 Depth=1
	s_or_b64 exec, exec, s[28:29]
	s_mul_i32 s14, s26, s27
	s_mul_hi_u32 s15, s26, s26
	s_add_i32 s15, s15, s14
	s_add_i32 s14, s15, s14
	s_mul_i32 s15, s26, s26
	s_add_u32 s26, 0x402, s34
	s_addc_u32 s27, 0, 0
	v_add_co_u32_e32 v24, vcc, s26, v6
	s_cmp_lg_u64 vcc, 0
	v_readfirstlane_b32 s28, v24
	s_addc_u32 s26, s27, 1
	s_mul_hi_u32 s29, s28, 0x80000001
	s_mul_i32 s27, s26, 0x80000001
	s_sub_i32 s29, s29, s28
	s_add_i32 s29, s29, s27
	s_mul_i32 vcc_hi, s28, 0x80000001
	s_mul_hi_u32 s27, s28, s29
	s_mul_i32 vcc_lo, s28, s29
	s_mul_hi_u32 s28, s28, vcc_hi
	s_add_u32 s28, s28, vcc_lo
	s_addc_u32 s27, 0, s27
	s_mul_hi_u32 s35, s26, vcc_hi
	s_mul_i32 vcc_hi, s26, vcc_hi
	s_add_u32 s28, s28, vcc_hi
	s_mul_hi_u32 vcc_lo, s26, s29
	s_addc_u32 s27, s27, s35
	s_addc_u32 s28, vcc_lo, 0
	s_mul_i32 s29, s26, s29
	s_add_u32 s27, s27, s29
	s_addc_u32 s28, 0, s28
	v_add_co_u32_e32 v24, vcc, s27, v24
	s_cmp_lg_u64 vcc, 0
	s_addc_u32 s26, s26, s28
	v_readfirstlane_b32 s29, v24
	s_mul_i32 s28, s15, s26
	s_mul_hi_u32 vcc_lo, s15, s29
	s_mul_hi_u32 s27, s15, s26
	s_add_u32 s28, vcc_lo, s28
	s_addc_u32 s27, 0, s27
	s_mul_hi_u32 vcc_hi, s14, s29
	s_mul_i32 s29, s14, s29
	s_add_u32 s28, s28, s29
	s_mul_hi_u32 vcc_lo, s14, s26
	s_addc_u32 s27, s27, vcc_hi
	s_addc_u32 s28, vcc_lo, 0
	s_mul_i32 s26, s14, s26
	s_add_u32 s26, s27, s26
	s_addc_u32 s27, 0, s28
	s_mul_hi_u32 s28, s26, 0x7fffffff
	s_mul_i32 s26, s26, 0x7fffffff
	s_mul_i32 s27, s27, 0x7fffffff
	v_mov_b32_e32 v24, s26
	s_add_i32 s28, s28, s27
	v_sub_co_u32_e32 v24, vcc, s15, v24
	s_cmp_lg_u64 vcc, 0
	s_subb_u32 s14, s14, s28
	v_subrev_co_u32_e32 v25, vcc, s30, v24
	s_cmp_lg_u64 vcc, 0
	s_subb_u32 s15, s14, 0
	v_subrev_co_u32_e32 v26, vcc, s30, v25
	s_cmp_lg_u64 vcc, 0
	s_subb_u32 s26, s15, 0
	v_readfirstlane_b32 s27, v25
	s_cmp_gt_u32 s27, 0x7ffffffe
	s_cselect_b32 s28, -1, 0
	s_cmp_eq_u32 s15, 0
	s_cselect_b32 s28, s28, -1
	s_cmp_lg_u32 s28, 0
	s_cselect_b32 s15, s26, s15
	v_readfirstlane_b32 s26, v26
	v_readfirstlane_b32 s28, v24
	s_cselect_b32 s26, s26, s27
	s_cmp_gt_u32 s28, 0x7ffffffe
	s_cselect_b32 s27, -1, 0
	s_cmp_eq_u32 s14, 0
	s_cselect_b32 s27, s27, -1
	v_lshrrev_b64 v[22:23], 1, v[14:15]
	s_cmp_lg_u32 s27, 0
	v_cmp_gt_u64_e32 vcc, 2, v[14:15]
	s_cselect_b32 s27, s15, s14
	s_cselect_b32 s26, s26, s28
	s_or_b64 s[20:21], vcc, s[20:21]
	v_pk_mov_b32 v[14:15], v[22:23], v[22:23] op_sel:[0,1]
	s_andn2_b64 exec, exec, s[20:21]
	s_cbranch_execz .LBB29_788
.LBB29_766:                             ; =>This Inner Loop Header: Depth=1
	v_and_b32_e32 v22, 1, v14
	v_cmp_eq_u32_e32 vcc, 1, v22
	s_and_saveexec_b64 s[28:29], vcc
	s_cbranch_execz .LBB29_765
; %bb.767:                              ;   in Loop: Header=BB29_766 Depth=1
	v_mul_lo_u32 v22, s27, v16
	v_mul_lo_u32 v23, s26, v17
	v_mad_u64_u32 v[16:17], s[14:15], s26, v16, 0
	s_add_u32 s14, 0x402, s34
	v_add3_u32 v17, v17, v23, v22
	s_addc_u32 s15, 0, 0
	v_add_co_u32_e32 v22, vcc, s14, v6
	s_cmp_lg_u64 vcc, 0
	v_readfirstlane_b32 vcc_lo, v22
	s_addc_u32 s14, s15, 1
	s_mul_hi_u32 vcc_hi, vcc_lo, 0x80000001
	s_mul_i32 s15, s14, 0x80000001
	s_sub_i32 vcc_hi, vcc_hi, vcc_lo
	s_add_i32 vcc_hi, vcc_hi, s15
	s_mul_i32 s36, vcc_lo, 0x80000001
	s_mul_hi_u32 s15, vcc_lo, vcc_hi
	s_mul_i32 s35, vcc_lo, vcc_hi
	s_mul_hi_u32 vcc_lo, vcc_lo, s36
	s_add_u32 vcc_lo, vcc_lo, s35
	s_addc_u32 s15, 0, s15
	s_mul_hi_u32 s37, s14, s36
	s_mul_i32 s36, s14, s36
	s_add_u32 vcc_lo, vcc_lo, s36
	s_mul_hi_u32 s35, s14, vcc_hi
	s_addc_u32 s15, s15, s37
	s_addc_u32 vcc_lo, s35, 0
	s_mul_i32 vcc_hi, s14, vcc_hi
	s_add_u32 s15, s15, vcc_hi
	s_addc_u32 s35, 0, vcc_lo
	v_add_co_u32_e32 v24, vcc, s15, v22
	s_cmp_lg_u64 vcc, 0
	s_addc_u32 s35, s14, s35
	v_mad_u64_u32 v[22:23], s[14:15], v16, s35, 0
	v_mul_hi_u32 v25, v16, v24
	v_add_co_u32_e32 v26, vcc, v25, v22
	v_addc_co_u32_e32 v27, vcc, 0, v23, vcc
	v_mad_u64_u32 v[24:25], s[14:15], v17, v24, 0
	v_add_co_u32_e32 v24, vcc, v26, v24
	v_mad_u64_u32 v[22:23], s[14:15], v17, s35, 0
	v_addc_co_u32_e32 v24, vcc, v27, v25, vcc
	v_addc_co_u32_e32 v23, vcc, 0, v23, vcc
	v_add_co_u32_e32 v22, vcc, v24, v22
	v_addc_co_u32_e32 v25, vcc, 0, v23, vcc
	v_mad_u64_u32 v[22:23], s[14:15], v22, s30, 0
	v_mov_b32_e32 v24, v23
	v_mad_u64_u32 v[24:25], s[14:15], v25, s30, v[24:25]
	v_sub_co_u32_e32 v16, vcc, v16, v22
	v_subb_co_u32_e32 v17, vcc, v17, v24, vcc
	v_subrev_co_u32_e32 v22, vcc, s30, v16
	v_subbrev_co_u32_e32 v23, vcc, 0, v17, vcc
	v_subrev_co_u32_e32 v24, vcc, s30, v22
	v_subbrev_co_u32_e32 v25, vcc, 0, v23, vcc
	v_cmp_lt_u32_e32 vcc, s31, v22
	v_cndmask_b32_e64 v26, 0, -1, vcc
	v_cmp_eq_u32_e32 vcc, 0, v23
	v_cndmask_b32_e32 v26, -1, v26, vcc
	v_cmp_ne_u32_e32 vcc, 0, v26
	v_cmp_lt_u32_e64 s[14:15], s31, v16
	v_cndmask_b32_e32 v23, v23, v25, vcc
	v_cndmask_b32_e64 v25, 0, -1, s[14:15]
	v_cmp_eq_u32_e64 s[14:15], 0, v17
	v_cndmask_b32_e64 v25, -1, v25, s[14:15]
	v_cmp_ne_u32_e64 s[14:15], 0, v25
	v_cndmask_b32_e32 v22, v22, v24, vcc
	v_cndmask_b32_e64 v17, v17, v23, s[14:15]
	v_cndmask_b32_e64 v16, v16, v22, s[14:15]
	s_branch .LBB29_765
.LBB29_768:
	s_or_b64 exec, exec, s[18:19]
	s_movk_i32 s10, 0x401
	s_add_u32 s10, 0x402, s10
	v_mov_b32_e32 v5, 0xfffff800
	s_addc_u32 s11, 0, 0
	v_add_co_u32_e32 v5, vcc, s10, v5
	s_cmp_lg_u64 vcc, 0
	v_readfirstlane_b32 s18, v5
	s_addc_u32 s10, s11, 1
	s_mul_hi_u32 s19, s18, 0x80000001
	s_mul_i32 s11, s10, 0x80000001
	s_sub_i32 s19, s19, s18
	s_add_i32 s19, s19, s11
	s_mul_i32 s21, s18, 0x80000001
	s_mul_hi_u32 s11, s18, s19
	s_mul_i32 s20, s18, s19
	s_mul_hi_u32 s18, s18, s21
	s_add_u32 s18, s18, s20
	s_addc_u32 s11, 0, s11
	s_mul_hi_u32 s22, s10, s21
	s_mul_i32 s21, s10, s21
	s_add_u32 s18, s18, s21
	s_mul_hi_u32 s20, s10, s19
	s_addc_u32 s11, s11, s22
	s_addc_u32 s18, s20, 0
	s_mul_i32 s19, s10, s19
	s_add_u32 s11, s11, s19
	s_addc_u32 s18, 0, s18
	v_add_co_u32_e32 v5, vcc, s11, v5
	s_cmp_lg_u64 vcc, 0
	s_addc_u32 s18, s10, s18
	v_mad_u64_u32 v[22:23], s[10:11], v24, s18, 0
	v_mul_hi_u32 v30, v24, v5
	v_add_co_u32_e32 v30, vcc, v30, v22
	v_addc_co_u32_e32 v34, vcc, 0, v23, vcc
	v_mad_u64_u32 v[32:33], s[10:11], v25, v5, 0
	v_add_co_u32_e32 v5, vcc, v30, v32
	v_mad_u64_u32 v[22:23], s[10:11], v25, s18, 0
	v_addc_co_u32_e32 v5, vcc, v34, v33, vcc
	v_addc_co_u32_e32 v23, vcc, 0, v23, vcc
	v_add_co_u32_e32 v5, vcc, v5, v22
	s_brev_b32 s18, -2
	v_addc_co_u32_e32 v32, vcc, 0, v23, vcc
	v_mad_u64_u32 v[22:23], s[10:11], v5, s18, 0
	v_mov_b32_e32 v30, v23
	v_mad_u64_u32 v[32:33], s[10:11], v32, s18, v[30:31]
	v_sub_co_u32_e32 v5, vcc, v24, v22
	v_subb_co_u32_e32 v22, vcc, v25, v32, vcc
	v_subrev_co_u32_e32 v23, vcc, 0x7fffffff, v5
	v_subbrev_co_u32_e32 v24, vcc, 0, v22, vcc
	s_mov_b32 s10, 0x7ffffffe
	v_cmp_lt_u32_e32 vcc, s10, v23
	v_cndmask_b32_e64 v25, 0, -1, vcc
	v_cmp_eq_u32_e32 vcc, 0, v24
	v_cndmask_b32_e32 v24, -1, v25, vcc
	v_add_u32_e32 v25, 0x80000001, v23
	v_cmp_ne_u32_e32 vcc, 0, v24
	v_cndmask_b32_e32 v23, v23, v25, vcc
	v_cmp_lt_u32_e32 vcc, s10, v5
	v_cndmask_b32_e64 v24, 0, -1, vcc
	v_cmp_eq_u32_e32 vcc, 0, v22
	v_cndmask_b32_e32 v22, -1, v24, vcc
	v_cmp_ne_u32_e32 vcc, 0, v22
	v_cndmask_b32_e32 v23, v5, v23, vcc
.LBB29_769:
	s_or_b64 exec, exec, s[16:17]
	s_movk_i32 s16, 0x1388
	v_mov_b32_e32 v22, 0
	s_mov_b32 s17, 0xbc8f1391
	s_mov_b32 s18, 0xbc8f
	s_brev_b32 s19, 12
	s_mov_b32 s20, 0xf800000
	v_mov_b32_e32 v5, 0x260
.LBB29_770:                             ; =>This Inner Loop Header: Depth=1
	v_mul_hi_u32 v24, v23, s17
	v_lshrrev_b32_e32 v24, 15, v24
	v_mul_u32_u24_e32 v30, 0xadc8, v24
	v_sub_u32_e32 v23, v23, v30
	v_mul_u32_u24_e32 v24, 0xd47, v24
	v_mul_lo_u32 v23, v23, s18
	v_xor_b32_e32 v30, 0x7fffffff, v24
	v_sub_u32_e32 v32, 0, v24
	v_cmp_lt_u32_e32 vcc, v23, v24
	v_cndmask_b32_e32 v24, v32, v30, vcc
	v_add_u32_e32 v23, v24, v23
	v_mul_hi_u32 v30, v23, s17
	v_lshrrev_b32_e32 v30, 15, v30
	v_mul_u32_u24_e32 v32, 0xadc8, v30
	v_add_u32_e32 v24, -1, v23
	v_sub_u32_e32 v23, v23, v32
	v_mul_u32_u24_e32 v30, 0xd47, v30
	v_mul_lo_u32 v23, v23, s18
	v_xor_b32_e32 v32, 0x7fffffff, v30
	v_sub_u32_e32 v33, 0, v30
	v_cmp_lt_u32_e32 vcc, v23, v30
	v_cndmask_b32_e32 v30, v33, v32, vcc
	v_add_u32_e32 v23, v30, v23
	v_mul_hi_u32 v32, v23, s17
	v_add_u32_e32 v30, -1, v23
	v_lshrrev_b32_e32 v32, 15, v32
	v_cvt_f32_u32_e32 v30, v30
	v_mul_u32_u24_e32 v33, 0xadc8, v32
	v_cvt_f32_u32_e32 v24, v24
	v_sub_u32_e32 v23, v23, v33
	v_mul_u32_u24_e32 v32, 0xd47, v32
	v_mul_lo_u32 v23, v23, s18
	v_xor_b32_e32 v33, 0x7fffffff, v32
	v_sub_u32_e32 v34, 0, v32
	v_cmp_lt_u32_e32 vcc, v23, v32
	v_fma_f32 v30, v30, s19, 0
	v_cndmask_b32_e32 v32, v34, v33, vcc
	v_fma_f32 v24, v24, s19, 0
	v_mul_f32_e32 v30, v30, v30
	v_add_u32_e32 v23, v32, v23
	v_fmac_f32_e32 v30, v24, v24
	v_mul_hi_u32 v32, v23, s17
	v_mul_f32_e32 v33, 0x4f800000, v30
	v_lshrrev_b32_e32 v32, 15, v32
	v_cmp_gt_f32_e32 vcc, s20, v30
	v_cndmask_b32_e32 v30, v30, v33, vcc
	v_mul_u32_u24_e32 v33, 0xadc8, v32
	v_add_u32_e32 v24, -1, v23
	v_sqrt_f32_e32 v34, v30
	v_sub_u32_e32 v23, v23, v33
	v_mul_u32_u24_e32 v32, 0xd47, v32
	v_mul_lo_u32 v23, v23, s18
	v_xor_b32_e32 v33, 0x7fffffff, v32
	v_sub_u32_e32 v35, 0, v32
	v_cmp_lt_u32_e64 s[10:11], v23, v32
	v_cndmask_b32_e64 v32, v35, v33, s[10:11]
	v_add_u32_e32 v23, v32, v23
	v_add_u32_e32 v32, -1, v34
	v_add_u32_e32 v33, 1, v34
	v_add_u32_e32 v35, -1, v23
	v_fma_f32 v36, -v32, v34, v30
	v_fma_f32 v37, -v33, v34, v30
	v_cvt_f32_u32_e32 v35, v35
	v_cmp_ge_f32_e64 s[10:11], 0, v36
	v_cvt_f32_u32_e32 v24, v24
	v_cndmask_b32_e64 v32, v34, v32, s[10:11]
	v_cmp_lt_f32_e64 s[10:11], 0, v37
	v_cndmask_b32_e64 v32, v32, v33, s[10:11]
	v_mul_f32_e32 v33, 0x37800000, v32
	v_cndmask_b32_e32 v32, v32, v33, vcc
	v_fma_f32 v33, v35, s19, 0
	v_cmp_class_f32_e32 vcc, v30, v5
	v_fma_f32 v24, v24, s19, 0
	v_cndmask_b32_e32 v30, v32, v30, vcc
	v_mul_f32_e32 v32, v33, v33
	v_add_f32_e32 v25, 1.0, v22
	v_cmp_nge_f32_e32 vcc, 1.0, v30
	v_fmac_f32_e32 v32, v24, v24
	v_cndmask_b32_e32 v22, v25, v22, vcc
	v_mul_f32_e32 v24, 0x4f800000, v32
	v_cmp_gt_f32_e32 vcc, s20, v32
	v_cndmask_b32_e32 v24, v32, v24, vcc
	v_sqrt_f32_e32 v30, v24
	s_add_i32 s16, s16, -2
	v_add_f32_e32 v25, 1.0, v22
	s_cmp_lg_u32 s16, 0
	v_add_u32_e32 v32, -1, v30
	v_add_u32_e32 v33, 1, v30
	v_fma_f32 v34, -v32, v30, v24
	v_fma_f32 v35, -v33, v30, v24
	v_cmp_ge_f32_e64 s[10:11], 0, v34
	v_cndmask_b32_e64 v30, v30, v32, s[10:11]
	v_cmp_lt_f32_e64 s[10:11], 0, v35
	v_cndmask_b32_e64 v30, v30, v33, s[10:11]
	v_mul_f32_e32 v32, 0x37800000, v30
	v_cndmask_b32_e32 v30, v30, v32, vcc
	v_cmp_class_f32_e32 vcc, v24, v5
	v_cndmask_b32_e32 v24, v30, v24, vcc
	v_cmp_nge_f32_e32 vcc, 1.0, v24
	v_cndmask_b32_e32 v22, v25, v22, vcc
	s_cbranch_scc1 .LBB29_770
; %bb.771:
	v_mul_f32_e32 v5, 4.0, v22
	s_mov_b32 s16, 0x459c4000
	v_div_scale_f32 v22, s[10:11], s16, s16, v5
	v_rcp_f32_e32 v23, v22
	v_fma_f32 v24, -v22, v23, 1.0
	v_fmac_f32_e32 v23, v24, v23
	v_div_scale_f32 v24, vcc, v5, s16, v5
	v_mul_f32_e32 v25, v24, v23
	v_fma_f32 v30, -v22, v25, v24
	v_fmac_f32_e32 v25, v30, v23
	v_fma_f32 v22, -v22, v25, v24
	v_div_fmas_f32 v22, v22, v23, v25
	v_div_fixup_f32 v5, v22, s16, v5
.LBB29_772:
	s_or_b64 exec, exec, s[14:15]
	v_add_u32_e32 v22, 0x200, v27
	v_cmp_lt_u32_e64 s[10:11], v22, v28
	s_and_saveexec_b64 s[16:17], s[10:11]
	s_cbranch_execz .LBB29_802
; %bb.773:
	v_add_u32_e32 v6, v29, v22
	s_movk_i32 s14, 0x1388
	v_mul_lo_u32 v22, v6, s14
	v_cmp_ne_u32_e32 vcc, 0, v22
	v_mov_b32_e32 v23, 1
	s_and_saveexec_b64 s[18:19], vcc
	s_cbranch_execz .LBB29_799
; %bb.774:
	v_mov_b32_e32 v24, 1
	v_mov_b32_e32 v23, 0
	s_mov_b64 s[22:23], 0xbc8f
	s_mov_b64 s[20:21], 0
	v_mov_b32_e32 v25, 0
	s_brev_b32 s26, -2
	s_mov_b32 s27, 0x7ffffffe
	v_mov_b32_e32 v6, 0xfffff800
	s_movk_i32 s28, 0x401
	s_branch .LBB29_776
.LBB29_775:                             ;   in Loop: Header=BB29_776 Depth=1
	s_or_b64 exec, exec, s[24:25]
	s_mul_i32 s14, s22, s23
	s_mul_hi_u32 s15, s22, s22
	s_add_i32 s15, s15, s14
	s_add_i32 s14, s15, s14
	s_mul_i32 s15, s22, s22
	s_add_u32 s22, 0x402, s28
	s_addc_u32 s23, 0, 0
	v_add_co_u32_e32 v30, vcc, s22, v6
	s_cmp_lg_u64 vcc, 0
	v_readfirstlane_b32 s24, v30
	s_addc_u32 s22, s23, 1
	s_mul_hi_u32 s25, s24, 0x80000001
	s_mul_i32 s23, s22, 0x80000001
	s_sub_i32 s25, s25, s24
	s_add_i32 s25, s25, s23
	s_mul_i32 vcc_lo, s24, 0x80000001
	s_mul_hi_u32 s23, s24, s25
	s_mul_i32 s29, s24, s25
	s_mul_hi_u32 s24, s24, vcc_lo
	s_add_u32 s24, s24, s29
	s_addc_u32 s23, 0, s23
	s_mul_hi_u32 vcc_hi, s22, vcc_lo
	s_mul_i32 vcc_lo, s22, vcc_lo
	s_add_u32 s24, s24, vcc_lo
	s_mul_hi_u32 s29, s22, s25
	s_addc_u32 s23, s23, vcc_hi
	s_addc_u32 s24, s29, 0
	s_mul_i32 s25, s22, s25
	s_add_u32 s23, s23, s25
	s_addc_u32 s24, 0, s24
	v_add_co_u32_e32 v30, vcc, s23, v30
	s_cmp_lg_u64 vcc, 0
	s_addc_u32 s22, s22, s24
	v_readfirstlane_b32 s25, v30
	s_mul_i32 s24, s15, s22
	s_mul_hi_u32 s29, s15, s25
	s_mul_hi_u32 s23, s15, s22
	s_add_u32 s24, s29, s24
	s_addc_u32 s23, 0, s23
	s_mul_hi_u32 vcc_lo, s14, s25
	s_mul_i32 s25, s14, s25
	s_add_u32 s24, s24, s25
	s_mul_hi_u32 s29, s14, s22
	s_addc_u32 s23, s23, vcc_lo
	s_addc_u32 s24, s29, 0
	s_mul_i32 s22, s14, s22
	s_add_u32 s22, s23, s22
	s_addc_u32 s23, 0, s24
	s_mul_hi_u32 s24, s22, 0x7fffffff
	s_mul_i32 s22, s22, 0x7fffffff
	s_mul_i32 s23, s23, 0x7fffffff
	v_mov_b32_e32 v30, s22
	s_add_i32 s24, s24, s23
	v_sub_co_u32_e32 v30, vcc, s15, v30
	s_cmp_lg_u64 vcc, 0
	s_subb_u32 s14, s14, s24
	v_subrev_co_u32_e32 v34, vcc, s26, v30
	s_cmp_lg_u64 vcc, 0
	s_subb_u32 s15, s14, 0
	v_subrev_co_u32_e32 v35, vcc, s26, v34
	s_cmp_lg_u64 vcc, 0
	s_subb_u32 s22, s15, 0
	v_readfirstlane_b32 s23, v34
	s_cmp_gt_u32 s23, 0x7ffffffe
	s_cselect_b32 s24, -1, 0
	s_cmp_eq_u32 s15, 0
	s_cselect_b32 s24, s24, -1
	s_cmp_lg_u32 s24, 0
	s_cselect_b32 s15, s22, s15
	v_readfirstlane_b32 s22, v35
	v_readfirstlane_b32 s24, v30
	s_cselect_b32 s22, s22, s23
	s_cmp_gt_u32 s24, 0x7ffffffe
	s_cselect_b32 s23, -1, 0
	s_cmp_eq_u32 s14, 0
	s_cselect_b32 s23, s23, -1
	v_lshrrev_b64 v[32:33], 1, v[22:23]
	s_cmp_lg_u32 s23, 0
	v_cmp_gt_u64_e32 vcc, 2, v[22:23]
	s_cselect_b32 s23, s15, s14
	s_cselect_b32 s22, s22, s24
	s_or_b64 s[20:21], vcc, s[20:21]
	v_pk_mov_b32 v[22:23], v[32:33], v[32:33] op_sel:[0,1]
	s_andn2_b64 exec, exec, s[20:21]
	s_cbranch_execz .LBB29_798
.LBB29_776:                             ; =>This Inner Loop Header: Depth=1
	v_and_b32_e32 v30, 1, v22
	v_cmp_eq_u32_e32 vcc, 1, v30
	s_and_saveexec_b64 s[24:25], vcc
	s_cbranch_execz .LBB29_775
; %bb.777:                              ;   in Loop: Header=BB29_776 Depth=1
	v_mul_lo_u32 v30, s23, v24
	v_mul_lo_u32 v32, s22, v25
	v_mad_u64_u32 v[24:25], s[14:15], s22, v24, 0
	s_add_u32 s14, 0x402, s28
	v_add3_u32 v25, v25, v32, v30
	s_addc_u32 s15, 0, 0
	v_add_co_u32_e32 v30, vcc, s14, v6
	s_cmp_lg_u64 vcc, 0
	v_readfirstlane_b32 s29, v30
	s_addc_u32 s14, s15, 1
	s_mul_hi_u32 vcc_lo, s29, 0x80000001
	s_mul_i32 s15, s14, 0x80000001
	s_sub_i32 vcc_lo, vcc_lo, s29
	s_add_i32 vcc_lo, vcc_lo, s15
	s_mul_i32 s30, s29, 0x80000001
	s_mul_hi_u32 s15, s29, vcc_lo
	s_mul_i32 vcc_hi, s29, vcc_lo
	s_mul_hi_u32 s29, s29, s30
	s_add_u32 s29, s29, vcc_hi
	s_addc_u32 s15, 0, s15
	s_mul_hi_u32 s31, s14, s30
	s_mul_i32 s30, s14, s30
	s_add_u32 s29, s29, s30
	s_mul_hi_u32 vcc_hi, s14, vcc_lo
	s_addc_u32 s15, s15, s31
	s_addc_u32 s29, vcc_hi, 0
	s_mul_i32 vcc_lo, s14, vcc_lo
	s_add_u32 s15, s15, vcc_lo
	s_addc_u32 s29, 0, s29
	v_add_co_u32_e32 v30, vcc, s15, v30
	s_cmp_lg_u64 vcc, 0
	s_addc_u32 s29, s14, s29
	v_mad_u64_u32 v[32:33], s[14:15], v24, s29, 0
	v_mul_hi_u32 v34, v24, v30
	v_add_co_u32_e32 v36, vcc, v34, v32
	v_addc_co_u32_e32 v37, vcc, 0, v33, vcc
	v_mad_u64_u32 v[34:35], s[14:15], v25, v30, 0
	v_add_co_u32_e32 v30, vcc, v36, v34
	v_mad_u64_u32 v[32:33], s[14:15], v25, s29, 0
	v_addc_co_u32_e32 v30, vcc, v37, v35, vcc
	v_addc_co_u32_e32 v33, vcc, 0, v33, vcc
	v_add_co_u32_e32 v30, vcc, v30, v32
	v_addc_co_u32_e32 v34, vcc, 0, v33, vcc
	v_mad_u64_u32 v[32:33], s[14:15], v30, s26, 0
	v_mov_b32_e32 v30, v33
	v_mad_u64_u32 v[34:35], s[14:15], v34, s26, v[30:31]
	v_sub_co_u32_e32 v24, vcc, v24, v32
	v_subb_co_u32_e32 v25, vcc, v25, v34, vcc
	v_subrev_co_u32_e32 v30, vcc, s26, v24
	v_subbrev_co_u32_e32 v32, vcc, 0, v25, vcc
	v_subrev_co_u32_e32 v33, vcc, s26, v30
	v_subbrev_co_u32_e32 v34, vcc, 0, v32, vcc
	v_cmp_lt_u32_e32 vcc, s27, v30
	v_cndmask_b32_e64 v35, 0, -1, vcc
	v_cmp_eq_u32_e32 vcc, 0, v32
	v_cndmask_b32_e32 v35, -1, v35, vcc
	v_cmp_ne_u32_e32 vcc, 0, v35
	v_cmp_lt_u32_e64 s[14:15], s27, v24
	v_cndmask_b32_e32 v32, v32, v34, vcc
	v_cndmask_b32_e64 v34, 0, -1, s[14:15]
	v_cmp_eq_u32_e64 s[14:15], 0, v25
	v_cndmask_b32_e64 v34, -1, v34, s[14:15]
	v_cmp_ne_u32_e64 s[14:15], 0, v34
	v_cndmask_b32_e32 v30, v30, v33, vcc
	v_cndmask_b32_e64 v25, v25, v32, s[14:15]
	v_cndmask_b32_e64 v24, v24, v30, s[14:15]
	s_branch .LBB29_775
.LBB29_778:
	s_or_b64 exec, exec, s[18:19]
	s_movk_i32 s10, 0x401
	s_add_u32 s10, 0x402, s10
	v_mov_b32_e32 v4, 0xfffff800
	s_addc_u32 s11, 0, 0
	v_add_co_u32_e32 v4, vcc, s10, v4
	s_cmp_lg_u64 vcc, 0
	v_readfirstlane_b32 s18, v4
	s_addc_u32 s10, s11, 1
	s_mul_hi_u32 s19, s18, 0x80000001
	s_mul_i32 s11, s10, 0x80000001
	s_sub_i32 s19, s19, s18
	s_add_i32 s19, s19, s11
	s_mul_i32 s21, s18, 0x80000001
	s_mul_hi_u32 s11, s18, s19
	s_mul_i32 s20, s18, s19
	s_mul_hi_u32 s18, s18, s21
	s_add_u32 s18, s18, s20
	s_addc_u32 s11, 0, s11
	s_mul_hi_u32 s22, s10, s21
	s_mul_i32 s21, s10, s21
	s_add_u32 s18, s18, s21
	s_mul_hi_u32 s20, s10, s19
	s_addc_u32 s11, s11, s22
	s_addc_u32 s18, s20, 0
	s_mul_i32 s19, s10, s19
	s_add_u32 s11, s11, s19
	s_addc_u32 s18, 0, s18
	v_add_co_u32_e32 v15, vcc, s11, v4
	s_cmp_lg_u64 vcc, 0
	s_addc_u32 s18, s10, s18
	v_mad_u64_u32 v[4:5], s[10:11], v6, s18, 0
	v_mul_hi_u32 v16, v6, v15
	v_add_co_u32_e32 v18, vcc, v16, v4
	v_addc_co_u32_e32 v19, vcc, 0, v5, vcc
	v_mad_u64_u32 v[16:17], s[10:11], v7, v15, 0
	v_add_co_u32_e32 v15, vcc, v18, v16
	v_mad_u64_u32 v[4:5], s[10:11], v7, s18, 0
	v_addc_co_u32_e32 v15, vcc, v19, v17, vcc
	v_addc_co_u32_e32 v5, vcc, 0, v5, vcc
	v_add_co_u32_e32 v4, vcc, v15, v4
	s_brev_b32 s18, -2
	v_addc_co_u32_e32 v15, vcc, 0, v5, vcc
	v_mad_u64_u32 v[4:5], s[10:11], v4, s18, 0
	v_mov_b32_e32 v16, v5
	v_mad_u64_u32 v[16:17], s[10:11], v15, s18, v[16:17]
	v_sub_co_u32_e32 v4, vcc, v6, v4
	v_subb_co_u32_e32 v5, vcc, v7, v16, vcc
	v_subrev_co_u32_e32 v6, vcc, 0x7fffffff, v4
	v_subbrev_co_u32_e32 v7, vcc, 0, v5, vcc
	s_mov_b32 s10, 0x7ffffffe
	v_cmp_lt_u32_e32 vcc, s10, v6
	v_cndmask_b32_e64 v15, 0, -1, vcc
	v_cmp_eq_u32_e32 vcc, 0, v7
	v_cndmask_b32_e32 v7, -1, v15, vcc
	v_add_u32_e32 v15, 0x80000001, v6
	v_cmp_ne_u32_e32 vcc, 0, v7
	v_cndmask_b32_e32 v6, v6, v15, vcc
	v_cmp_lt_u32_e32 vcc, s10, v4
	v_cndmask_b32_e64 v7, 0, -1, vcc
	v_cmp_eq_u32_e32 vcc, 0, v5
	v_cndmask_b32_e32 v5, -1, v7, vcc
	v_cmp_ne_u32_e32 vcc, 0, v5
	v_cndmask_b32_e32 v6, v4, v6, vcc
.LBB29_779:
	s_or_b64 exec, exec, s[16:17]
	s_movk_i32 s16, 0x1388
	v_mov_b32_e32 v5, 0
	s_mov_b32 s17, 0xbc8f1391
	s_mov_b32 s18, 0xbc8f
	s_brev_b32 s19, 12
	s_mov_b32 s20, 0xf800000
	v_mov_b32_e32 v4, 0x260
.LBB29_780:                             ; =>This Inner Loop Header: Depth=1
	v_mul_hi_u32 v7, v6, s17
	v_lshrrev_b32_e32 v7, 15, v7
	v_mul_u32_u24_e32 v16, 0xadc8, v7
	v_sub_u32_e32 v6, v6, v16
	v_mul_u32_u24_e32 v7, 0xd47, v7
	v_mul_lo_u32 v6, v6, s18
	v_xor_b32_e32 v16, 0x7fffffff, v7
	v_sub_u32_e32 v17, 0, v7
	v_cmp_lt_u32_e32 vcc, v6, v7
	v_cndmask_b32_e32 v7, v17, v16, vcc
	v_add_u32_e32 v6, v7, v6
	v_mul_hi_u32 v16, v6, s17
	v_lshrrev_b32_e32 v16, 15, v16
	v_mul_u32_u24_e32 v17, 0xadc8, v16
	v_add_u32_e32 v7, -1, v6
	v_sub_u32_e32 v6, v6, v17
	v_mul_u32_u24_e32 v16, 0xd47, v16
	v_mul_lo_u32 v6, v6, s18
	v_xor_b32_e32 v17, 0x7fffffff, v16
	v_sub_u32_e32 v18, 0, v16
	v_cmp_lt_u32_e32 vcc, v6, v16
	v_cndmask_b32_e32 v16, v18, v17, vcc
	v_add_u32_e32 v6, v16, v6
	v_mul_hi_u32 v17, v6, s17
	v_add_u32_e32 v16, -1, v6
	v_lshrrev_b32_e32 v17, 15, v17
	v_cvt_f32_u32_e32 v16, v16
	v_mul_u32_u24_e32 v18, 0xadc8, v17
	v_cvt_f32_u32_e32 v7, v7
	v_sub_u32_e32 v6, v6, v18
	v_mul_u32_u24_e32 v17, 0xd47, v17
	v_mul_lo_u32 v6, v6, s18
	v_xor_b32_e32 v18, 0x7fffffff, v17
	v_sub_u32_e32 v19, 0, v17
	v_cmp_lt_u32_e32 vcc, v6, v17
	v_fma_f32 v16, v16, s19, 0
	v_cndmask_b32_e32 v17, v19, v18, vcc
	v_fma_f32 v7, v7, s19, 0
	v_mul_f32_e32 v16, v16, v16
	v_add_u32_e32 v6, v17, v6
	v_fmac_f32_e32 v16, v7, v7
	v_mul_hi_u32 v17, v6, s17
	v_mul_f32_e32 v18, 0x4f800000, v16
	v_lshrrev_b32_e32 v17, 15, v17
	v_cmp_gt_f32_e32 vcc, s20, v16
	v_cndmask_b32_e32 v16, v16, v18, vcc
	v_mul_u32_u24_e32 v18, 0xadc8, v17
	v_add_u32_e32 v7, -1, v6
	v_sqrt_f32_e32 v19, v16
	v_sub_u32_e32 v6, v6, v18
	v_mul_u32_u24_e32 v17, 0xd47, v17
	v_mul_lo_u32 v6, v6, s18
	v_xor_b32_e32 v18, 0x7fffffff, v17
	v_sub_u32_e32 v20, 0, v17
	v_cmp_lt_u32_e64 s[10:11], v6, v17
	v_cndmask_b32_e64 v17, v20, v18, s[10:11]
	v_add_u32_e32 v6, v17, v6
	v_add_u32_e32 v17, -1, v19
	v_add_u32_e32 v18, 1, v19
	v_add_u32_e32 v20, -1, v6
	v_fma_f32 v21, -v17, v19, v16
	v_fma_f32 v22, -v18, v19, v16
	v_cvt_f32_u32_e32 v20, v20
	v_cmp_ge_f32_e64 s[10:11], 0, v21
	v_cvt_f32_u32_e32 v7, v7
	v_cndmask_b32_e64 v17, v19, v17, s[10:11]
	v_cmp_lt_f32_e64 s[10:11], 0, v22
	v_cndmask_b32_e64 v17, v17, v18, s[10:11]
	v_mul_f32_e32 v18, 0x37800000, v17
	v_cndmask_b32_e32 v17, v17, v18, vcc
	v_fma_f32 v18, v20, s19, 0
	v_cmp_class_f32_e32 vcc, v16, v4
	v_fma_f32 v7, v7, s19, 0
	v_cndmask_b32_e32 v16, v17, v16, vcc
	v_mul_f32_e32 v17, v18, v18
	v_add_f32_e32 v15, 1.0, v5
	v_cmp_nge_f32_e32 vcc, 1.0, v16
	v_fmac_f32_e32 v17, v7, v7
	v_cndmask_b32_e32 v5, v15, v5, vcc
	v_mul_f32_e32 v7, 0x4f800000, v17
	v_cmp_gt_f32_e32 vcc, s20, v17
	v_cndmask_b32_e32 v7, v17, v7, vcc
	v_sqrt_f32_e32 v16, v7
	s_add_i32 s16, s16, -2
	v_add_f32_e32 v15, 1.0, v5
	s_cmp_lg_u32 s16, 0
	v_add_u32_e32 v17, -1, v16
	v_add_u32_e32 v18, 1, v16
	v_fma_f32 v19, -v17, v16, v7
	v_fma_f32 v20, -v18, v16, v7
	v_cmp_ge_f32_e64 s[10:11], 0, v19
	v_cndmask_b32_e64 v16, v16, v17, s[10:11]
	v_cmp_lt_f32_e64 s[10:11], 0, v20
	v_cndmask_b32_e64 v16, v16, v18, s[10:11]
	v_mul_f32_e32 v17, 0x37800000, v16
	v_cndmask_b32_e32 v16, v16, v17, vcc
	v_cmp_class_f32_e32 vcc, v7, v4
	v_cndmask_b32_e32 v7, v16, v7, vcc
	v_cmp_nge_f32_e32 vcc, 1.0, v7
	v_cndmask_b32_e32 v5, v15, v5, vcc
	s_cbranch_scc1 .LBB29_780
; %bb.781:
	v_mul_f32_e32 v4, 4.0, v5
	s_mov_b32 s16, 0x459c4000
	v_div_scale_f32 v5, s[10:11], s16, s16, v4
	v_rcp_f32_e32 v6, v5
	v_fma_f32 v7, -v5, v6, 1.0
	v_fmac_f32_e32 v6, v7, v6
	v_div_scale_f32 v7, vcc, v4, s16, v4
	v_mul_f32_e32 v15, v7, v6
	v_fma_f32 v16, -v5, v15, v7
	v_fmac_f32_e32 v15, v16, v6
	v_fma_f32 v5, -v5, v15, v7
	v_div_fmas_f32 v5, v5, v6, v15
	v_div_fixup_f32 v15, v5, s16, v4
.LBB29_782:
	s_or_b64 exec, exec, s[14:15]
	v_add_u32_e32 v4, 0x200, v11
	v_cmp_lt_u32_e64 s[10:11], v4, v8
                                        ; implicit-def: $vgpr16
	s_and_saveexec_b64 s[16:17], s[10:11]
	s_cbranch_execz .LBB29_812
; %bb.783:
	v_add_u32_e32 v4, v9, v4
	s_movk_i32 s14, 0x1388
	v_mul_lo_u32 v4, v4, s14
	v_cmp_ne_u32_e32 vcc, 0, v4
	v_mov_b32_e32 v6, 1
	s_and_saveexec_b64 s[18:19], vcc
	s_cbranch_execz .LBB29_809
; %bb.784:
	v_mov_b32_e32 v6, 1
	v_mov_b32_e32 v5, 0
	s_mov_b64 s[22:23], 0xbc8f
	s_mov_b64 s[20:21], 0
	v_mov_b32_e32 v7, 0
	s_brev_b32 s26, -2
	s_mov_b32 s27, 0x7ffffffe
	v_mov_b32_e32 v16, 0xfffff800
	s_movk_i32 s28, 0x401
	s_branch .LBB29_786
.LBB29_785:                             ;   in Loop: Header=BB29_786 Depth=1
	s_or_b64 exec, exec, s[24:25]
	s_mul_i32 s14, s22, s23
	s_mul_hi_u32 s15, s22, s22
	s_add_i32 s15, s15, s14
	s_add_i32 s14, s15, s14
	s_mul_i32 s15, s22, s22
	s_add_u32 s22, 0x402, s28
	s_addc_u32 s23, 0, 0
	v_add_co_u32_e32 v17, vcc, s22, v16
	s_cmp_lg_u64 vcc, 0
	v_readfirstlane_b32 s24, v17
	s_addc_u32 s22, s23, 1
	s_mul_hi_u32 s25, s24, 0x80000001
	s_mul_i32 s23, s22, 0x80000001
	s_sub_i32 s25, s25, s24
	s_add_i32 s25, s25, s23
	s_mul_i32 vcc_lo, s24, 0x80000001
	s_mul_hi_u32 s23, s24, s25
	s_mul_i32 s29, s24, s25
	s_mul_hi_u32 s24, s24, vcc_lo
	s_add_u32 s24, s24, s29
	s_addc_u32 s23, 0, s23
	s_mul_hi_u32 vcc_hi, s22, vcc_lo
	s_mul_i32 vcc_lo, s22, vcc_lo
	s_add_u32 s24, s24, vcc_lo
	s_mul_hi_u32 s29, s22, s25
	s_addc_u32 s23, s23, vcc_hi
	s_addc_u32 s24, s29, 0
	s_mul_i32 s25, s22, s25
	s_add_u32 s23, s23, s25
	s_addc_u32 s24, 0, s24
	v_add_co_u32_e32 v17, vcc, s23, v17
	s_cmp_lg_u64 vcc, 0
	s_addc_u32 s22, s22, s24
	v_readfirstlane_b32 s25, v17
	s_mul_i32 s24, s15, s22
	s_mul_hi_u32 s29, s15, s25
	s_mul_hi_u32 s23, s15, s22
	s_add_u32 s24, s29, s24
	s_addc_u32 s23, 0, s23
	s_mul_hi_u32 vcc_lo, s14, s25
	s_mul_i32 s25, s14, s25
	s_add_u32 s24, s24, s25
	s_mul_hi_u32 s29, s14, s22
	s_addc_u32 s23, s23, vcc_lo
	s_addc_u32 s24, s29, 0
	s_mul_i32 s22, s14, s22
	s_add_u32 s22, s23, s22
	s_addc_u32 s23, 0, s24
	s_mul_hi_u32 s24, s22, 0x7fffffff
	s_mul_i32 s22, s22, 0x7fffffff
	s_mul_i32 s23, s23, 0x7fffffff
	v_mov_b32_e32 v17, s22
	s_add_i32 s24, s24, s23
	v_sub_co_u32_e32 v17, vcc, s15, v17
	s_cmp_lg_u64 vcc, 0
	s_subb_u32 s14, s14, s24
	v_subrev_co_u32_e32 v20, vcc, s26, v17
	s_cmp_lg_u64 vcc, 0
	s_subb_u32 s15, s14, 0
	v_subrev_co_u32_e32 v21, vcc, s26, v20
	s_cmp_lg_u64 vcc, 0
	s_subb_u32 s22, s15, 0
	v_readfirstlane_b32 s23, v20
	s_cmp_gt_u32 s23, 0x7ffffffe
	s_cselect_b32 s24, -1, 0
	s_cmp_eq_u32 s15, 0
	s_cselect_b32 s24, s24, -1
	s_cmp_lg_u32 s24, 0
	s_cselect_b32 s15, s22, s15
	v_readfirstlane_b32 s22, v21
	v_readfirstlane_b32 s24, v17
	s_cselect_b32 s22, s22, s23
	s_cmp_gt_u32 s24, 0x7ffffffe
	s_cselect_b32 s23, -1, 0
	s_cmp_eq_u32 s14, 0
	s_cselect_b32 s23, s23, -1
	v_lshrrev_b64 v[18:19], 1, v[4:5]
	s_cmp_lg_u32 s23, 0
	v_cmp_gt_u64_e32 vcc, 2, v[4:5]
	s_cselect_b32 s23, s15, s14
	s_cselect_b32 s22, s22, s24
	s_or_b64 s[20:21], vcc, s[20:21]
	v_pk_mov_b32 v[4:5], v[18:19], v[18:19] op_sel:[0,1]
	s_andn2_b64 exec, exec, s[20:21]
	s_cbranch_execz .LBB29_808
.LBB29_786:                             ; =>This Inner Loop Header: Depth=1
	v_and_b32_e32 v17, 1, v4
	v_cmp_eq_u32_e32 vcc, 1, v17
	s_and_saveexec_b64 s[24:25], vcc
	s_cbranch_execz .LBB29_785
; %bb.787:                              ;   in Loop: Header=BB29_786 Depth=1
	v_mul_lo_u32 v17, s23, v6
	v_mul_lo_u32 v18, s22, v7
	v_mad_u64_u32 v[6:7], s[14:15], s22, v6, 0
	s_add_u32 s14, 0x402, s28
	v_add3_u32 v7, v7, v18, v17
	s_addc_u32 s15, 0, 0
	v_add_co_u32_e32 v17, vcc, s14, v16
	s_cmp_lg_u64 vcc, 0
	v_readfirstlane_b32 s29, v17
	s_addc_u32 s14, s15, 1
	s_mul_hi_u32 vcc_lo, s29, 0x80000001
	s_mul_i32 s15, s14, 0x80000001
	s_sub_i32 vcc_lo, vcc_lo, s29
	s_add_i32 vcc_lo, vcc_lo, s15
	s_mul_i32 s30, s29, 0x80000001
	s_mul_hi_u32 s15, s29, vcc_lo
	s_mul_i32 vcc_hi, s29, vcc_lo
	s_mul_hi_u32 s29, s29, s30
	s_add_u32 s29, s29, vcc_hi
	s_addc_u32 s15, 0, s15
	s_mul_hi_u32 s31, s14, s30
	s_mul_i32 s30, s14, s30
	s_add_u32 s29, s29, s30
	s_mul_hi_u32 vcc_hi, s14, vcc_lo
	s_addc_u32 s15, s15, s31
	s_addc_u32 s29, vcc_hi, 0
	s_mul_i32 vcc_lo, s14, vcc_lo
	s_add_u32 s15, s15, vcc_lo
	s_addc_u32 s29, 0, s29
	v_add_co_u32_e32 v17, vcc, s15, v17
	s_cmp_lg_u64 vcc, 0
	s_addc_u32 s29, s14, s29
	v_mad_u64_u32 v[18:19], s[14:15], v6, s29, 0
	v_mul_hi_u32 v20, v6, v17
	v_add_co_u32_e32 v22, vcc, v20, v18
	v_addc_co_u32_e32 v23, vcc, 0, v19, vcc
	v_mad_u64_u32 v[20:21], s[14:15], v7, v17, 0
	v_add_co_u32_e32 v17, vcc, v22, v20
	v_mad_u64_u32 v[18:19], s[14:15], v7, s29, 0
	v_addc_co_u32_e32 v17, vcc, v23, v21, vcc
	v_addc_co_u32_e32 v19, vcc, 0, v19, vcc
	v_add_co_u32_e32 v17, vcc, v17, v18
	v_addc_co_u32_e32 v21, vcc, 0, v19, vcc
	v_mad_u64_u32 v[18:19], s[14:15], v17, s26, 0
	v_mov_b32_e32 v20, v19
	v_mad_u64_u32 v[20:21], s[14:15], v21, s26, v[20:21]
	v_sub_co_u32_e32 v6, vcc, v6, v18
	v_subb_co_u32_e32 v7, vcc, v7, v20, vcc
	v_subrev_co_u32_e32 v17, vcc, s26, v6
	v_subbrev_co_u32_e32 v18, vcc, 0, v7, vcc
	v_subrev_co_u32_e32 v19, vcc, s26, v17
	v_subbrev_co_u32_e32 v20, vcc, 0, v18, vcc
	v_cmp_lt_u32_e32 vcc, s27, v17
	v_cndmask_b32_e64 v21, 0, -1, vcc
	v_cmp_eq_u32_e32 vcc, 0, v18
	v_cndmask_b32_e32 v21, -1, v21, vcc
	v_cmp_ne_u32_e32 vcc, 0, v21
	v_cmp_lt_u32_e64 s[14:15], s27, v6
	v_cndmask_b32_e32 v18, v18, v20, vcc
	v_cndmask_b32_e64 v20, 0, -1, s[14:15]
	v_cmp_eq_u32_e64 s[14:15], 0, v7
	v_cndmask_b32_e64 v20, -1, v20, s[14:15]
	v_cmp_ne_u32_e64 s[14:15], 0, v20
	v_cndmask_b32_e32 v17, v17, v19, vcc
	v_cndmask_b32_e64 v7, v7, v18, s[14:15]
	v_cndmask_b32_e64 v6, v6, v17, s[14:15]
	s_branch .LBB29_785
.LBB29_788:
	s_or_b64 exec, exec, s[20:21]
	s_movk_i32 s14, 0x401
	s_add_u32 s14, 0x402, s14
	v_mov_b32_e32 v6, 0xfffff800
	s_addc_u32 s15, 0, 0
	v_add_co_u32_e32 v6, vcc, s14, v6
	s_cmp_lg_u64 vcc, 0
	v_readfirstlane_b32 s20, v6
	s_addc_u32 s14, s15, 1
	s_mul_hi_u32 s21, s20, 0x80000001
	s_mul_i32 s15, s14, 0x80000001
	s_sub_i32 s21, s21, s20
	s_add_i32 s21, s21, s15
	s_mul_i32 s27, s20, 0x80000001
	s_mul_hi_u32 s15, s20, s21
	s_mul_i32 s26, s20, s21
	s_mul_hi_u32 s20, s20, s27
	s_add_u32 s20, s20, s26
	s_addc_u32 s15, 0, s15
	s_mul_hi_u32 s28, s14, s27
	s_mul_i32 s27, s14, s27
	s_add_u32 s20, s20, s27
	s_mul_hi_u32 s26, s14, s21
	s_addc_u32 s15, s15, s28
	s_addc_u32 s20, s26, 0
	s_mul_i32 s21, s14, s21
	s_add_u32 s15, s15, s21
	s_addc_u32 s20, 0, s20
	v_add_co_u32_e32 v6, vcc, s15, v6
	s_cmp_lg_u64 vcc, 0
	s_addc_u32 s20, s14, s20
	v_mad_u64_u32 v[14:15], s[14:15], v16, s20, 0
	v_mul_hi_u32 v22, v16, v6
	v_add_co_u32_e32 v24, vcc, v22, v14
	v_addc_co_u32_e32 v25, vcc, 0, v15, vcc
	v_mad_u64_u32 v[22:23], s[14:15], v17, v6, 0
	v_add_co_u32_e32 v6, vcc, v24, v22
	v_mad_u64_u32 v[14:15], s[14:15], v17, s20, 0
	v_addc_co_u32_e32 v6, vcc, v25, v23, vcc
	v_addc_co_u32_e32 v15, vcc, 0, v15, vcc
	v_add_co_u32_e32 v6, vcc, v6, v14
	s_brev_b32 s20, -2
	v_addc_co_u32_e32 v22, vcc, 0, v15, vcc
	v_mad_u64_u32 v[14:15], s[14:15], v6, s20, 0
	v_mov_b32_e32 v6, v15
	v_mad_u64_u32 v[22:23], s[14:15], v22, s20, v[6:7]
	v_sub_co_u32_e32 v6, vcc, v16, v14
	v_subb_co_u32_e32 v14, vcc, v17, v22, vcc
	v_subrev_co_u32_e32 v15, vcc, 0x7fffffff, v6
	v_subbrev_co_u32_e32 v16, vcc, 0, v14, vcc
	s_mov_b32 s14, 0x7ffffffe
	v_cmp_lt_u32_e32 vcc, s14, v15
	v_cndmask_b32_e64 v17, 0, -1, vcc
	v_cmp_eq_u32_e32 vcc, 0, v16
	v_cndmask_b32_e32 v16, -1, v17, vcc
	v_add_u32_e32 v17, 0x80000001, v15
	v_cmp_ne_u32_e32 vcc, 0, v16
	v_cndmask_b32_e32 v15, v15, v17, vcc
	v_cmp_lt_u32_e32 vcc, s14, v6
	v_cndmask_b32_e64 v16, 0, -1, vcc
	v_cmp_eq_u32_e32 vcc, 0, v14
	v_cndmask_b32_e32 v14, -1, v16, vcc
	v_cmp_ne_u32_e32 vcc, 0, v14
	v_cndmask_b32_e32 v15, v6, v15, vcc
.LBB29_789:
	s_or_b64 exec, exec, s[18:19]
	s_movk_i32 s18, 0x1388
	v_mov_b32_e32 v14, 0
	s_mov_b32 s19, 0xbc8f1391
	s_mov_b32 s20, 0xbc8f
	s_brev_b32 s21, 12
	s_mov_b32 s26, 0xf800000
	v_mov_b32_e32 v6, 0x260
.LBB29_790:                             ; =>This Inner Loop Header: Depth=1
	v_mul_hi_u32 v16, v15, s19
	v_lshrrev_b32_e32 v16, 15, v16
	v_mul_u32_u24_e32 v22, 0xadc8, v16
	v_sub_u32_e32 v15, v15, v22
	v_mul_u32_u24_e32 v16, 0xd47, v16
	v_mul_lo_u32 v15, v15, s20
	v_xor_b32_e32 v22, 0x7fffffff, v16
	v_sub_u32_e32 v23, 0, v16
	v_cmp_lt_u32_e32 vcc, v15, v16
	v_cndmask_b32_e32 v16, v23, v22, vcc
	v_add_u32_e32 v15, v16, v15
	v_mul_hi_u32 v22, v15, s19
	v_lshrrev_b32_e32 v22, 15, v22
	v_mul_u32_u24_e32 v23, 0xadc8, v22
	v_add_u32_e32 v16, -1, v15
	v_sub_u32_e32 v15, v15, v23
	v_mul_u32_u24_e32 v22, 0xd47, v22
	v_mul_lo_u32 v15, v15, s20
	v_xor_b32_e32 v23, 0x7fffffff, v22
	v_sub_u32_e32 v24, 0, v22
	v_cmp_lt_u32_e32 vcc, v15, v22
	v_cndmask_b32_e32 v22, v24, v23, vcc
	v_add_u32_e32 v15, v22, v15
	v_mul_hi_u32 v23, v15, s19
	v_add_u32_e32 v22, -1, v15
	v_lshrrev_b32_e32 v23, 15, v23
	v_cvt_f32_u32_e32 v22, v22
	v_mul_u32_u24_e32 v24, 0xadc8, v23
	v_cvt_f32_u32_e32 v16, v16
	v_sub_u32_e32 v15, v15, v24
	v_mul_u32_u24_e32 v23, 0xd47, v23
	v_mul_lo_u32 v15, v15, s20
	v_xor_b32_e32 v24, 0x7fffffff, v23
	v_sub_u32_e32 v25, 0, v23
	v_cmp_lt_u32_e32 vcc, v15, v23
	v_fma_f32 v22, v22, s21, 0
	v_cndmask_b32_e32 v23, v25, v24, vcc
	v_fma_f32 v16, v16, s21, 0
	v_mul_f32_e32 v22, v22, v22
	v_add_u32_e32 v15, v23, v15
	v_fmac_f32_e32 v22, v16, v16
	v_mul_hi_u32 v23, v15, s19
	v_mul_f32_e32 v24, 0x4f800000, v22
	v_lshrrev_b32_e32 v23, 15, v23
	v_cmp_gt_f32_e32 vcc, s26, v22
	v_cndmask_b32_e32 v22, v22, v24, vcc
	v_mul_u32_u24_e32 v24, 0xadc8, v23
	v_add_u32_e32 v16, -1, v15
	v_sqrt_f32_e32 v25, v22
	v_sub_u32_e32 v15, v15, v24
	v_mul_u32_u24_e32 v23, 0xd47, v23
	v_mul_lo_u32 v15, v15, s20
	v_xor_b32_e32 v24, 0x7fffffff, v23
	v_sub_u32_e32 v26, 0, v23
	v_cmp_lt_u32_e64 s[14:15], v15, v23
	v_cndmask_b32_e64 v23, v26, v24, s[14:15]
	v_add_u32_e32 v15, v23, v15
	v_add_u32_e32 v23, -1, v25
	v_add_u32_e32 v24, 1, v25
	v_add_u32_e32 v26, -1, v15
	v_fma_f32 v27, -v23, v25, v22
	v_fma_f32 v28, -v24, v25, v22
	v_cvt_f32_u32_e32 v26, v26
	v_cmp_ge_f32_e64 s[14:15], 0, v27
	v_cvt_f32_u32_e32 v16, v16
	v_cndmask_b32_e64 v23, v25, v23, s[14:15]
	v_cmp_lt_f32_e64 s[14:15], 0, v28
	v_cndmask_b32_e64 v23, v23, v24, s[14:15]
	v_mul_f32_e32 v24, 0x37800000, v23
	v_cndmask_b32_e32 v23, v23, v24, vcc
	v_fma_f32 v24, v26, s21, 0
	v_cmp_class_f32_e32 vcc, v22, v6
	v_fma_f32 v16, v16, s21, 0
	v_cndmask_b32_e32 v22, v23, v22, vcc
	v_mul_f32_e32 v23, v24, v24
	v_add_f32_e32 v17, 1.0, v14
	v_cmp_nge_f32_e32 vcc, 1.0, v22
	v_fmac_f32_e32 v23, v16, v16
	v_cndmask_b32_e32 v14, v17, v14, vcc
	v_mul_f32_e32 v16, 0x4f800000, v23
	v_cmp_gt_f32_e32 vcc, s26, v23
	v_cndmask_b32_e32 v16, v23, v16, vcc
	v_sqrt_f32_e32 v22, v16
	s_add_i32 s18, s18, -2
	v_add_f32_e32 v17, 1.0, v14
	s_cmp_lg_u32 s18, 0
	v_add_u32_e32 v23, -1, v22
	v_add_u32_e32 v24, 1, v22
	v_fma_f32 v25, -v23, v22, v16
	v_fma_f32 v26, -v24, v22, v16
	v_cmp_ge_f32_e64 s[14:15], 0, v25
	v_cndmask_b32_e64 v22, v22, v23, s[14:15]
	v_cmp_lt_f32_e64 s[14:15], 0, v26
	v_cndmask_b32_e64 v22, v22, v24, s[14:15]
	v_mul_f32_e32 v23, 0x37800000, v22
	v_cndmask_b32_e32 v22, v22, v23, vcc
	v_cmp_class_f32_e32 vcc, v16, v6
	v_cndmask_b32_e32 v16, v22, v16, vcc
	v_cmp_nge_f32_e32 vcc, 1.0, v16
	v_cndmask_b32_e32 v14, v17, v14, vcc
	s_cbranch_scc1 .LBB29_790
; %bb.791:
	v_mul_f32_e32 v6, 4.0, v14
	s_mov_b32 s18, 0x459c4000
	v_div_scale_f32 v14, s[14:15], s18, s18, v6
	v_rcp_f32_e32 v15, v14
	v_fma_f32 v16, -v14, v15, 1.0
	v_fmac_f32_e32 v15, v16, v15
	v_div_scale_f32 v16, vcc, v6, s18, v6
	v_mul_f32_e32 v17, v16, v15
	v_fma_f32 v22, -v14, v17, v16
	v_fmac_f32_e32 v17, v22, v15
	v_fma_f32 v14, -v14, v17, v16
	v_div_fmas_f32 v14, v14, v15, v17
	v_div_fixup_f32 v6, v14, s18, v6
.LBB29_792:
	s_or_b64 exec, exec, s[16:17]
	v_add_u32_e32 v14, 0x280, v19
	v_cmp_lt_u32_e64 s[14:15], v14, v20
	s_and_saveexec_b64 s[18:19], s[14:15]
	s_cbranch_execz .LBB29_822
; %bb.793:
	v_add_u32_e32 v7, v21, v14
	s_movk_i32 s16, 0x1388
	v_mul_lo_u32 v14, v7, s16
	v_cmp_ne_u32_e32 vcc, 0, v14
	v_mov_b32_e32 v15, 1
	s_and_saveexec_b64 s[20:21], vcc
	s_cbranch_execz .LBB29_819
; %bb.794:
	v_mov_b32_e32 v16, 1
	v_mov_b32_e32 v15, 0
	s_mov_b64 s[28:29], 0xbc8f
	s_mov_b64 s[26:27], 0
	v_mov_b32_e32 v17, 0
	s_brev_b32 s34, -2
	s_mov_b32 s35, 0x7ffffffe
	v_mov_b32_e32 v7, 0xfffff800
	s_movk_i32 s36, 0x401
	s_branch .LBB29_796
.LBB29_795:                             ;   in Loop: Header=BB29_796 Depth=1
	s_or_b64 exec, exec, s[30:31]
	s_mul_i32 s16, s28, s29
	s_mul_hi_u32 s17, s28, s28
	s_add_i32 s17, s17, s16
	s_add_i32 s16, s17, s16
	s_mul_i32 s17, s28, s28
	s_add_u32 s28, 0x402, s36
	s_addc_u32 s29, 0, 0
	v_add_co_u32_e32 v24, vcc, s28, v7
	s_cmp_lg_u64 vcc, 0
	v_readfirstlane_b32 vcc_lo, v24
	s_addc_u32 s28, s29, 1
	s_mul_hi_u32 vcc_hi, vcc_lo, 0x80000001
	s_mul_i32 s29, s28, 0x80000001
	s_sub_i32 vcc_hi, vcc_hi, vcc_lo
	s_add_i32 vcc_hi, vcc_hi, s29
	s_mul_i32 s31, vcc_lo, 0x80000001
	s_mul_hi_u32 s29, vcc_lo, vcc_hi
	s_mul_i32 s30, vcc_lo, vcc_hi
	s_mul_hi_u32 vcc_lo, vcc_lo, s31
	s_add_u32 vcc_lo, vcc_lo, s30
	s_addc_u32 s29, 0, s29
	s_mul_hi_u32 s37, s28, s31
	s_mul_i32 s31, s28, s31
	s_add_u32 vcc_lo, vcc_lo, s31
	s_mul_hi_u32 s30, s28, vcc_hi
	s_addc_u32 s29, s29, s37
	s_addc_u32 vcc_lo, s30, 0
	s_mul_i32 vcc_hi, s28, vcc_hi
	s_add_u32 s29, s29, vcc_hi
	s_addc_u32 s30, 0, vcc_lo
	v_add_co_u32_e32 v24, vcc, s29, v24
	s_cmp_lg_u64 vcc, 0
	s_addc_u32 s28, s28, s30
	v_readfirstlane_b32 vcc_hi, v24
	s_mul_i32 vcc_lo, s17, s28
	s_mul_hi_u32 s30, s17, vcc_hi
	s_mul_hi_u32 s29, s17, s28
	s_add_u32 vcc_lo, s30, vcc_lo
	s_addc_u32 s29, 0, s29
	s_mul_hi_u32 s31, s16, vcc_hi
	s_mul_i32 vcc_hi, s16, vcc_hi
	s_add_u32 vcc_lo, vcc_lo, vcc_hi
	s_mul_hi_u32 s30, s16, s28
	s_addc_u32 s29, s29, s31
	s_addc_u32 vcc_lo, s30, 0
	s_mul_i32 s28, s16, s28
	s_add_u32 s28, s29, s28
	s_addc_u32 s29, 0, vcc_lo
	s_mul_hi_u32 vcc_lo, s28, 0x7fffffff
	s_mul_i32 s28, s28, 0x7fffffff
	s_mul_i32 s29, s29, 0x7fffffff
	v_mov_b32_e32 v24, s28
	s_add_i32 s29, vcc_lo, s29
	v_sub_co_u32_e32 v24, vcc, s17, v24
	s_cmp_lg_u64 vcc, 0
	s_subb_u32 s16, s16, s29
	v_subrev_co_u32_e32 v25, vcc, s34, v24
	s_cmp_lg_u64 vcc, 0
	s_subb_u32 s17, s16, 0
	v_subrev_co_u32_e32 v26, vcc, s34, v25
	s_cmp_lg_u64 vcc, 0
	s_subb_u32 s28, s17, 0
	v_readfirstlane_b32 s29, v25
	s_cmp_gt_u32 s29, 0x7ffffffe
	s_cselect_b32 vcc_lo, -1, 0
	s_cmp_eq_u32 s17, 0
	s_cselect_b32 vcc_lo, vcc_lo, -1
	s_cmp_lg_u32 vcc_lo, 0
	s_cselect_b32 s17, s28, s17
	v_readfirstlane_b32 s28, v26
	v_readfirstlane_b32 vcc_lo, v24
	s_cselect_b32 s28, s28, s29
	s_cmp_gt_u32 vcc_lo, 0x7ffffffe
	s_cselect_b32 s29, -1, 0
	s_cmp_eq_u32 s16, 0
	s_cselect_b32 s29, s29, -1
	s_cmp_lg_u32 s29, 0
	v_lshrrev_b64 v[22:23], 1, v[14:15]
	s_cselect_b32 s28, s28, vcc_lo
	v_cmp_gt_u64_e32 vcc, 2, v[14:15]
	s_cselect_b32 s29, s17, s16
	s_or_b64 s[26:27], vcc, s[26:27]
	v_pk_mov_b32 v[14:15], v[22:23], v[22:23] op_sel:[0,1]
	s_andn2_b64 exec, exec, s[26:27]
	s_cbranch_execz .LBB29_818
.LBB29_796:                             ; =>This Inner Loop Header: Depth=1
	v_and_b32_e32 v22, 1, v14
	v_cmp_eq_u32_e32 vcc, 1, v22
	s_and_saveexec_b64 s[30:31], vcc
	s_cbranch_execz .LBB29_795
; %bb.797:                              ;   in Loop: Header=BB29_796 Depth=1
	v_mul_lo_u32 v22, s29, v16
	v_mul_lo_u32 v23, s28, v17
	v_mad_u64_u32 v[16:17], s[16:17], s28, v16, 0
	s_add_u32 s16, 0x402, s36
	v_add3_u32 v17, v17, v23, v22
	s_addc_u32 s17, 0, 0
	v_add_co_u32_e32 v22, vcc, s16, v7
	s_cmp_lg_u64 vcc, 0
	v_readfirstlane_b32 vcc_lo, v22
	s_addc_u32 s16, s17, 1
	s_mul_hi_u32 vcc_hi, vcc_lo, 0x80000001
	s_mul_i32 s17, s16, 0x80000001
	s_sub_i32 vcc_hi, vcc_hi, vcc_lo
	s_add_i32 vcc_hi, vcc_hi, s17
	s_mul_i32 s38, vcc_lo, 0x80000001
	s_mul_hi_u32 s17, vcc_lo, vcc_hi
	s_mul_i32 s37, vcc_lo, vcc_hi
	s_mul_hi_u32 vcc_lo, vcc_lo, s38
	s_add_u32 vcc_lo, vcc_lo, s37
	s_addc_u32 s17, 0, s17
	s_mul_hi_u32 s39, s16, s38
	s_mul_i32 s38, s16, s38
	s_add_u32 vcc_lo, vcc_lo, s38
	s_mul_hi_u32 s37, s16, vcc_hi
	s_addc_u32 s17, s17, s39
	s_addc_u32 vcc_lo, s37, 0
	s_mul_i32 vcc_hi, s16, vcc_hi
	s_add_u32 s17, s17, vcc_hi
	s_addc_u32 s37, 0, vcc_lo
	v_add_co_u32_e32 v24, vcc, s17, v22
	s_cmp_lg_u64 vcc, 0
	s_addc_u32 s37, s16, s37
	v_mad_u64_u32 v[22:23], s[16:17], v16, s37, 0
	v_mul_hi_u32 v25, v16, v24
	v_add_co_u32_e32 v26, vcc, v25, v22
	v_addc_co_u32_e32 v27, vcc, 0, v23, vcc
	v_mad_u64_u32 v[24:25], s[16:17], v17, v24, 0
	v_add_co_u32_e32 v24, vcc, v26, v24
	v_mad_u64_u32 v[22:23], s[16:17], v17, s37, 0
	v_addc_co_u32_e32 v24, vcc, v27, v25, vcc
	v_addc_co_u32_e32 v23, vcc, 0, v23, vcc
	v_add_co_u32_e32 v22, vcc, v24, v22
	v_addc_co_u32_e32 v25, vcc, 0, v23, vcc
	v_mad_u64_u32 v[22:23], s[16:17], v22, s34, 0
	v_mov_b32_e32 v24, v23
	v_mad_u64_u32 v[24:25], s[16:17], v25, s34, v[24:25]
	v_sub_co_u32_e32 v16, vcc, v16, v22
	v_subb_co_u32_e32 v17, vcc, v17, v24, vcc
	v_subrev_co_u32_e32 v22, vcc, s34, v16
	v_subbrev_co_u32_e32 v23, vcc, 0, v17, vcc
	v_subrev_co_u32_e32 v24, vcc, s34, v22
	v_subbrev_co_u32_e32 v25, vcc, 0, v23, vcc
	v_cmp_lt_u32_e32 vcc, s35, v22
	v_cndmask_b32_e64 v26, 0, -1, vcc
	v_cmp_eq_u32_e32 vcc, 0, v23
	v_cndmask_b32_e32 v26, -1, v26, vcc
	v_cmp_ne_u32_e32 vcc, 0, v26
	v_cmp_lt_u32_e64 s[16:17], s35, v16
	v_cndmask_b32_e32 v23, v23, v25, vcc
	v_cndmask_b32_e64 v25, 0, -1, s[16:17]
	v_cmp_eq_u32_e64 s[16:17], 0, v17
	v_cndmask_b32_e64 v25, -1, v25, s[16:17]
	v_cmp_ne_u32_e64 s[16:17], 0, v25
	v_cndmask_b32_e32 v22, v22, v24, vcc
	v_cndmask_b32_e64 v17, v17, v23, s[16:17]
	v_cndmask_b32_e64 v16, v16, v22, s[16:17]
	s_branch .LBB29_795
.LBB29_798:
	s_or_b64 exec, exec, s[20:21]
	s_movk_i32 s14, 0x401
	s_add_u32 s14, 0x402, s14
	v_mov_b32_e32 v6, 0xfffff800
	s_addc_u32 s15, 0, 0
	v_add_co_u32_e32 v6, vcc, s14, v6
	s_cmp_lg_u64 vcc, 0
	v_readfirstlane_b32 s20, v6
	s_addc_u32 s14, s15, 1
	s_mul_hi_u32 s21, s20, 0x80000001
	s_mul_i32 s15, s14, 0x80000001
	s_sub_i32 s21, s21, s20
	s_add_i32 s21, s21, s15
	s_mul_i32 s23, s20, 0x80000001
	s_mul_hi_u32 s15, s20, s21
	s_mul_i32 s22, s20, s21
	s_mul_hi_u32 s20, s20, s23
	s_add_u32 s20, s20, s22
	s_addc_u32 s15, 0, s15
	s_mul_hi_u32 s24, s14, s23
	s_mul_i32 s23, s14, s23
	s_add_u32 s20, s20, s23
	s_mul_hi_u32 s22, s14, s21
	s_addc_u32 s15, s15, s24
	s_addc_u32 s20, s22, 0
	s_mul_i32 s21, s14, s21
	s_add_u32 s15, s15, s21
	s_addc_u32 s20, 0, s20
	v_add_co_u32_e32 v6, vcc, s15, v6
	s_cmp_lg_u64 vcc, 0
	s_addc_u32 s20, s14, s20
	v_mad_u64_u32 v[22:23], s[14:15], v24, s20, 0
	v_mul_hi_u32 v30, v24, v6
	v_add_co_u32_e32 v30, vcc, v30, v22
	v_addc_co_u32_e32 v34, vcc, 0, v23, vcc
	v_mad_u64_u32 v[32:33], s[14:15], v25, v6, 0
	v_add_co_u32_e32 v6, vcc, v30, v32
	v_mad_u64_u32 v[22:23], s[14:15], v25, s20, 0
	v_addc_co_u32_e32 v6, vcc, v34, v33, vcc
	v_addc_co_u32_e32 v23, vcc, 0, v23, vcc
	v_add_co_u32_e32 v6, vcc, v6, v22
	s_brev_b32 s20, -2
	v_addc_co_u32_e32 v30, vcc, 0, v23, vcc
	v_mad_u64_u32 v[22:23], s[14:15], v6, s20, 0
	v_mov_b32_e32 v6, v23
	v_mad_u64_u32 v[32:33], s[14:15], v30, s20, v[6:7]
	v_sub_co_u32_e32 v6, vcc, v24, v22
	v_subb_co_u32_e32 v22, vcc, v25, v32, vcc
	v_subrev_co_u32_e32 v23, vcc, 0x7fffffff, v6
	v_subbrev_co_u32_e32 v24, vcc, 0, v22, vcc
	s_mov_b32 s14, 0x7ffffffe
	v_cmp_lt_u32_e32 vcc, s14, v23
	v_cndmask_b32_e64 v25, 0, -1, vcc
	v_cmp_eq_u32_e32 vcc, 0, v24
	v_cndmask_b32_e32 v24, -1, v25, vcc
	v_add_u32_e32 v25, 0x80000001, v23
	v_cmp_ne_u32_e32 vcc, 0, v24
	v_cndmask_b32_e32 v23, v23, v25, vcc
	v_cmp_lt_u32_e32 vcc, s14, v6
	v_cndmask_b32_e64 v24, 0, -1, vcc
	v_cmp_eq_u32_e32 vcc, 0, v22
	v_cndmask_b32_e32 v22, -1, v24, vcc
	v_cmp_ne_u32_e32 vcc, 0, v22
	v_cndmask_b32_e32 v23, v6, v23, vcc
.LBB29_799:
	s_or_b64 exec, exec, s[18:19]
	s_movk_i32 s18, 0x1388
	v_mov_b32_e32 v22, 0
	s_mov_b32 s19, 0xbc8f1391
	s_mov_b32 s20, 0xbc8f
	s_brev_b32 s21, 12
	s_mov_b32 s22, 0xf800000
	v_mov_b32_e32 v6, 0x260
.LBB29_800:                             ; =>This Inner Loop Header: Depth=1
	v_mul_hi_u32 v24, v23, s19
	v_lshrrev_b32_e32 v24, 15, v24
	v_mul_u32_u24_e32 v30, 0xadc8, v24
	v_sub_u32_e32 v23, v23, v30
	v_mul_u32_u24_e32 v24, 0xd47, v24
	v_mul_lo_u32 v23, v23, s20
	v_xor_b32_e32 v30, 0x7fffffff, v24
	v_sub_u32_e32 v32, 0, v24
	v_cmp_lt_u32_e32 vcc, v23, v24
	v_cndmask_b32_e32 v24, v32, v30, vcc
	v_add_u32_e32 v23, v24, v23
	v_mul_hi_u32 v30, v23, s19
	v_lshrrev_b32_e32 v30, 15, v30
	v_mul_u32_u24_e32 v32, 0xadc8, v30
	v_add_u32_e32 v24, -1, v23
	v_sub_u32_e32 v23, v23, v32
	v_mul_u32_u24_e32 v30, 0xd47, v30
	v_mul_lo_u32 v23, v23, s20
	v_xor_b32_e32 v32, 0x7fffffff, v30
	v_sub_u32_e32 v33, 0, v30
	v_cmp_lt_u32_e32 vcc, v23, v30
	v_cndmask_b32_e32 v30, v33, v32, vcc
	v_add_u32_e32 v23, v30, v23
	v_mul_hi_u32 v32, v23, s19
	v_add_u32_e32 v30, -1, v23
	v_lshrrev_b32_e32 v32, 15, v32
	v_cvt_f32_u32_e32 v30, v30
	v_mul_u32_u24_e32 v33, 0xadc8, v32
	v_cvt_f32_u32_e32 v24, v24
	v_sub_u32_e32 v23, v23, v33
	v_mul_u32_u24_e32 v32, 0xd47, v32
	v_mul_lo_u32 v23, v23, s20
	v_xor_b32_e32 v33, 0x7fffffff, v32
	v_sub_u32_e32 v34, 0, v32
	v_cmp_lt_u32_e32 vcc, v23, v32
	v_fma_f32 v30, v30, s21, 0
	v_cndmask_b32_e32 v32, v34, v33, vcc
	v_fma_f32 v24, v24, s21, 0
	v_mul_f32_e32 v30, v30, v30
	v_add_u32_e32 v23, v32, v23
	v_fmac_f32_e32 v30, v24, v24
	v_mul_hi_u32 v32, v23, s19
	v_mul_f32_e32 v33, 0x4f800000, v30
	v_lshrrev_b32_e32 v32, 15, v32
	v_cmp_gt_f32_e32 vcc, s22, v30
	v_cndmask_b32_e32 v30, v30, v33, vcc
	v_mul_u32_u24_e32 v33, 0xadc8, v32
	v_add_u32_e32 v24, -1, v23
	v_sqrt_f32_e32 v34, v30
	v_sub_u32_e32 v23, v23, v33
	v_mul_u32_u24_e32 v32, 0xd47, v32
	v_mul_lo_u32 v23, v23, s20
	v_xor_b32_e32 v33, 0x7fffffff, v32
	v_sub_u32_e32 v35, 0, v32
	v_cmp_lt_u32_e64 s[14:15], v23, v32
	v_cndmask_b32_e64 v32, v35, v33, s[14:15]
	v_add_u32_e32 v23, v32, v23
	v_add_u32_e32 v32, -1, v34
	v_add_u32_e32 v33, 1, v34
	v_add_u32_e32 v35, -1, v23
	v_fma_f32 v36, -v32, v34, v30
	v_fma_f32 v37, -v33, v34, v30
	v_cvt_f32_u32_e32 v35, v35
	v_cmp_ge_f32_e64 s[14:15], 0, v36
	v_cvt_f32_u32_e32 v24, v24
	v_cndmask_b32_e64 v32, v34, v32, s[14:15]
	v_cmp_lt_f32_e64 s[14:15], 0, v37
	v_cndmask_b32_e64 v32, v32, v33, s[14:15]
	v_mul_f32_e32 v33, 0x37800000, v32
	v_cndmask_b32_e32 v32, v32, v33, vcc
	v_fma_f32 v33, v35, s21, 0
	v_cmp_class_f32_e32 vcc, v30, v6
	v_fma_f32 v24, v24, s21, 0
	v_cndmask_b32_e32 v30, v32, v30, vcc
	v_mul_f32_e32 v32, v33, v33
	v_add_f32_e32 v25, 1.0, v22
	v_cmp_nge_f32_e32 vcc, 1.0, v30
	v_fmac_f32_e32 v32, v24, v24
	v_cndmask_b32_e32 v22, v25, v22, vcc
	v_mul_f32_e32 v24, 0x4f800000, v32
	v_cmp_gt_f32_e32 vcc, s22, v32
	v_cndmask_b32_e32 v24, v32, v24, vcc
	v_sqrt_f32_e32 v30, v24
	s_add_i32 s18, s18, -2
	v_add_f32_e32 v25, 1.0, v22
	s_cmp_lg_u32 s18, 0
	v_add_u32_e32 v32, -1, v30
	v_add_u32_e32 v33, 1, v30
	v_fma_f32 v34, -v32, v30, v24
	v_fma_f32 v35, -v33, v30, v24
	v_cmp_ge_f32_e64 s[14:15], 0, v34
	v_cndmask_b32_e64 v30, v30, v32, s[14:15]
	v_cmp_lt_f32_e64 s[14:15], 0, v35
	v_cndmask_b32_e64 v30, v30, v33, s[14:15]
	v_mul_f32_e32 v32, 0x37800000, v30
	v_cndmask_b32_e32 v30, v30, v32, vcc
	v_cmp_class_f32_e32 vcc, v24, v6
	v_cndmask_b32_e32 v24, v30, v24, vcc
	v_cmp_nge_f32_e32 vcc, 1.0, v24
	v_cndmask_b32_e32 v22, v25, v22, vcc
	s_cbranch_scc1 .LBB29_800
; %bb.801:
	v_mul_f32_e32 v6, 4.0, v22
	s_mov_b32 s18, 0x459c4000
	v_div_scale_f32 v22, s[14:15], s18, s18, v6
	v_rcp_f32_e32 v23, v22
	v_fma_f32 v24, -v22, v23, 1.0
	v_fmac_f32_e32 v23, v24, v23
	v_div_scale_f32 v24, vcc, v6, s18, v6
	v_mul_f32_e32 v25, v24, v23
	v_fma_f32 v30, -v22, v25, v24
	v_fmac_f32_e32 v25, v30, v23
	v_fma_f32 v22, -v22, v25, v24
	v_div_fmas_f32 v22, v22, v23, v25
	v_div_fixup_f32 v6, v22, s18, v6
.LBB29_802:
	s_or_b64 exec, exec, s[16:17]
	v_add_u32_e32 v22, 0x280, v27
	v_cmp_lt_u32_e64 s[14:15], v22, v28
	s_and_saveexec_b64 s[18:19], s[14:15]
	s_cbranch_execz .LBB29_832
; %bb.803:
	v_add_u32_e32 v7, v29, v22
	s_movk_i32 s16, 0x1388
	v_mul_lo_u32 v22, v7, s16
	v_cmp_ne_u32_e32 vcc, 0, v22
	v_mov_b32_e32 v23, 1
	s_and_saveexec_b64 s[20:21], vcc
	s_cbranch_execz .LBB29_829
; %bb.804:
	v_mov_b32_e32 v24, 1
	v_mov_b32_e32 v23, 0
	s_mov_b64 s[24:25], 0xbc8f
	s_mov_b64 s[22:23], 0
	v_mov_b32_e32 v25, 0
	s_brev_b32 s28, -2
	s_mov_b32 s29, 0x7ffffffe
	v_mov_b32_e32 v7, 0xfffff800
	s_movk_i32 s30, 0x401
	s_branch .LBB29_806
.LBB29_805:                             ;   in Loop: Header=BB29_806 Depth=1
	s_or_b64 exec, exec, s[26:27]
	s_mul_i32 s16, s24, s25
	s_mul_hi_u32 s17, s24, s24
	s_add_i32 s17, s17, s16
	s_add_i32 s16, s17, s16
	s_mul_i32 s17, s24, s24
	s_add_u32 s24, 0x402, s30
	s_addc_u32 s25, 0, 0
	v_add_co_u32_e32 v30, vcc, s24, v7
	s_cmp_lg_u64 vcc, 0
	v_readfirstlane_b32 s26, v30
	s_addc_u32 s24, s25, 1
	s_mul_hi_u32 s27, s26, 0x80000001
	s_mul_i32 s25, s24, 0x80000001
	s_sub_i32 s27, s27, s26
	s_add_i32 s27, s27, s25
	s_mul_i32 vcc_hi, s26, 0x80000001
	s_mul_hi_u32 s25, s26, s27
	s_mul_i32 vcc_lo, s26, s27
	s_mul_hi_u32 s26, s26, vcc_hi
	s_add_u32 s26, s26, vcc_lo
	s_addc_u32 s25, 0, s25
	s_mul_hi_u32 s31, s24, vcc_hi
	s_mul_i32 vcc_hi, s24, vcc_hi
	s_add_u32 s26, s26, vcc_hi
	s_mul_hi_u32 vcc_lo, s24, s27
	s_addc_u32 s25, s25, s31
	s_addc_u32 s26, vcc_lo, 0
	s_mul_i32 s27, s24, s27
	s_add_u32 s25, s25, s27
	s_addc_u32 s26, 0, s26
	v_add_co_u32_e32 v30, vcc, s25, v30
	s_cmp_lg_u64 vcc, 0
	s_addc_u32 s24, s24, s26
	v_readfirstlane_b32 s27, v30
	s_mul_i32 s26, s17, s24
	s_mul_hi_u32 vcc_lo, s17, s27
	s_mul_hi_u32 s25, s17, s24
	s_add_u32 s26, vcc_lo, s26
	s_addc_u32 s25, 0, s25
	s_mul_hi_u32 vcc_hi, s16, s27
	s_mul_i32 s27, s16, s27
	s_add_u32 s26, s26, s27
	s_mul_hi_u32 vcc_lo, s16, s24
	s_addc_u32 s25, s25, vcc_hi
	s_addc_u32 s26, vcc_lo, 0
	s_mul_i32 s24, s16, s24
	s_add_u32 s24, s25, s24
	s_addc_u32 s25, 0, s26
	s_mul_hi_u32 s26, s24, 0x7fffffff
	s_mul_i32 s24, s24, 0x7fffffff
	s_mul_i32 s25, s25, 0x7fffffff
	v_mov_b32_e32 v30, s24
	s_add_i32 s26, s26, s25
	v_sub_co_u32_e32 v30, vcc, s17, v30
	s_cmp_lg_u64 vcc, 0
	s_subb_u32 s16, s16, s26
	v_subrev_co_u32_e32 v34, vcc, s28, v30
	s_cmp_lg_u64 vcc, 0
	s_subb_u32 s17, s16, 0
	v_subrev_co_u32_e32 v35, vcc, s28, v34
	s_cmp_lg_u64 vcc, 0
	s_subb_u32 s24, s17, 0
	v_readfirstlane_b32 s25, v34
	s_cmp_gt_u32 s25, 0x7ffffffe
	s_cselect_b32 s26, -1, 0
	s_cmp_eq_u32 s17, 0
	s_cselect_b32 s26, s26, -1
	s_cmp_lg_u32 s26, 0
	s_cselect_b32 s17, s24, s17
	v_readfirstlane_b32 s24, v35
	v_readfirstlane_b32 s26, v30
	s_cselect_b32 s24, s24, s25
	s_cmp_gt_u32 s26, 0x7ffffffe
	s_cselect_b32 s25, -1, 0
	s_cmp_eq_u32 s16, 0
	s_cselect_b32 s25, s25, -1
	v_lshrrev_b64 v[32:33], 1, v[22:23]
	s_cmp_lg_u32 s25, 0
	v_cmp_gt_u64_e32 vcc, 2, v[22:23]
	s_cselect_b32 s25, s17, s16
	s_cselect_b32 s24, s24, s26
	s_or_b64 s[22:23], vcc, s[22:23]
	v_pk_mov_b32 v[22:23], v[32:33], v[32:33] op_sel:[0,1]
	s_andn2_b64 exec, exec, s[22:23]
	s_cbranch_execz .LBB29_828
.LBB29_806:                             ; =>This Inner Loop Header: Depth=1
	v_and_b32_e32 v30, 1, v22
	v_cmp_eq_u32_e32 vcc, 1, v30
	s_and_saveexec_b64 s[26:27], vcc
	s_cbranch_execz .LBB29_805
; %bb.807:                              ;   in Loop: Header=BB29_806 Depth=1
	v_mul_lo_u32 v30, s25, v24
	v_mul_lo_u32 v32, s24, v25
	v_mad_u64_u32 v[24:25], s[16:17], s24, v24, 0
	s_add_u32 s16, 0x402, s30
	v_add3_u32 v25, v25, v32, v30
	s_addc_u32 s17, 0, 0
	v_add_co_u32_e32 v30, vcc, s16, v7
	s_cmp_lg_u64 vcc, 0
	v_readfirstlane_b32 vcc_lo, v30
	s_addc_u32 s16, s17, 1
	s_mul_hi_u32 vcc_hi, vcc_lo, 0x80000001
	s_mul_i32 s17, s16, 0x80000001
	s_sub_i32 vcc_hi, vcc_hi, vcc_lo
	s_add_i32 vcc_hi, vcc_hi, s17
	s_mul_i32 s34, vcc_lo, 0x80000001
	s_mul_hi_u32 s17, vcc_lo, vcc_hi
	s_mul_i32 s31, vcc_lo, vcc_hi
	s_mul_hi_u32 vcc_lo, vcc_lo, s34
	s_add_u32 vcc_lo, vcc_lo, s31
	s_addc_u32 s17, 0, s17
	s_mul_hi_u32 s35, s16, s34
	s_mul_i32 s34, s16, s34
	s_add_u32 vcc_lo, vcc_lo, s34
	s_mul_hi_u32 s31, s16, vcc_hi
	s_addc_u32 s17, s17, s35
	s_addc_u32 vcc_lo, s31, 0
	s_mul_i32 vcc_hi, s16, vcc_hi
	s_add_u32 s17, s17, vcc_hi
	s_addc_u32 s31, 0, vcc_lo
	v_add_co_u32_e32 v30, vcc, s17, v30
	s_cmp_lg_u64 vcc, 0
	s_addc_u32 s31, s16, s31
	v_mad_u64_u32 v[32:33], s[16:17], v24, s31, 0
	v_mul_hi_u32 v34, v24, v30
	v_add_co_u32_e32 v36, vcc, v34, v32
	v_addc_co_u32_e32 v37, vcc, 0, v33, vcc
	v_mad_u64_u32 v[34:35], s[16:17], v25, v30, 0
	v_add_co_u32_e32 v30, vcc, v36, v34
	v_mad_u64_u32 v[32:33], s[16:17], v25, s31, 0
	v_addc_co_u32_e32 v30, vcc, v37, v35, vcc
	v_addc_co_u32_e32 v33, vcc, 0, v33, vcc
	v_add_co_u32_e32 v30, vcc, v30, v32
	v_addc_co_u32_e32 v34, vcc, 0, v33, vcc
	v_mad_u64_u32 v[32:33], s[16:17], v30, s28, 0
	v_mov_b32_e32 v30, v33
	v_mad_u64_u32 v[34:35], s[16:17], v34, s28, v[30:31]
	v_sub_co_u32_e32 v24, vcc, v24, v32
	v_subb_co_u32_e32 v25, vcc, v25, v34, vcc
	v_subrev_co_u32_e32 v30, vcc, s28, v24
	v_subbrev_co_u32_e32 v32, vcc, 0, v25, vcc
	v_subrev_co_u32_e32 v33, vcc, s28, v30
	v_subbrev_co_u32_e32 v34, vcc, 0, v32, vcc
	v_cmp_lt_u32_e32 vcc, s29, v30
	v_cndmask_b32_e64 v35, 0, -1, vcc
	v_cmp_eq_u32_e32 vcc, 0, v32
	v_cndmask_b32_e32 v35, -1, v35, vcc
	v_cmp_ne_u32_e32 vcc, 0, v35
	v_cmp_lt_u32_e64 s[16:17], s29, v24
	v_cndmask_b32_e32 v32, v32, v34, vcc
	v_cndmask_b32_e64 v34, 0, -1, s[16:17]
	v_cmp_eq_u32_e64 s[16:17], 0, v25
	v_cndmask_b32_e64 v34, -1, v34, s[16:17]
	v_cmp_ne_u32_e64 s[16:17], 0, v34
	v_cndmask_b32_e32 v30, v30, v33, vcc
	v_cndmask_b32_e64 v25, v25, v32, s[16:17]
	v_cndmask_b32_e64 v24, v24, v30, s[16:17]
	s_branch .LBB29_805
.LBB29_808:
	s_or_b64 exec, exec, s[20:21]
	s_movk_i32 s14, 0x401
	s_add_u32 s14, 0x402, s14
	v_mov_b32_e32 v4, 0xfffff800
	s_addc_u32 s15, 0, 0
	v_add_co_u32_e32 v4, vcc, s14, v4
	s_cmp_lg_u64 vcc, 0
	v_readfirstlane_b32 s20, v4
	s_addc_u32 s14, s15, 1
	s_mul_hi_u32 s21, s20, 0x80000001
	s_mul_i32 s15, s14, 0x80000001
	s_sub_i32 s21, s21, s20
	s_add_i32 s21, s21, s15
	s_mul_i32 s23, s20, 0x80000001
	s_mul_hi_u32 s15, s20, s21
	s_mul_i32 s22, s20, s21
	s_mul_hi_u32 s20, s20, s23
	s_add_u32 s20, s20, s22
	s_addc_u32 s15, 0, s15
	s_mul_hi_u32 s24, s14, s23
	s_mul_i32 s23, s14, s23
	s_add_u32 s20, s20, s23
	s_mul_hi_u32 s22, s14, s21
	s_addc_u32 s15, s15, s24
	s_addc_u32 s20, s22, 0
	s_mul_i32 s21, s14, s21
	s_add_u32 s15, s15, s21
	s_addc_u32 s20, 0, s20
	v_add_co_u32_e32 v16, vcc, s15, v4
	s_cmp_lg_u64 vcc, 0
	s_addc_u32 s20, s14, s20
	v_mad_u64_u32 v[4:5], s[14:15], v6, s20, 0
	v_mul_hi_u32 v17, v6, v16
	v_add_co_u32_e32 v18, vcc, v17, v4
	v_addc_co_u32_e32 v19, vcc, 0, v5, vcc
	v_mad_u64_u32 v[16:17], s[14:15], v7, v16, 0
	v_add_co_u32_e32 v16, vcc, v18, v16
	v_mad_u64_u32 v[4:5], s[14:15], v7, s20, 0
	v_addc_co_u32_e32 v16, vcc, v19, v17, vcc
	v_addc_co_u32_e32 v5, vcc, 0, v5, vcc
	v_add_co_u32_e32 v4, vcc, v16, v4
	s_brev_b32 s20, -2
	v_addc_co_u32_e32 v17, vcc, 0, v5, vcc
	v_mad_u64_u32 v[4:5], s[14:15], v4, s20, 0
	v_mov_b32_e32 v16, v5
	v_mad_u64_u32 v[16:17], s[14:15], v17, s20, v[16:17]
	v_sub_co_u32_e32 v4, vcc, v6, v4
	v_subb_co_u32_e32 v5, vcc, v7, v16, vcc
	v_subrev_co_u32_e32 v6, vcc, 0x7fffffff, v4
	v_subbrev_co_u32_e32 v7, vcc, 0, v5, vcc
	s_mov_b32 s14, 0x7ffffffe
	v_cmp_lt_u32_e32 vcc, s14, v6
	v_cndmask_b32_e64 v16, 0, -1, vcc
	v_cmp_eq_u32_e32 vcc, 0, v7
	v_cndmask_b32_e32 v7, -1, v16, vcc
	v_add_u32_e32 v16, 0x80000001, v6
	v_cmp_ne_u32_e32 vcc, 0, v7
	v_cndmask_b32_e32 v6, v6, v16, vcc
	v_cmp_lt_u32_e32 vcc, s14, v4
	v_cndmask_b32_e64 v7, 0, -1, vcc
	v_cmp_eq_u32_e32 vcc, 0, v5
	v_cndmask_b32_e32 v5, -1, v7, vcc
	v_cmp_ne_u32_e32 vcc, 0, v5
	v_cndmask_b32_e32 v6, v4, v6, vcc
.LBB29_809:
	s_or_b64 exec, exec, s[18:19]
	s_movk_i32 s18, 0x1388
	v_mov_b32_e32 v5, 0
	s_mov_b32 s19, 0xbc8f1391
	s_mov_b32 s20, 0xbc8f
	s_brev_b32 s21, 12
	s_mov_b32 s22, 0xf800000
	v_mov_b32_e32 v4, 0x260
.LBB29_810:                             ; =>This Inner Loop Header: Depth=1
	v_mul_hi_u32 v7, v6, s19
	v_lshrrev_b32_e32 v7, 15, v7
	v_mul_u32_u24_e32 v17, 0xadc8, v7
	v_sub_u32_e32 v6, v6, v17
	v_mul_u32_u24_e32 v7, 0xd47, v7
	v_mul_lo_u32 v6, v6, s20
	v_xor_b32_e32 v17, 0x7fffffff, v7
	v_sub_u32_e32 v18, 0, v7
	v_cmp_lt_u32_e32 vcc, v6, v7
	v_cndmask_b32_e32 v7, v18, v17, vcc
	v_add_u32_e32 v6, v7, v6
	v_mul_hi_u32 v17, v6, s19
	v_lshrrev_b32_e32 v17, 15, v17
	v_mul_u32_u24_e32 v18, 0xadc8, v17
	v_add_u32_e32 v7, -1, v6
	v_sub_u32_e32 v6, v6, v18
	v_mul_u32_u24_e32 v17, 0xd47, v17
	v_mul_lo_u32 v6, v6, s20
	v_xor_b32_e32 v18, 0x7fffffff, v17
	v_sub_u32_e32 v19, 0, v17
	v_cmp_lt_u32_e32 vcc, v6, v17
	v_cndmask_b32_e32 v17, v19, v18, vcc
	v_add_u32_e32 v6, v17, v6
	v_mul_hi_u32 v18, v6, s19
	v_add_u32_e32 v17, -1, v6
	v_lshrrev_b32_e32 v18, 15, v18
	v_cvt_f32_u32_e32 v17, v17
	v_mul_u32_u24_e32 v19, 0xadc8, v18
	v_cvt_f32_u32_e32 v7, v7
	v_sub_u32_e32 v6, v6, v19
	v_mul_u32_u24_e32 v18, 0xd47, v18
	v_mul_lo_u32 v6, v6, s20
	v_xor_b32_e32 v19, 0x7fffffff, v18
	v_sub_u32_e32 v20, 0, v18
	v_cmp_lt_u32_e32 vcc, v6, v18
	v_fma_f32 v17, v17, s21, 0
	v_cndmask_b32_e32 v18, v20, v19, vcc
	v_fma_f32 v7, v7, s21, 0
	v_mul_f32_e32 v17, v17, v17
	v_add_u32_e32 v6, v18, v6
	v_fmac_f32_e32 v17, v7, v7
	v_mul_hi_u32 v18, v6, s19
	v_mul_f32_e32 v19, 0x4f800000, v17
	v_lshrrev_b32_e32 v18, 15, v18
	v_cmp_gt_f32_e32 vcc, s22, v17
	v_cndmask_b32_e32 v17, v17, v19, vcc
	v_mul_u32_u24_e32 v19, 0xadc8, v18
	v_add_u32_e32 v7, -1, v6
	v_sqrt_f32_e32 v20, v17
	v_sub_u32_e32 v6, v6, v19
	v_mul_u32_u24_e32 v18, 0xd47, v18
	v_mul_lo_u32 v6, v6, s20
	v_xor_b32_e32 v19, 0x7fffffff, v18
	v_sub_u32_e32 v21, 0, v18
	v_cmp_lt_u32_e64 s[14:15], v6, v18
	v_cndmask_b32_e64 v18, v21, v19, s[14:15]
	v_add_u32_e32 v6, v18, v6
	v_add_u32_e32 v18, -1, v20
	v_add_u32_e32 v19, 1, v20
	v_add_u32_e32 v21, -1, v6
	v_fma_f32 v22, -v18, v20, v17
	v_fma_f32 v23, -v19, v20, v17
	v_cvt_f32_u32_e32 v21, v21
	v_cmp_ge_f32_e64 s[14:15], 0, v22
	v_cvt_f32_u32_e32 v7, v7
	v_cndmask_b32_e64 v18, v20, v18, s[14:15]
	v_cmp_lt_f32_e64 s[14:15], 0, v23
	v_cndmask_b32_e64 v18, v18, v19, s[14:15]
	v_mul_f32_e32 v19, 0x37800000, v18
	v_cndmask_b32_e32 v18, v18, v19, vcc
	v_fma_f32 v19, v21, s21, 0
	v_cmp_class_f32_e32 vcc, v17, v4
	v_fma_f32 v7, v7, s21, 0
	v_cndmask_b32_e32 v17, v18, v17, vcc
	v_mul_f32_e32 v18, v19, v19
	v_add_f32_e32 v16, 1.0, v5
	v_cmp_nge_f32_e32 vcc, 1.0, v17
	v_fmac_f32_e32 v18, v7, v7
	v_cndmask_b32_e32 v5, v16, v5, vcc
	v_mul_f32_e32 v7, 0x4f800000, v18
	v_cmp_gt_f32_e32 vcc, s22, v18
	v_cndmask_b32_e32 v7, v18, v7, vcc
	v_sqrt_f32_e32 v17, v7
	s_add_i32 s18, s18, -2
	v_add_f32_e32 v16, 1.0, v5
	s_cmp_lg_u32 s18, 0
	v_add_u32_e32 v18, -1, v17
	v_add_u32_e32 v19, 1, v17
	v_fma_f32 v20, -v18, v17, v7
	v_fma_f32 v21, -v19, v17, v7
	v_cmp_ge_f32_e64 s[14:15], 0, v20
	v_cndmask_b32_e64 v17, v17, v18, s[14:15]
	v_cmp_lt_f32_e64 s[14:15], 0, v21
	v_cndmask_b32_e64 v17, v17, v19, s[14:15]
	v_mul_f32_e32 v18, 0x37800000, v17
	v_cndmask_b32_e32 v17, v17, v18, vcc
	v_cmp_class_f32_e32 vcc, v7, v4
	v_cndmask_b32_e32 v7, v17, v7, vcc
	v_cmp_nge_f32_e32 vcc, 1.0, v7
	v_cndmask_b32_e32 v5, v16, v5, vcc
	s_cbranch_scc1 .LBB29_810
; %bb.811:
	v_mul_f32_e32 v4, 4.0, v5
	s_mov_b32 s18, 0x459c4000
	v_div_scale_f32 v5, s[14:15], s18, s18, v4
	v_rcp_f32_e32 v6, v5
	v_fma_f32 v7, -v5, v6, 1.0
	v_fmac_f32_e32 v6, v7, v6
	v_div_scale_f32 v7, vcc, v4, s18, v4
	v_mul_f32_e32 v16, v7, v6
	v_fma_f32 v17, -v5, v16, v7
	v_fmac_f32_e32 v16, v17, v6
	v_fma_f32 v5, -v5, v16, v7
	v_div_fmas_f32 v5, v5, v6, v16
	v_div_fixup_f32 v16, v5, s18, v4
.LBB29_812:
	s_or_b64 exec, exec, s[16:17]
	v_add_u32_e32 v4, 0x280, v11
	v_cmp_lt_u32_e64 s[14:15], v4, v8
                                        ; implicit-def: $vgpr17
	s_and_saveexec_b64 s[18:19], s[14:15]
	s_cbranch_execz .LBB29_842
; %bb.813:
	v_add_u32_e32 v4, v9, v4
	s_movk_i32 s16, 0x1388
	v_mul_lo_u32 v4, v4, s16
	v_cmp_ne_u32_e32 vcc, 0, v4
	v_mov_b32_e32 v6, 1
	s_and_saveexec_b64 s[20:21], vcc
	s_cbranch_execz .LBB29_839
; %bb.814:
	v_mov_b32_e32 v6, 1
	v_mov_b32_e32 v5, 0
	s_mov_b64 s[24:25], 0xbc8f
	s_mov_b64 s[22:23], 0
	v_mov_b32_e32 v7, 0
	s_brev_b32 s28, -2
	s_mov_b32 s29, 0x7ffffffe
	v_mov_b32_e32 v17, 0xfffff800
	s_movk_i32 s30, 0x401
	s_branch .LBB29_816
.LBB29_815:                             ;   in Loop: Header=BB29_816 Depth=1
	s_or_b64 exec, exec, s[26:27]
	s_mul_i32 s16, s24, s25
	s_mul_hi_u32 s17, s24, s24
	s_add_i32 s17, s17, s16
	s_add_i32 s16, s17, s16
	s_mul_i32 s17, s24, s24
	s_add_u32 s24, 0x402, s30
	s_addc_u32 s25, 0, 0
	v_add_co_u32_e32 v20, vcc, s24, v17
	s_cmp_lg_u64 vcc, 0
	v_readfirstlane_b32 s26, v20
	s_addc_u32 s24, s25, 1
	s_mul_hi_u32 s27, s26, 0x80000001
	s_mul_i32 s25, s24, 0x80000001
	s_sub_i32 s27, s27, s26
	s_add_i32 s27, s27, s25
	s_mul_i32 vcc_hi, s26, 0x80000001
	s_mul_hi_u32 s25, s26, s27
	s_mul_i32 vcc_lo, s26, s27
	s_mul_hi_u32 s26, s26, vcc_hi
	s_add_u32 s26, s26, vcc_lo
	s_addc_u32 s25, 0, s25
	s_mul_hi_u32 s31, s24, vcc_hi
	s_mul_i32 vcc_hi, s24, vcc_hi
	s_add_u32 s26, s26, vcc_hi
	s_mul_hi_u32 vcc_lo, s24, s27
	s_addc_u32 s25, s25, s31
	s_addc_u32 s26, vcc_lo, 0
	s_mul_i32 s27, s24, s27
	s_add_u32 s25, s25, s27
	s_addc_u32 s26, 0, s26
	v_add_co_u32_e32 v20, vcc, s25, v20
	s_cmp_lg_u64 vcc, 0
	s_addc_u32 s24, s24, s26
	v_readfirstlane_b32 s27, v20
	s_mul_i32 s26, s17, s24
	s_mul_hi_u32 vcc_lo, s17, s27
	s_mul_hi_u32 s25, s17, s24
	s_add_u32 s26, vcc_lo, s26
	s_addc_u32 s25, 0, s25
	s_mul_hi_u32 vcc_hi, s16, s27
	s_mul_i32 s27, s16, s27
	s_add_u32 s26, s26, s27
	s_mul_hi_u32 vcc_lo, s16, s24
	s_addc_u32 s25, s25, vcc_hi
	s_addc_u32 s26, vcc_lo, 0
	s_mul_i32 s24, s16, s24
	s_add_u32 s24, s25, s24
	s_addc_u32 s25, 0, s26
	s_mul_hi_u32 s26, s24, 0x7fffffff
	s_mul_i32 s24, s24, 0x7fffffff
	s_mul_i32 s25, s25, 0x7fffffff
	v_mov_b32_e32 v20, s24
	s_add_i32 s26, s26, s25
	v_sub_co_u32_e32 v20, vcc, s17, v20
	s_cmp_lg_u64 vcc, 0
	s_subb_u32 s16, s16, s26
	v_subrev_co_u32_e32 v21, vcc, s28, v20
	s_cmp_lg_u64 vcc, 0
	s_subb_u32 s17, s16, 0
	v_subrev_co_u32_e32 v22, vcc, s28, v21
	s_cmp_lg_u64 vcc, 0
	s_subb_u32 s24, s17, 0
	v_readfirstlane_b32 s25, v21
	s_cmp_gt_u32 s25, 0x7ffffffe
	s_cselect_b32 s26, -1, 0
	s_cmp_eq_u32 s17, 0
	s_cselect_b32 s26, s26, -1
	s_cmp_lg_u32 s26, 0
	s_cselect_b32 s17, s24, s17
	v_readfirstlane_b32 s24, v22
	v_readfirstlane_b32 s26, v20
	s_cselect_b32 s24, s24, s25
	s_cmp_gt_u32 s26, 0x7ffffffe
	s_cselect_b32 s25, -1, 0
	s_cmp_eq_u32 s16, 0
	s_cselect_b32 s25, s25, -1
	v_lshrrev_b64 v[18:19], 1, v[4:5]
	s_cmp_lg_u32 s25, 0
	v_cmp_gt_u64_e32 vcc, 2, v[4:5]
	s_cselect_b32 s25, s17, s16
	s_cselect_b32 s24, s24, s26
	s_or_b64 s[22:23], vcc, s[22:23]
	v_pk_mov_b32 v[4:5], v[18:19], v[18:19] op_sel:[0,1]
	s_andn2_b64 exec, exec, s[22:23]
	s_cbranch_execz .LBB29_838
.LBB29_816:                             ; =>This Inner Loop Header: Depth=1
	v_and_b32_e32 v18, 1, v4
	v_cmp_eq_u32_e32 vcc, 1, v18
	s_and_saveexec_b64 s[26:27], vcc
	s_cbranch_execz .LBB29_815
; %bb.817:                              ;   in Loop: Header=BB29_816 Depth=1
	v_mul_lo_u32 v18, s25, v6
	v_mul_lo_u32 v19, s24, v7
	v_mad_u64_u32 v[6:7], s[16:17], s24, v6, 0
	s_add_u32 s16, 0x402, s30
	v_add3_u32 v7, v7, v19, v18
	s_addc_u32 s17, 0, 0
	v_add_co_u32_e32 v18, vcc, s16, v17
	s_cmp_lg_u64 vcc, 0
	v_readfirstlane_b32 vcc_lo, v18
	s_addc_u32 s16, s17, 1
	s_mul_hi_u32 vcc_hi, vcc_lo, 0x80000001
	s_mul_i32 s17, s16, 0x80000001
	s_sub_i32 vcc_hi, vcc_hi, vcc_lo
	s_add_i32 vcc_hi, vcc_hi, s17
	s_mul_i32 s34, vcc_lo, 0x80000001
	s_mul_hi_u32 s17, vcc_lo, vcc_hi
	s_mul_i32 s31, vcc_lo, vcc_hi
	s_mul_hi_u32 vcc_lo, vcc_lo, s34
	s_add_u32 vcc_lo, vcc_lo, s31
	s_addc_u32 s17, 0, s17
	s_mul_hi_u32 s35, s16, s34
	s_mul_i32 s34, s16, s34
	s_add_u32 vcc_lo, vcc_lo, s34
	s_mul_hi_u32 s31, s16, vcc_hi
	s_addc_u32 s17, s17, s35
	s_addc_u32 vcc_lo, s31, 0
	s_mul_i32 vcc_hi, s16, vcc_hi
	s_add_u32 s17, s17, vcc_hi
	s_addc_u32 s31, 0, vcc_lo
	v_add_co_u32_e32 v20, vcc, s17, v18
	s_cmp_lg_u64 vcc, 0
	s_addc_u32 s31, s16, s31
	v_mad_u64_u32 v[18:19], s[16:17], v6, s31, 0
	v_mul_hi_u32 v21, v6, v20
	v_add_co_u32_e32 v22, vcc, v21, v18
	v_addc_co_u32_e32 v23, vcc, 0, v19, vcc
	v_mad_u64_u32 v[20:21], s[16:17], v7, v20, 0
	v_add_co_u32_e32 v20, vcc, v22, v20
	v_mad_u64_u32 v[18:19], s[16:17], v7, s31, 0
	v_addc_co_u32_e32 v20, vcc, v23, v21, vcc
	v_addc_co_u32_e32 v19, vcc, 0, v19, vcc
	v_add_co_u32_e32 v18, vcc, v20, v18
	v_addc_co_u32_e32 v21, vcc, 0, v19, vcc
	v_mad_u64_u32 v[18:19], s[16:17], v18, s28, 0
	v_mov_b32_e32 v20, v19
	v_mad_u64_u32 v[20:21], s[16:17], v21, s28, v[20:21]
	v_sub_co_u32_e32 v6, vcc, v6, v18
	v_subb_co_u32_e32 v7, vcc, v7, v20, vcc
	v_subrev_co_u32_e32 v18, vcc, s28, v6
	v_subbrev_co_u32_e32 v19, vcc, 0, v7, vcc
	v_subrev_co_u32_e32 v20, vcc, s28, v18
	v_subbrev_co_u32_e32 v21, vcc, 0, v19, vcc
	v_cmp_lt_u32_e32 vcc, s29, v18
	v_cndmask_b32_e64 v22, 0, -1, vcc
	v_cmp_eq_u32_e32 vcc, 0, v19
	v_cndmask_b32_e32 v22, -1, v22, vcc
	v_cmp_ne_u32_e32 vcc, 0, v22
	v_cmp_lt_u32_e64 s[16:17], s29, v6
	v_cndmask_b32_e32 v19, v19, v21, vcc
	v_cndmask_b32_e64 v21, 0, -1, s[16:17]
	v_cmp_eq_u32_e64 s[16:17], 0, v7
	v_cndmask_b32_e64 v21, -1, v21, s[16:17]
	v_cmp_ne_u32_e64 s[16:17], 0, v21
	v_cndmask_b32_e32 v18, v18, v20, vcc
	v_cndmask_b32_e64 v7, v7, v19, s[16:17]
	v_cndmask_b32_e64 v6, v6, v18, s[16:17]
	s_branch .LBB29_815
.LBB29_818:
	s_or_b64 exec, exec, s[26:27]
	s_movk_i32 s16, 0x401
	s_add_u32 s16, 0x402, s16
	v_mov_b32_e32 v7, 0xfffff800
	s_addc_u32 s17, 0, 0
	v_add_co_u32_e32 v7, vcc, s16, v7
	s_cmp_lg_u64 vcc, 0
	v_readfirstlane_b32 s26, v7
	s_addc_u32 s16, s17, 1
	s_mul_hi_u32 s27, s26, 0x80000001
	s_mul_i32 s17, s16, 0x80000001
	s_sub_i32 s27, s27, s26
	s_add_i32 s27, s27, s17
	s_mul_i32 s29, s26, 0x80000001
	s_mul_hi_u32 s17, s26, s27
	s_mul_i32 s28, s26, s27
	s_mul_hi_u32 s26, s26, s29
	s_add_u32 s26, s26, s28
	s_addc_u32 s17, 0, s17
	s_mul_hi_u32 vcc_lo, s16, s29
	s_mul_i32 s29, s16, s29
	s_add_u32 s26, s26, s29
	s_mul_hi_u32 s28, s16, s27
	s_addc_u32 s17, s17, vcc_lo
	s_addc_u32 s26, s28, 0
	s_mul_i32 s27, s16, s27
	s_add_u32 s17, s17, s27
	s_addc_u32 s26, 0, s26
	v_add_co_u32_e32 v7, vcc, s17, v7
	s_cmp_lg_u64 vcc, 0
	s_addc_u32 s26, s16, s26
	v_mad_u64_u32 v[14:15], s[16:17], v16, s26, 0
	v_mul_hi_u32 v22, v16, v7
	v_add_co_u32_e32 v24, vcc, v22, v14
	v_addc_co_u32_e32 v25, vcc, 0, v15, vcc
	v_mad_u64_u32 v[22:23], s[16:17], v17, v7, 0
	v_add_co_u32_e32 v7, vcc, v24, v22
	v_mad_u64_u32 v[14:15], s[16:17], v17, s26, 0
	v_addc_co_u32_e32 v7, vcc, v25, v23, vcc
	v_addc_co_u32_e32 v15, vcc, 0, v15, vcc
	v_add_co_u32_e32 v7, vcc, v7, v14
	s_brev_b32 s26, -2
	v_addc_co_u32_e32 v23, vcc, 0, v15, vcc
	v_mad_u64_u32 v[14:15], s[16:17], v7, s26, 0
	v_mov_b32_e32 v22, v15
	v_mad_u64_u32 v[22:23], s[16:17], v23, s26, v[22:23]
	v_sub_co_u32_e32 v7, vcc, v16, v14
	v_subb_co_u32_e32 v14, vcc, v17, v22, vcc
	v_subrev_co_u32_e32 v15, vcc, 0x7fffffff, v7
	v_subbrev_co_u32_e32 v16, vcc, 0, v14, vcc
	s_mov_b32 s16, 0x7ffffffe
	v_cmp_lt_u32_e32 vcc, s16, v15
	v_cndmask_b32_e64 v17, 0, -1, vcc
	v_cmp_eq_u32_e32 vcc, 0, v16
	v_cndmask_b32_e32 v16, -1, v17, vcc
	v_add_u32_e32 v17, 0x80000001, v15
	v_cmp_ne_u32_e32 vcc, 0, v16
	v_cndmask_b32_e32 v15, v15, v17, vcc
	v_cmp_lt_u32_e32 vcc, s16, v7
	v_cndmask_b32_e64 v16, 0, -1, vcc
	v_cmp_eq_u32_e32 vcc, 0, v14
	v_cndmask_b32_e32 v14, -1, v16, vcc
	v_cmp_ne_u32_e32 vcc, 0, v14
	v_cndmask_b32_e32 v15, v7, v15, vcc
.LBB29_819:
	s_or_b64 exec, exec, s[20:21]
	s_movk_i32 s20, 0x1388
	v_mov_b32_e32 v14, 0
	s_mov_b32 s21, 0xbc8f1391
	s_mov_b32 s26, 0xbc8f
	s_brev_b32 s27, 12
	s_mov_b32 s28, 0xf800000
	v_mov_b32_e32 v7, 0x260
.LBB29_820:                             ; =>This Inner Loop Header: Depth=1
	v_mul_hi_u32 v16, v15, s21
	v_lshrrev_b32_e32 v16, 15, v16
	v_mul_u32_u24_e32 v22, 0xadc8, v16
	v_sub_u32_e32 v15, v15, v22
	v_mul_u32_u24_e32 v16, 0xd47, v16
	v_mul_lo_u32 v15, v15, s26
	v_xor_b32_e32 v22, 0x7fffffff, v16
	v_sub_u32_e32 v23, 0, v16
	v_cmp_lt_u32_e32 vcc, v15, v16
	v_cndmask_b32_e32 v16, v23, v22, vcc
	v_add_u32_e32 v15, v16, v15
	v_mul_hi_u32 v22, v15, s21
	v_lshrrev_b32_e32 v22, 15, v22
	v_mul_u32_u24_e32 v23, 0xadc8, v22
	v_add_u32_e32 v16, -1, v15
	v_sub_u32_e32 v15, v15, v23
	v_mul_u32_u24_e32 v22, 0xd47, v22
	v_mul_lo_u32 v15, v15, s26
	v_xor_b32_e32 v23, 0x7fffffff, v22
	v_sub_u32_e32 v24, 0, v22
	v_cmp_lt_u32_e32 vcc, v15, v22
	v_cndmask_b32_e32 v22, v24, v23, vcc
	v_add_u32_e32 v15, v22, v15
	v_mul_hi_u32 v23, v15, s21
	v_add_u32_e32 v22, -1, v15
	v_lshrrev_b32_e32 v23, 15, v23
	v_cvt_f32_u32_e32 v22, v22
	v_mul_u32_u24_e32 v24, 0xadc8, v23
	v_cvt_f32_u32_e32 v16, v16
	v_sub_u32_e32 v15, v15, v24
	v_mul_u32_u24_e32 v23, 0xd47, v23
	v_mul_lo_u32 v15, v15, s26
	v_xor_b32_e32 v24, 0x7fffffff, v23
	v_sub_u32_e32 v25, 0, v23
	v_cmp_lt_u32_e32 vcc, v15, v23
	v_fma_f32 v22, v22, s27, 0
	v_cndmask_b32_e32 v23, v25, v24, vcc
	v_fma_f32 v16, v16, s27, 0
	v_mul_f32_e32 v22, v22, v22
	v_add_u32_e32 v15, v23, v15
	v_fmac_f32_e32 v22, v16, v16
	v_mul_hi_u32 v23, v15, s21
	v_mul_f32_e32 v24, 0x4f800000, v22
	v_lshrrev_b32_e32 v23, 15, v23
	v_cmp_gt_f32_e32 vcc, s28, v22
	v_cndmask_b32_e32 v22, v22, v24, vcc
	v_mul_u32_u24_e32 v24, 0xadc8, v23
	v_add_u32_e32 v16, -1, v15
	v_sqrt_f32_e32 v25, v22
	v_sub_u32_e32 v15, v15, v24
	v_mul_u32_u24_e32 v23, 0xd47, v23
	v_mul_lo_u32 v15, v15, s26
	v_xor_b32_e32 v24, 0x7fffffff, v23
	v_sub_u32_e32 v26, 0, v23
	v_cmp_lt_u32_e64 s[16:17], v15, v23
	v_cndmask_b32_e64 v23, v26, v24, s[16:17]
	v_add_u32_e32 v15, v23, v15
	v_add_u32_e32 v23, -1, v25
	v_add_u32_e32 v24, 1, v25
	v_add_u32_e32 v26, -1, v15
	v_fma_f32 v27, -v23, v25, v22
	v_fma_f32 v28, -v24, v25, v22
	v_cvt_f32_u32_e32 v26, v26
	v_cmp_ge_f32_e64 s[16:17], 0, v27
	v_cvt_f32_u32_e32 v16, v16
	v_cndmask_b32_e64 v23, v25, v23, s[16:17]
	v_cmp_lt_f32_e64 s[16:17], 0, v28
	v_cndmask_b32_e64 v23, v23, v24, s[16:17]
	v_mul_f32_e32 v24, 0x37800000, v23
	v_cndmask_b32_e32 v23, v23, v24, vcc
	v_fma_f32 v24, v26, s27, 0
	v_cmp_class_f32_e32 vcc, v22, v7
	v_fma_f32 v16, v16, s27, 0
	v_cndmask_b32_e32 v22, v23, v22, vcc
	v_mul_f32_e32 v23, v24, v24
	v_add_f32_e32 v17, 1.0, v14
	v_cmp_nge_f32_e32 vcc, 1.0, v22
	v_fmac_f32_e32 v23, v16, v16
	v_cndmask_b32_e32 v14, v17, v14, vcc
	v_mul_f32_e32 v16, 0x4f800000, v23
	v_cmp_gt_f32_e32 vcc, s28, v23
	v_cndmask_b32_e32 v16, v23, v16, vcc
	v_sqrt_f32_e32 v22, v16
	s_add_i32 s20, s20, -2
	v_add_f32_e32 v17, 1.0, v14
	s_cmp_lg_u32 s20, 0
	v_add_u32_e32 v23, -1, v22
	v_add_u32_e32 v24, 1, v22
	v_fma_f32 v25, -v23, v22, v16
	v_fma_f32 v26, -v24, v22, v16
	v_cmp_ge_f32_e64 s[16:17], 0, v25
	v_cndmask_b32_e64 v22, v22, v23, s[16:17]
	v_cmp_lt_f32_e64 s[16:17], 0, v26
	v_cndmask_b32_e64 v22, v22, v24, s[16:17]
	v_mul_f32_e32 v23, 0x37800000, v22
	v_cndmask_b32_e32 v22, v22, v23, vcc
	v_cmp_class_f32_e32 vcc, v16, v7
	v_cndmask_b32_e32 v16, v22, v16, vcc
	v_cmp_nge_f32_e32 vcc, 1.0, v16
	v_cndmask_b32_e32 v14, v17, v14, vcc
	s_cbranch_scc1 .LBB29_820
; %bb.821:
	v_mul_f32_e32 v7, 4.0, v14
	s_mov_b32 s20, 0x459c4000
	v_div_scale_f32 v14, s[16:17], s20, s20, v7
	v_rcp_f32_e32 v15, v14
	v_fma_f32 v16, -v14, v15, 1.0
	v_fmac_f32_e32 v15, v16, v15
	v_div_scale_f32 v16, vcc, v7, s20, v7
	v_mul_f32_e32 v17, v16, v15
	v_fma_f32 v22, -v14, v17, v16
	v_fmac_f32_e32 v17, v22, v15
	v_fma_f32 v14, -v14, v17, v16
	v_div_fmas_f32 v14, v14, v15, v17
	v_div_fixup_f32 v7, v14, s20, v7
.LBB29_822:
	s_or_b64 exec, exec, s[18:19]
	v_add_u32_e32 v14, 0x300, v19
	v_cmp_lt_u32_e64 s[16:17], v14, v20
	s_and_saveexec_b64 s[20:21], s[16:17]
	s_cbranch_execz .LBB29_852
; %bb.823:
	v_add_u32_e32 v8, v21, v14
	s_movk_i32 s18, 0x1388
	v_mul_lo_u32 v14, v8, s18
	v_cmp_ne_u32_e32 vcc, 0, v14
	v_mov_b32_e32 v15, 1
	s_and_saveexec_b64 s[26:27], vcc
	s_cbranch_execz .LBB29_849
; %bb.824:
	v_mov_b32_e32 v16, 1
	v_mov_b32_e32 v15, 0
	s_mov_b64 s[30:31], 0xbc8f
	s_mov_b64 s[28:29], 0
	v_mov_b32_e32 v17, 0
	s_brev_b32 s36, -2
	s_mov_b32 s37, 0x7ffffffe
	v_mov_b32_e32 v8, 0xfffff800
	s_movk_i32 s38, 0x401
	s_branch .LBB29_826
.LBB29_825:                             ;   in Loop: Header=BB29_826 Depth=1
	s_or_b64 exec, exec, s[34:35]
	s_mul_i32 s18, s30, s31
	s_mul_hi_u32 s19, s30, s30
	s_add_i32 s19, s19, s18
	s_add_i32 s18, s19, s18
	s_add_u32 vcc_lo, 0x402, s38
	s_mul_i32 s19, s30, s30
	s_addc_u32 s30, 0, 0
	v_add_co_u32_e32 v24, vcc, vcc_lo, v8
	s_cmp_lg_u64 vcc, 0
	v_readfirstlane_b32 vcc_hi, v24
	s_addc_u32 s30, s30, 1
	s_mul_hi_u32 s31, vcc_hi, 0x80000001
	s_mul_i32 vcc_lo, s30, 0x80000001
	s_sub_i32 s31, s31, vcc_hi
	s_add_i32 s31, s31, vcc_lo
	s_mul_i32 s35, vcc_hi, 0x80000001
	s_mul_hi_u32 vcc_lo, vcc_hi, s31
	s_mul_i32 s34, vcc_hi, s31
	s_mul_hi_u32 vcc_hi, vcc_hi, s35
	s_add_u32 vcc_hi, vcc_hi, s34
	s_addc_u32 vcc_lo, 0, vcc_lo
	s_mul_hi_u32 s39, s30, s35
	s_mul_i32 s35, s30, s35
	s_add_u32 vcc_hi, vcc_hi, s35
	s_mul_hi_u32 s34, s30, s31
	s_addc_u32 vcc_lo, vcc_lo, s39
	s_addc_u32 vcc_hi, s34, 0
	s_mul_i32 s31, s30, s31
	s_add_u32 vcc_lo, vcc_lo, s31
	s_addc_u32 s31, 0, vcc_hi
	v_add_co_u32_e32 v24, vcc, vcc_lo, v24
	s_cmp_lg_u64 vcc, 0
	s_addc_u32 vcc_lo, s30, s31
	v_readfirstlane_b32 s31, v24
	s_mul_i32 s30, s19, vcc_lo
	s_mul_hi_u32 s34, s19, s31
	s_mul_hi_u32 vcc_hi, s19, vcc_lo
	s_add_u32 s30, s34, s30
	s_addc_u32 vcc_hi, 0, vcc_hi
	s_mul_hi_u32 s35, s18, s31
	s_mul_i32 s31, s18, s31
	s_add_u32 s30, s30, s31
	s_mul_hi_u32 s34, s18, vcc_lo
	s_addc_u32 vcc_hi, vcc_hi, s35
	s_addc_u32 s30, s34, 0
	s_mul_i32 vcc_lo, s18, vcc_lo
	s_add_u32 vcc_lo, vcc_hi, vcc_lo
	s_addc_u32 vcc_hi, 0, s30
	s_mul_hi_u32 s30, vcc_lo, 0x7fffffff
	s_mul_i32 vcc_lo, vcc_lo, 0x7fffffff
	s_mul_i32 vcc_hi, vcc_hi, 0x7fffffff
	v_mov_b32_e32 v24, vcc_lo
	s_add_i32 s30, s30, vcc_hi
	v_sub_co_u32_e32 v24, vcc, s19, v24
	s_cmp_lg_u64 vcc, 0
	s_subb_u32 s18, s18, s30
	v_subrev_co_u32_e32 v25, vcc, s36, v24
	s_cmp_lg_u64 vcc, 0
	s_subb_u32 s19, s18, 0
	v_subrev_co_u32_e32 v26, vcc, s36, v25
	s_cmp_lg_u64 vcc, 0
	s_subb_u32 vcc_lo, s19, 0
	v_readfirstlane_b32 vcc_hi, v25
	s_cmp_gt_u32 vcc_hi, 0x7ffffffe
	s_cselect_b32 s30, -1, 0
	s_cmp_eq_u32 s19, 0
	s_cselect_b32 s30, s30, -1
	s_cmp_lg_u32 s30, 0
	s_cselect_b32 s19, vcc_lo, s19
	v_readfirstlane_b32 vcc_lo, v26
	s_cselect_b32 vcc_lo, vcc_lo, vcc_hi
	v_readfirstlane_b32 vcc_hi, v24
	s_cmp_gt_u32 vcc_hi, 0x7ffffffe
	s_cselect_b32 s30, -1, 0
	s_cmp_eq_u32 s18, 0
	s_cselect_b32 s30, s30, -1
	s_cmp_lg_u32 s30, 0
	v_lshrrev_b64 v[22:23], 1, v[14:15]
	s_cselect_b32 s30, vcc_lo, vcc_hi
	v_cmp_gt_u64_e32 vcc, 2, v[14:15]
	s_cselect_b32 s31, s19, s18
	s_or_b64 s[28:29], vcc, s[28:29]
	v_pk_mov_b32 v[14:15], v[22:23], v[22:23] op_sel:[0,1]
	s_andn2_b64 exec, exec, s[28:29]
	s_cbranch_execz .LBB29_848
.LBB29_826:                             ; =>This Inner Loop Header: Depth=1
	v_and_b32_e32 v22, 1, v14
	v_cmp_eq_u32_e32 vcc, 1, v22
	s_and_saveexec_b64 s[34:35], vcc
	s_cbranch_execz .LBB29_825
; %bb.827:                              ;   in Loop: Header=BB29_826 Depth=1
	v_mul_lo_u32 v22, s31, v16
	v_mul_lo_u32 v23, s30, v17
	v_mad_u64_u32 v[16:17], s[18:19], s30, v16, 0
	s_add_u32 s18, 0x402, s38
	v_add3_u32 v17, v17, v23, v22
	s_addc_u32 s19, 0, 0
	v_add_co_u32_e32 v22, vcc, s18, v8
	s_cmp_lg_u64 vcc, 0
	v_readfirstlane_b32 vcc_lo, v22
	s_addc_u32 s18, s19, 1
	s_mul_hi_u32 vcc_hi, vcc_lo, 0x80000001
	s_mul_i32 s19, s18, 0x80000001
	s_sub_i32 vcc_hi, vcc_hi, vcc_lo
	s_add_i32 vcc_hi, vcc_hi, s19
	s_mul_i32 s40, vcc_lo, 0x80000001
	s_mul_hi_u32 s19, vcc_lo, vcc_hi
	s_mul_i32 s39, vcc_lo, vcc_hi
	s_mul_hi_u32 vcc_lo, vcc_lo, s40
	s_add_u32 vcc_lo, vcc_lo, s39
	s_addc_u32 s19, 0, s19
	s_mul_hi_u32 s41, s18, s40
	s_mul_i32 s40, s18, s40
	s_add_u32 vcc_lo, vcc_lo, s40
	s_mul_hi_u32 s39, s18, vcc_hi
	s_addc_u32 s19, s19, s41
	s_addc_u32 vcc_lo, s39, 0
	s_mul_i32 vcc_hi, s18, vcc_hi
	s_add_u32 s19, s19, vcc_hi
	s_addc_u32 s39, 0, vcc_lo
	v_add_co_u32_e32 v24, vcc, s19, v22
	s_cmp_lg_u64 vcc, 0
	s_addc_u32 s39, s18, s39
	v_mad_u64_u32 v[22:23], s[18:19], v16, s39, 0
	v_mul_hi_u32 v25, v16, v24
	v_add_co_u32_e32 v26, vcc, v25, v22
	v_addc_co_u32_e32 v27, vcc, 0, v23, vcc
	v_mad_u64_u32 v[24:25], s[18:19], v17, v24, 0
	v_add_co_u32_e32 v24, vcc, v26, v24
	v_mad_u64_u32 v[22:23], s[18:19], v17, s39, 0
	v_addc_co_u32_e32 v24, vcc, v27, v25, vcc
	v_addc_co_u32_e32 v23, vcc, 0, v23, vcc
	v_add_co_u32_e32 v22, vcc, v24, v22
	v_addc_co_u32_e32 v25, vcc, 0, v23, vcc
	v_mad_u64_u32 v[22:23], s[18:19], v22, s36, 0
	v_mov_b32_e32 v24, v23
	v_mad_u64_u32 v[24:25], s[18:19], v25, s36, v[24:25]
	v_sub_co_u32_e32 v16, vcc, v16, v22
	v_subb_co_u32_e32 v17, vcc, v17, v24, vcc
	v_subrev_co_u32_e32 v22, vcc, s36, v16
	v_subbrev_co_u32_e32 v23, vcc, 0, v17, vcc
	v_subrev_co_u32_e32 v24, vcc, s36, v22
	v_subbrev_co_u32_e32 v25, vcc, 0, v23, vcc
	v_cmp_lt_u32_e32 vcc, s37, v22
	v_cndmask_b32_e64 v26, 0, -1, vcc
	v_cmp_eq_u32_e32 vcc, 0, v23
	v_cndmask_b32_e32 v26, -1, v26, vcc
	v_cmp_ne_u32_e32 vcc, 0, v26
	v_cmp_lt_u32_e64 s[18:19], s37, v16
	v_cndmask_b32_e32 v23, v23, v25, vcc
	v_cndmask_b32_e64 v25, 0, -1, s[18:19]
	v_cmp_eq_u32_e64 s[18:19], 0, v17
	v_cndmask_b32_e64 v25, -1, v25, s[18:19]
	v_cmp_ne_u32_e64 s[18:19], 0, v25
	v_cndmask_b32_e32 v22, v22, v24, vcc
	v_cndmask_b32_e64 v17, v17, v23, s[18:19]
	v_cndmask_b32_e64 v16, v16, v22, s[18:19]
	s_branch .LBB29_825
.LBB29_828:
	s_or_b64 exec, exec, s[22:23]
	s_movk_i32 s16, 0x401
	s_add_u32 s16, 0x402, s16
	v_mov_b32_e32 v7, 0xfffff800
	s_addc_u32 s17, 0, 0
	v_add_co_u32_e32 v7, vcc, s16, v7
	s_cmp_lg_u64 vcc, 0
	v_readfirstlane_b32 s22, v7
	s_addc_u32 s16, s17, 1
	s_mul_hi_u32 s23, s22, 0x80000001
	s_mul_i32 s17, s16, 0x80000001
	s_sub_i32 s23, s23, s22
	s_add_i32 s23, s23, s17
	s_mul_i32 s25, s22, 0x80000001
	s_mul_hi_u32 s17, s22, s23
	s_mul_i32 s24, s22, s23
	s_mul_hi_u32 s22, s22, s25
	s_add_u32 s22, s22, s24
	s_addc_u32 s17, 0, s17
	s_mul_hi_u32 s26, s16, s25
	s_mul_i32 s25, s16, s25
	s_add_u32 s22, s22, s25
	s_mul_hi_u32 s24, s16, s23
	s_addc_u32 s17, s17, s26
	s_addc_u32 s22, s24, 0
	s_mul_i32 s23, s16, s23
	s_add_u32 s17, s17, s23
	s_addc_u32 s22, 0, s22
	v_add_co_u32_e32 v7, vcc, s17, v7
	s_cmp_lg_u64 vcc, 0
	s_addc_u32 s22, s16, s22
	v_mad_u64_u32 v[22:23], s[16:17], v24, s22, 0
	v_mul_hi_u32 v30, v24, v7
	v_add_co_u32_e32 v30, vcc, v30, v22
	v_addc_co_u32_e32 v34, vcc, 0, v23, vcc
	v_mad_u64_u32 v[32:33], s[16:17], v25, v7, 0
	v_add_co_u32_e32 v7, vcc, v30, v32
	v_mad_u64_u32 v[22:23], s[16:17], v25, s22, 0
	v_addc_co_u32_e32 v7, vcc, v34, v33, vcc
	v_addc_co_u32_e32 v23, vcc, 0, v23, vcc
	v_add_co_u32_e32 v7, vcc, v7, v22
	s_brev_b32 s22, -2
	v_addc_co_u32_e32 v32, vcc, 0, v23, vcc
	v_mad_u64_u32 v[22:23], s[16:17], v7, s22, 0
	v_mov_b32_e32 v30, v23
	v_mad_u64_u32 v[32:33], s[16:17], v32, s22, v[30:31]
	v_sub_co_u32_e32 v7, vcc, v24, v22
	v_subb_co_u32_e32 v22, vcc, v25, v32, vcc
	v_subrev_co_u32_e32 v23, vcc, 0x7fffffff, v7
	v_subbrev_co_u32_e32 v24, vcc, 0, v22, vcc
	s_mov_b32 s16, 0x7ffffffe
	v_cmp_lt_u32_e32 vcc, s16, v23
	v_cndmask_b32_e64 v25, 0, -1, vcc
	v_cmp_eq_u32_e32 vcc, 0, v24
	v_cndmask_b32_e32 v24, -1, v25, vcc
	v_add_u32_e32 v25, 0x80000001, v23
	v_cmp_ne_u32_e32 vcc, 0, v24
	v_cndmask_b32_e32 v23, v23, v25, vcc
	v_cmp_lt_u32_e32 vcc, s16, v7
	v_cndmask_b32_e64 v24, 0, -1, vcc
	v_cmp_eq_u32_e32 vcc, 0, v22
	v_cndmask_b32_e32 v22, -1, v24, vcc
	v_cmp_ne_u32_e32 vcc, 0, v22
	v_cndmask_b32_e32 v23, v7, v23, vcc
.LBB29_829:
	s_or_b64 exec, exec, s[20:21]
	s_movk_i32 s20, 0x1388
	v_mov_b32_e32 v22, 0
	s_mov_b32 s21, 0xbc8f1391
	s_mov_b32 s22, 0xbc8f
	s_brev_b32 s23, 12
	s_mov_b32 s24, 0xf800000
	v_mov_b32_e32 v7, 0x260
.LBB29_830:                             ; =>This Inner Loop Header: Depth=1
	v_mul_hi_u32 v24, v23, s21
	v_lshrrev_b32_e32 v24, 15, v24
	v_mul_u32_u24_e32 v30, 0xadc8, v24
	v_sub_u32_e32 v23, v23, v30
	v_mul_u32_u24_e32 v24, 0xd47, v24
	v_mul_lo_u32 v23, v23, s22
	v_xor_b32_e32 v30, 0x7fffffff, v24
	v_sub_u32_e32 v32, 0, v24
	v_cmp_lt_u32_e32 vcc, v23, v24
	v_cndmask_b32_e32 v24, v32, v30, vcc
	v_add_u32_e32 v23, v24, v23
	v_mul_hi_u32 v30, v23, s21
	v_lshrrev_b32_e32 v30, 15, v30
	v_mul_u32_u24_e32 v32, 0xadc8, v30
	v_add_u32_e32 v24, -1, v23
	v_sub_u32_e32 v23, v23, v32
	v_mul_u32_u24_e32 v30, 0xd47, v30
	v_mul_lo_u32 v23, v23, s22
	v_xor_b32_e32 v32, 0x7fffffff, v30
	v_sub_u32_e32 v33, 0, v30
	v_cmp_lt_u32_e32 vcc, v23, v30
	v_cndmask_b32_e32 v30, v33, v32, vcc
	v_add_u32_e32 v23, v30, v23
	v_mul_hi_u32 v32, v23, s21
	v_add_u32_e32 v30, -1, v23
	v_lshrrev_b32_e32 v32, 15, v32
	v_cvt_f32_u32_e32 v30, v30
	v_mul_u32_u24_e32 v33, 0xadc8, v32
	v_cvt_f32_u32_e32 v24, v24
	v_sub_u32_e32 v23, v23, v33
	v_mul_u32_u24_e32 v32, 0xd47, v32
	v_mul_lo_u32 v23, v23, s22
	v_xor_b32_e32 v33, 0x7fffffff, v32
	v_sub_u32_e32 v34, 0, v32
	v_cmp_lt_u32_e32 vcc, v23, v32
	v_fma_f32 v30, v30, s23, 0
	v_cndmask_b32_e32 v32, v34, v33, vcc
	v_fma_f32 v24, v24, s23, 0
	v_mul_f32_e32 v30, v30, v30
	v_add_u32_e32 v23, v32, v23
	v_fmac_f32_e32 v30, v24, v24
	v_mul_hi_u32 v32, v23, s21
	v_mul_f32_e32 v33, 0x4f800000, v30
	v_lshrrev_b32_e32 v32, 15, v32
	v_cmp_gt_f32_e32 vcc, s24, v30
	v_cndmask_b32_e32 v30, v30, v33, vcc
	v_mul_u32_u24_e32 v33, 0xadc8, v32
	v_add_u32_e32 v24, -1, v23
	v_sqrt_f32_e32 v34, v30
	v_sub_u32_e32 v23, v23, v33
	v_mul_u32_u24_e32 v32, 0xd47, v32
	v_mul_lo_u32 v23, v23, s22
	v_xor_b32_e32 v33, 0x7fffffff, v32
	v_sub_u32_e32 v35, 0, v32
	v_cmp_lt_u32_e64 s[16:17], v23, v32
	v_cndmask_b32_e64 v32, v35, v33, s[16:17]
	v_add_u32_e32 v23, v32, v23
	v_add_u32_e32 v32, -1, v34
	v_add_u32_e32 v33, 1, v34
	v_add_u32_e32 v35, -1, v23
	v_fma_f32 v36, -v32, v34, v30
	v_fma_f32 v37, -v33, v34, v30
	v_cvt_f32_u32_e32 v35, v35
	v_cmp_ge_f32_e64 s[16:17], 0, v36
	v_cvt_f32_u32_e32 v24, v24
	v_cndmask_b32_e64 v32, v34, v32, s[16:17]
	v_cmp_lt_f32_e64 s[16:17], 0, v37
	v_cndmask_b32_e64 v32, v32, v33, s[16:17]
	v_mul_f32_e32 v33, 0x37800000, v32
	v_cndmask_b32_e32 v32, v32, v33, vcc
	v_fma_f32 v33, v35, s23, 0
	v_cmp_class_f32_e32 vcc, v30, v7
	v_fma_f32 v24, v24, s23, 0
	v_cndmask_b32_e32 v30, v32, v30, vcc
	v_mul_f32_e32 v32, v33, v33
	v_add_f32_e32 v25, 1.0, v22
	v_cmp_nge_f32_e32 vcc, 1.0, v30
	v_fmac_f32_e32 v32, v24, v24
	v_cndmask_b32_e32 v22, v25, v22, vcc
	v_mul_f32_e32 v24, 0x4f800000, v32
	v_cmp_gt_f32_e32 vcc, s24, v32
	v_cndmask_b32_e32 v24, v32, v24, vcc
	v_sqrt_f32_e32 v30, v24
	s_add_i32 s20, s20, -2
	v_add_f32_e32 v25, 1.0, v22
	s_cmp_lg_u32 s20, 0
	v_add_u32_e32 v32, -1, v30
	v_add_u32_e32 v33, 1, v30
	v_fma_f32 v34, -v32, v30, v24
	v_fma_f32 v35, -v33, v30, v24
	v_cmp_ge_f32_e64 s[16:17], 0, v34
	v_cndmask_b32_e64 v30, v30, v32, s[16:17]
	v_cmp_lt_f32_e64 s[16:17], 0, v35
	v_cndmask_b32_e64 v30, v30, v33, s[16:17]
	v_mul_f32_e32 v32, 0x37800000, v30
	v_cndmask_b32_e32 v30, v30, v32, vcc
	v_cmp_class_f32_e32 vcc, v24, v7
	v_cndmask_b32_e32 v24, v30, v24, vcc
	v_cmp_nge_f32_e32 vcc, 1.0, v24
	v_cndmask_b32_e32 v22, v25, v22, vcc
	s_cbranch_scc1 .LBB29_830
; %bb.831:
	v_mul_f32_e32 v7, 4.0, v22
	s_mov_b32 s20, 0x459c4000
	v_div_scale_f32 v22, s[16:17], s20, s20, v7
	v_rcp_f32_e32 v23, v22
	v_fma_f32 v24, -v22, v23, 1.0
	v_fmac_f32_e32 v23, v24, v23
	v_div_scale_f32 v24, vcc, v7, s20, v7
	v_mul_f32_e32 v25, v24, v23
	v_fma_f32 v30, -v22, v25, v24
	v_fmac_f32_e32 v25, v30, v23
	v_fma_f32 v22, -v22, v25, v24
	v_div_fmas_f32 v22, v22, v23, v25
	v_div_fixup_f32 v7, v22, s20, v7
.LBB29_832:
	s_or_b64 exec, exec, s[18:19]
	v_add_u32_e32 v22, 0x300, v27
	v_cmp_lt_u32_e64 s[16:17], v22, v28
	s_and_saveexec_b64 s[20:21], s[16:17]
	s_cbranch_execz .LBB29_862
; %bb.833:
	v_add_u32_e32 v8, v29, v22
	s_movk_i32 s18, 0x1388
	v_mul_lo_u32 v22, v8, s18
	v_cmp_ne_u32_e32 vcc, 0, v22
	v_mov_b32_e32 v23, 1
	s_and_saveexec_b64 s[22:23], vcc
	s_cbranch_execz .LBB29_859
; %bb.834:
	v_mov_b32_e32 v24, 1
	v_mov_b32_e32 v23, 0
	s_mov_b64 s[26:27], 0xbc8f
	s_mov_b64 s[24:25], 0
	v_mov_b32_e32 v25, 0
	s_brev_b32 s30, -2
	s_mov_b32 s31, 0x7ffffffe
	v_mov_b32_e32 v8, 0xfffff800
	s_movk_i32 s34, 0x401
	s_branch .LBB29_836
.LBB29_835:                             ;   in Loop: Header=BB29_836 Depth=1
	s_or_b64 exec, exec, s[28:29]
	s_mul_i32 s18, s26, s27
	s_mul_hi_u32 s19, s26, s26
	s_add_i32 s19, s19, s18
	s_add_i32 s18, s19, s18
	s_mul_i32 s19, s26, s26
	s_add_u32 s26, 0x402, s34
	s_addc_u32 s27, 0, 0
	v_add_co_u32_e32 v30, vcc, s26, v8
	s_cmp_lg_u64 vcc, 0
	v_readfirstlane_b32 s28, v30
	s_addc_u32 s26, s27, 1
	s_mul_hi_u32 s29, s28, 0x80000001
	s_mul_i32 s27, s26, 0x80000001
	s_sub_i32 s29, s29, s28
	s_add_i32 s29, s29, s27
	s_mul_i32 vcc_hi, s28, 0x80000001
	s_mul_hi_u32 s27, s28, s29
	s_mul_i32 vcc_lo, s28, s29
	s_mul_hi_u32 s28, s28, vcc_hi
	s_add_u32 s28, s28, vcc_lo
	s_addc_u32 s27, 0, s27
	s_mul_hi_u32 s35, s26, vcc_hi
	s_mul_i32 vcc_hi, s26, vcc_hi
	s_add_u32 s28, s28, vcc_hi
	s_mul_hi_u32 vcc_lo, s26, s29
	s_addc_u32 s27, s27, s35
	s_addc_u32 s28, vcc_lo, 0
	s_mul_i32 s29, s26, s29
	s_add_u32 s27, s27, s29
	s_addc_u32 s28, 0, s28
	v_add_co_u32_e32 v30, vcc, s27, v30
	s_cmp_lg_u64 vcc, 0
	s_addc_u32 s26, s26, s28
	v_readfirstlane_b32 s29, v30
	s_mul_i32 s28, s19, s26
	s_mul_hi_u32 vcc_lo, s19, s29
	s_mul_hi_u32 s27, s19, s26
	s_add_u32 s28, vcc_lo, s28
	s_addc_u32 s27, 0, s27
	s_mul_hi_u32 vcc_hi, s18, s29
	s_mul_i32 s29, s18, s29
	s_add_u32 s28, s28, s29
	s_mul_hi_u32 vcc_lo, s18, s26
	s_addc_u32 s27, s27, vcc_hi
	s_addc_u32 s28, vcc_lo, 0
	s_mul_i32 s26, s18, s26
	s_add_u32 s26, s27, s26
	s_addc_u32 s27, 0, s28
	s_mul_hi_u32 s28, s26, 0x7fffffff
	s_mul_i32 s26, s26, 0x7fffffff
	s_mul_i32 s27, s27, 0x7fffffff
	v_mov_b32_e32 v30, s26
	s_add_i32 s28, s28, s27
	v_sub_co_u32_e32 v30, vcc, s19, v30
	s_cmp_lg_u64 vcc, 0
	s_subb_u32 s18, s18, s28
	v_subrev_co_u32_e32 v34, vcc, s30, v30
	s_cmp_lg_u64 vcc, 0
	s_subb_u32 s19, s18, 0
	v_subrev_co_u32_e32 v35, vcc, s30, v34
	s_cmp_lg_u64 vcc, 0
	s_subb_u32 s26, s19, 0
	v_readfirstlane_b32 s27, v34
	s_cmp_gt_u32 s27, 0x7ffffffe
	s_cselect_b32 s28, -1, 0
	s_cmp_eq_u32 s19, 0
	s_cselect_b32 s28, s28, -1
	s_cmp_lg_u32 s28, 0
	s_cselect_b32 s19, s26, s19
	v_readfirstlane_b32 s26, v35
	v_readfirstlane_b32 s28, v30
	s_cselect_b32 s26, s26, s27
	s_cmp_gt_u32 s28, 0x7ffffffe
	s_cselect_b32 s27, -1, 0
	s_cmp_eq_u32 s18, 0
	s_cselect_b32 s27, s27, -1
	v_lshrrev_b64 v[32:33], 1, v[22:23]
	s_cmp_lg_u32 s27, 0
	v_cmp_gt_u64_e32 vcc, 2, v[22:23]
	s_cselect_b32 s27, s19, s18
	s_cselect_b32 s26, s26, s28
	s_or_b64 s[24:25], vcc, s[24:25]
	v_pk_mov_b32 v[22:23], v[32:33], v[32:33] op_sel:[0,1]
	s_andn2_b64 exec, exec, s[24:25]
	s_cbranch_execz .LBB29_858
.LBB29_836:                             ; =>This Inner Loop Header: Depth=1
	v_and_b32_e32 v30, 1, v22
	v_cmp_eq_u32_e32 vcc, 1, v30
	s_and_saveexec_b64 s[28:29], vcc
	s_cbranch_execz .LBB29_835
; %bb.837:                              ;   in Loop: Header=BB29_836 Depth=1
	v_mul_lo_u32 v30, s27, v24
	v_mul_lo_u32 v32, s26, v25
	v_mad_u64_u32 v[24:25], s[18:19], s26, v24, 0
	s_add_u32 s18, 0x402, s34
	v_add3_u32 v25, v25, v32, v30
	s_addc_u32 s19, 0, 0
	v_add_co_u32_e32 v30, vcc, s18, v8
	s_cmp_lg_u64 vcc, 0
	v_readfirstlane_b32 vcc_lo, v30
	s_addc_u32 s18, s19, 1
	s_mul_hi_u32 vcc_hi, vcc_lo, 0x80000001
	s_mul_i32 s19, s18, 0x80000001
	s_sub_i32 vcc_hi, vcc_hi, vcc_lo
	s_add_i32 vcc_hi, vcc_hi, s19
	s_mul_i32 s36, vcc_lo, 0x80000001
	s_mul_hi_u32 s19, vcc_lo, vcc_hi
	s_mul_i32 s35, vcc_lo, vcc_hi
	s_mul_hi_u32 vcc_lo, vcc_lo, s36
	s_add_u32 vcc_lo, vcc_lo, s35
	s_addc_u32 s19, 0, s19
	s_mul_hi_u32 s37, s18, s36
	s_mul_i32 s36, s18, s36
	s_add_u32 vcc_lo, vcc_lo, s36
	s_mul_hi_u32 s35, s18, vcc_hi
	s_addc_u32 s19, s19, s37
	s_addc_u32 vcc_lo, s35, 0
	s_mul_i32 vcc_hi, s18, vcc_hi
	s_add_u32 s19, s19, vcc_hi
	s_addc_u32 s35, 0, vcc_lo
	v_add_co_u32_e32 v30, vcc, s19, v30
	s_cmp_lg_u64 vcc, 0
	s_addc_u32 s35, s18, s35
	v_mad_u64_u32 v[32:33], s[18:19], v24, s35, 0
	v_mul_hi_u32 v34, v24, v30
	v_add_co_u32_e32 v36, vcc, v34, v32
	v_addc_co_u32_e32 v37, vcc, 0, v33, vcc
	v_mad_u64_u32 v[34:35], s[18:19], v25, v30, 0
	v_add_co_u32_e32 v30, vcc, v36, v34
	v_mad_u64_u32 v[32:33], s[18:19], v25, s35, 0
	v_addc_co_u32_e32 v30, vcc, v37, v35, vcc
	v_addc_co_u32_e32 v33, vcc, 0, v33, vcc
	v_add_co_u32_e32 v30, vcc, v30, v32
	v_addc_co_u32_e32 v34, vcc, 0, v33, vcc
	v_mad_u64_u32 v[32:33], s[18:19], v30, s30, 0
	v_mov_b32_e32 v30, v33
	v_mad_u64_u32 v[34:35], s[18:19], v34, s30, v[30:31]
	v_sub_co_u32_e32 v24, vcc, v24, v32
	v_subb_co_u32_e32 v25, vcc, v25, v34, vcc
	v_subrev_co_u32_e32 v30, vcc, s30, v24
	v_subbrev_co_u32_e32 v32, vcc, 0, v25, vcc
	v_subrev_co_u32_e32 v33, vcc, s30, v30
	v_subbrev_co_u32_e32 v34, vcc, 0, v32, vcc
	v_cmp_lt_u32_e32 vcc, s31, v30
	v_cndmask_b32_e64 v35, 0, -1, vcc
	v_cmp_eq_u32_e32 vcc, 0, v32
	v_cndmask_b32_e32 v35, -1, v35, vcc
	v_cmp_ne_u32_e32 vcc, 0, v35
	v_cmp_lt_u32_e64 s[18:19], s31, v24
	v_cndmask_b32_e32 v32, v32, v34, vcc
	v_cndmask_b32_e64 v34, 0, -1, s[18:19]
	v_cmp_eq_u32_e64 s[18:19], 0, v25
	v_cndmask_b32_e64 v34, -1, v34, s[18:19]
	v_cmp_ne_u32_e64 s[18:19], 0, v34
	v_cndmask_b32_e32 v30, v30, v33, vcc
	v_cndmask_b32_e64 v25, v25, v32, s[18:19]
	v_cndmask_b32_e64 v24, v24, v30, s[18:19]
	s_branch .LBB29_835
.LBB29_838:
	s_or_b64 exec, exec, s[22:23]
	s_movk_i32 s16, 0x401
	s_add_u32 s16, 0x402, s16
	v_mov_b32_e32 v4, 0xfffff800
	s_addc_u32 s17, 0, 0
	v_add_co_u32_e32 v4, vcc, s16, v4
	s_cmp_lg_u64 vcc, 0
	v_readfirstlane_b32 s22, v4
	s_addc_u32 s16, s17, 1
	s_mul_hi_u32 s23, s22, 0x80000001
	s_mul_i32 s17, s16, 0x80000001
	s_sub_i32 s23, s23, s22
	s_add_i32 s23, s23, s17
	s_mul_i32 s25, s22, 0x80000001
	s_mul_hi_u32 s17, s22, s23
	s_mul_i32 s24, s22, s23
	s_mul_hi_u32 s22, s22, s25
	s_add_u32 s22, s22, s24
	s_addc_u32 s17, 0, s17
	s_mul_hi_u32 s26, s16, s25
	s_mul_i32 s25, s16, s25
	s_add_u32 s22, s22, s25
	s_mul_hi_u32 s24, s16, s23
	s_addc_u32 s17, s17, s26
	s_addc_u32 s22, s24, 0
	s_mul_i32 s23, s16, s23
	s_add_u32 s17, s17, s23
	s_addc_u32 s22, 0, s22
	v_add_co_u32_e32 v17, vcc, s17, v4
	s_cmp_lg_u64 vcc, 0
	s_addc_u32 s22, s16, s22
	v_mad_u64_u32 v[4:5], s[16:17], v6, s22, 0
	v_mul_hi_u32 v18, v6, v17
	v_add_co_u32_e32 v20, vcc, v18, v4
	v_addc_co_u32_e32 v21, vcc, 0, v5, vcc
	v_mad_u64_u32 v[18:19], s[16:17], v7, v17, 0
	v_add_co_u32_e32 v17, vcc, v20, v18
	v_mad_u64_u32 v[4:5], s[16:17], v7, s22, 0
	v_addc_co_u32_e32 v17, vcc, v21, v19, vcc
	v_addc_co_u32_e32 v5, vcc, 0, v5, vcc
	v_add_co_u32_e32 v4, vcc, v17, v4
	s_brev_b32 s22, -2
	v_addc_co_u32_e32 v17, vcc, 0, v5, vcc
	v_mad_u64_u32 v[4:5], s[16:17], v4, s22, 0
	v_mov_b32_e32 v18, v5
	v_mad_u64_u32 v[18:19], s[16:17], v17, s22, v[18:19]
	v_sub_co_u32_e32 v4, vcc, v6, v4
	v_subb_co_u32_e32 v5, vcc, v7, v18, vcc
	v_subrev_co_u32_e32 v6, vcc, 0x7fffffff, v4
	v_subbrev_co_u32_e32 v7, vcc, 0, v5, vcc
	s_mov_b32 s16, 0x7ffffffe
	v_cmp_lt_u32_e32 vcc, s16, v6
	v_cndmask_b32_e64 v17, 0, -1, vcc
	v_cmp_eq_u32_e32 vcc, 0, v7
	v_cndmask_b32_e32 v7, -1, v17, vcc
	v_add_u32_e32 v17, 0x80000001, v6
	v_cmp_ne_u32_e32 vcc, 0, v7
	v_cndmask_b32_e32 v6, v6, v17, vcc
	v_cmp_lt_u32_e32 vcc, s16, v4
	v_cndmask_b32_e64 v7, 0, -1, vcc
	v_cmp_eq_u32_e32 vcc, 0, v5
	v_cndmask_b32_e32 v5, -1, v7, vcc
	v_cmp_ne_u32_e32 vcc, 0, v5
	v_cndmask_b32_e32 v6, v4, v6, vcc
.LBB29_839:
	s_or_b64 exec, exec, s[20:21]
	s_movk_i32 s20, 0x1388
	v_mov_b32_e32 v5, 0
	s_mov_b32 s21, 0xbc8f1391
	s_mov_b32 s22, 0xbc8f
	s_brev_b32 s23, 12
	s_mov_b32 s24, 0xf800000
	v_mov_b32_e32 v4, 0x260
.LBB29_840:                             ; =>This Inner Loop Header: Depth=1
	v_mul_hi_u32 v7, v6, s21
	v_lshrrev_b32_e32 v7, 15, v7
	v_mul_u32_u24_e32 v18, 0xadc8, v7
	v_sub_u32_e32 v6, v6, v18
	v_mul_u32_u24_e32 v7, 0xd47, v7
	v_mul_lo_u32 v6, v6, s22
	v_xor_b32_e32 v18, 0x7fffffff, v7
	v_sub_u32_e32 v19, 0, v7
	v_cmp_lt_u32_e32 vcc, v6, v7
	v_cndmask_b32_e32 v7, v19, v18, vcc
	v_add_u32_e32 v6, v7, v6
	v_mul_hi_u32 v18, v6, s21
	v_lshrrev_b32_e32 v18, 15, v18
	v_mul_u32_u24_e32 v19, 0xadc8, v18
	v_add_u32_e32 v7, -1, v6
	v_sub_u32_e32 v6, v6, v19
	v_mul_u32_u24_e32 v18, 0xd47, v18
	v_mul_lo_u32 v6, v6, s22
	v_xor_b32_e32 v19, 0x7fffffff, v18
	v_sub_u32_e32 v20, 0, v18
	v_cmp_lt_u32_e32 vcc, v6, v18
	v_cndmask_b32_e32 v18, v20, v19, vcc
	v_add_u32_e32 v6, v18, v6
	v_mul_hi_u32 v19, v6, s21
	v_add_u32_e32 v18, -1, v6
	v_lshrrev_b32_e32 v19, 15, v19
	v_cvt_f32_u32_e32 v18, v18
	v_mul_u32_u24_e32 v20, 0xadc8, v19
	v_cvt_f32_u32_e32 v7, v7
	v_sub_u32_e32 v6, v6, v20
	v_mul_u32_u24_e32 v19, 0xd47, v19
	v_mul_lo_u32 v6, v6, s22
	v_xor_b32_e32 v20, 0x7fffffff, v19
	v_sub_u32_e32 v21, 0, v19
	v_cmp_lt_u32_e32 vcc, v6, v19
	v_fma_f32 v18, v18, s23, 0
	v_cndmask_b32_e32 v19, v21, v20, vcc
	v_fma_f32 v7, v7, s23, 0
	v_mul_f32_e32 v18, v18, v18
	v_add_u32_e32 v6, v19, v6
	v_fmac_f32_e32 v18, v7, v7
	v_mul_hi_u32 v19, v6, s21
	v_mul_f32_e32 v20, 0x4f800000, v18
	v_lshrrev_b32_e32 v19, 15, v19
	v_cmp_gt_f32_e32 vcc, s24, v18
	v_cndmask_b32_e32 v18, v18, v20, vcc
	v_mul_u32_u24_e32 v20, 0xadc8, v19
	v_add_u32_e32 v7, -1, v6
	v_sqrt_f32_e32 v21, v18
	v_sub_u32_e32 v6, v6, v20
	v_mul_u32_u24_e32 v19, 0xd47, v19
	v_mul_lo_u32 v6, v6, s22
	v_xor_b32_e32 v20, 0x7fffffff, v19
	v_sub_u32_e32 v22, 0, v19
	v_cmp_lt_u32_e64 s[16:17], v6, v19
	v_cndmask_b32_e64 v19, v22, v20, s[16:17]
	v_add_u32_e32 v6, v19, v6
	v_add_u32_e32 v19, -1, v21
	v_add_u32_e32 v20, 1, v21
	v_add_u32_e32 v22, -1, v6
	v_fma_f32 v23, -v19, v21, v18
	v_fma_f32 v24, -v20, v21, v18
	v_cvt_f32_u32_e32 v22, v22
	v_cmp_ge_f32_e64 s[16:17], 0, v23
	v_cvt_f32_u32_e32 v7, v7
	v_cndmask_b32_e64 v19, v21, v19, s[16:17]
	v_cmp_lt_f32_e64 s[16:17], 0, v24
	v_cndmask_b32_e64 v19, v19, v20, s[16:17]
	v_mul_f32_e32 v20, 0x37800000, v19
	v_cndmask_b32_e32 v19, v19, v20, vcc
	v_fma_f32 v20, v22, s23, 0
	v_cmp_class_f32_e32 vcc, v18, v4
	v_fma_f32 v7, v7, s23, 0
	v_cndmask_b32_e32 v18, v19, v18, vcc
	v_mul_f32_e32 v19, v20, v20
	v_add_f32_e32 v17, 1.0, v5
	v_cmp_nge_f32_e32 vcc, 1.0, v18
	v_fmac_f32_e32 v19, v7, v7
	v_cndmask_b32_e32 v5, v17, v5, vcc
	v_mul_f32_e32 v7, 0x4f800000, v19
	v_cmp_gt_f32_e32 vcc, s24, v19
	v_cndmask_b32_e32 v7, v19, v7, vcc
	v_sqrt_f32_e32 v18, v7
	s_add_i32 s20, s20, -2
	v_add_f32_e32 v17, 1.0, v5
	s_cmp_lg_u32 s20, 0
	v_add_u32_e32 v19, -1, v18
	v_add_u32_e32 v20, 1, v18
	v_fma_f32 v21, -v19, v18, v7
	v_fma_f32 v22, -v20, v18, v7
	v_cmp_ge_f32_e64 s[16:17], 0, v21
	v_cndmask_b32_e64 v18, v18, v19, s[16:17]
	v_cmp_lt_f32_e64 s[16:17], 0, v22
	v_cndmask_b32_e64 v18, v18, v20, s[16:17]
	v_mul_f32_e32 v19, 0x37800000, v18
	v_cndmask_b32_e32 v18, v18, v19, vcc
	v_cmp_class_f32_e32 vcc, v7, v4
	v_cndmask_b32_e32 v7, v18, v7, vcc
	v_cmp_nge_f32_e32 vcc, 1.0, v7
	v_cndmask_b32_e32 v5, v17, v5, vcc
	s_cbranch_scc1 .LBB29_840
; %bb.841:
	v_mul_f32_e32 v4, 4.0, v5
	s_mov_b32 s20, 0x459c4000
	v_div_scale_f32 v5, s[16:17], s20, s20, v4
	v_rcp_f32_e32 v6, v5
	v_fma_f32 v7, -v5, v6, 1.0
	v_fmac_f32_e32 v6, v7, v6
	v_div_scale_f32 v7, vcc, v4, s20, v4
	v_mul_f32_e32 v17, v7, v6
	v_fma_f32 v18, -v5, v17, v7
	v_fmac_f32_e32 v17, v18, v6
	v_fma_f32 v5, -v5, v17, v7
	v_div_fmas_f32 v5, v5, v6, v17
	v_div_fixup_f32 v17, v5, s20, v4
.LBB29_842:
	s_or_b64 exec, exec, s[18:19]
	v_add_u32_e32 v4, 0x300, v11
	v_cmp_lt_u32_e64 s[16:17], v4, v8
                                        ; implicit-def: $vgpr18
	s_and_saveexec_b64 s[20:21], s[16:17]
	s_cbranch_execz .LBB29_872
; %bb.843:
	v_add_u32_e32 v4, v9, v4
	s_movk_i32 s18, 0x1388
	v_mul_lo_u32 v4, v4, s18
	v_cmp_ne_u32_e32 vcc, 0, v4
	v_mov_b32_e32 v6, 1
	s_and_saveexec_b64 s[22:23], vcc
	s_cbranch_execz .LBB29_869
; %bb.844:
	v_mov_b32_e32 v6, 1
	v_mov_b32_e32 v5, 0
	s_mov_b64 s[26:27], 0xbc8f
	s_mov_b64 s[24:25], 0
	v_mov_b32_e32 v7, 0
	s_brev_b32 s30, -2
	s_mov_b32 s31, 0x7ffffffe
	v_mov_b32_e32 v18, 0xfffff800
	s_movk_i32 s34, 0x401
	s_branch .LBB29_846
.LBB29_845:                             ;   in Loop: Header=BB29_846 Depth=1
	s_or_b64 exec, exec, s[28:29]
	s_mul_i32 s18, s26, s27
	s_mul_hi_u32 s19, s26, s26
	s_add_i32 s19, s19, s18
	s_add_i32 s18, s19, s18
	s_mul_i32 s19, s26, s26
	s_add_u32 s26, 0x402, s34
	s_addc_u32 s27, 0, 0
	v_add_co_u32_e32 v19, vcc, s26, v18
	s_cmp_lg_u64 vcc, 0
	v_readfirstlane_b32 s28, v19
	s_addc_u32 s26, s27, 1
	s_mul_hi_u32 s29, s28, 0x80000001
	s_mul_i32 s27, s26, 0x80000001
	s_sub_i32 s29, s29, s28
	s_add_i32 s29, s29, s27
	s_mul_i32 vcc_hi, s28, 0x80000001
	s_mul_hi_u32 s27, s28, s29
	s_mul_i32 vcc_lo, s28, s29
	s_mul_hi_u32 s28, s28, vcc_hi
	s_add_u32 s28, s28, vcc_lo
	s_addc_u32 s27, 0, s27
	s_mul_hi_u32 s35, s26, vcc_hi
	s_mul_i32 vcc_hi, s26, vcc_hi
	s_add_u32 s28, s28, vcc_hi
	s_mul_hi_u32 vcc_lo, s26, s29
	s_addc_u32 s27, s27, s35
	s_addc_u32 s28, vcc_lo, 0
	s_mul_i32 s29, s26, s29
	s_add_u32 s27, s27, s29
	s_addc_u32 s28, 0, s28
	v_add_co_u32_e32 v19, vcc, s27, v19
	s_cmp_lg_u64 vcc, 0
	s_addc_u32 s26, s26, s28
	v_readfirstlane_b32 s29, v19
	s_mul_i32 s28, s19, s26
	s_mul_hi_u32 vcc_lo, s19, s29
	s_mul_hi_u32 s27, s19, s26
	s_add_u32 s28, vcc_lo, s28
	s_addc_u32 s27, 0, s27
	s_mul_hi_u32 vcc_hi, s18, s29
	s_mul_i32 s29, s18, s29
	s_add_u32 s28, s28, s29
	s_mul_hi_u32 vcc_lo, s18, s26
	s_addc_u32 s27, s27, vcc_hi
	s_addc_u32 s28, vcc_lo, 0
	s_mul_i32 s26, s18, s26
	s_add_u32 s26, s27, s26
	s_addc_u32 s27, 0, s28
	s_mul_hi_u32 s28, s26, 0x7fffffff
	s_mul_i32 s26, s26, 0x7fffffff
	s_mul_i32 s27, s27, 0x7fffffff
	v_mov_b32_e32 v19, s26
	s_add_i32 s28, s28, s27
	v_sub_co_u32_e32 v19, vcc, s19, v19
	s_cmp_lg_u64 vcc, 0
	s_subb_u32 s18, s18, s28
	v_subrev_co_u32_e32 v22, vcc, s30, v19
	s_cmp_lg_u64 vcc, 0
	s_subb_u32 s19, s18, 0
	v_subrev_co_u32_e32 v23, vcc, s30, v22
	s_cmp_lg_u64 vcc, 0
	s_subb_u32 s26, s19, 0
	v_readfirstlane_b32 s27, v22
	s_cmp_gt_u32 s27, 0x7ffffffe
	s_cselect_b32 s28, -1, 0
	s_cmp_eq_u32 s19, 0
	s_cselect_b32 s28, s28, -1
	s_cmp_lg_u32 s28, 0
	s_cselect_b32 s19, s26, s19
	v_readfirstlane_b32 s26, v23
	v_readfirstlane_b32 s28, v19
	s_cselect_b32 s26, s26, s27
	s_cmp_gt_u32 s28, 0x7ffffffe
	s_cselect_b32 s27, -1, 0
	s_cmp_eq_u32 s18, 0
	s_cselect_b32 s27, s27, -1
	v_lshrrev_b64 v[20:21], 1, v[4:5]
	s_cmp_lg_u32 s27, 0
	v_cmp_gt_u64_e32 vcc, 2, v[4:5]
	s_cselect_b32 s27, s19, s18
	s_cselect_b32 s26, s26, s28
	s_or_b64 s[24:25], vcc, s[24:25]
	v_pk_mov_b32 v[4:5], v[20:21], v[20:21] op_sel:[0,1]
	s_andn2_b64 exec, exec, s[24:25]
	s_cbranch_execz .LBB29_868
.LBB29_846:                             ; =>This Inner Loop Header: Depth=1
	v_and_b32_e32 v19, 1, v4
	v_cmp_eq_u32_e32 vcc, 1, v19
	s_and_saveexec_b64 s[28:29], vcc
	s_cbranch_execz .LBB29_845
; %bb.847:                              ;   in Loop: Header=BB29_846 Depth=1
	v_mul_lo_u32 v19, s27, v6
	v_mul_lo_u32 v20, s26, v7
	v_mad_u64_u32 v[6:7], s[18:19], s26, v6, 0
	s_add_u32 s18, 0x402, s34
	v_add3_u32 v7, v7, v20, v19
	s_addc_u32 s19, 0, 0
	v_add_co_u32_e32 v19, vcc, s18, v18
	s_cmp_lg_u64 vcc, 0
	v_readfirstlane_b32 vcc_lo, v19
	s_addc_u32 s18, s19, 1
	s_mul_hi_u32 vcc_hi, vcc_lo, 0x80000001
	s_mul_i32 s19, s18, 0x80000001
	s_sub_i32 vcc_hi, vcc_hi, vcc_lo
	s_add_i32 vcc_hi, vcc_hi, s19
	s_mul_i32 s36, vcc_lo, 0x80000001
	s_mul_hi_u32 s19, vcc_lo, vcc_hi
	s_mul_i32 s35, vcc_lo, vcc_hi
	s_mul_hi_u32 vcc_lo, vcc_lo, s36
	s_add_u32 vcc_lo, vcc_lo, s35
	s_addc_u32 s19, 0, s19
	s_mul_hi_u32 s37, s18, s36
	s_mul_i32 s36, s18, s36
	s_add_u32 vcc_lo, vcc_lo, s36
	s_mul_hi_u32 s35, s18, vcc_hi
	s_addc_u32 s19, s19, s37
	s_addc_u32 vcc_lo, s35, 0
	s_mul_i32 vcc_hi, s18, vcc_hi
	s_add_u32 s19, s19, vcc_hi
	s_addc_u32 s35, 0, vcc_lo
	v_add_co_u32_e32 v19, vcc, s19, v19
	s_cmp_lg_u64 vcc, 0
	s_addc_u32 s35, s18, s35
	v_mad_u64_u32 v[20:21], s[18:19], v6, s35, 0
	v_mul_hi_u32 v22, v6, v19
	v_add_co_u32_e32 v24, vcc, v22, v20
	v_addc_co_u32_e32 v25, vcc, 0, v21, vcc
	v_mad_u64_u32 v[22:23], s[18:19], v7, v19, 0
	v_add_co_u32_e32 v19, vcc, v24, v22
	v_mad_u64_u32 v[20:21], s[18:19], v7, s35, 0
	v_addc_co_u32_e32 v19, vcc, v25, v23, vcc
	v_addc_co_u32_e32 v21, vcc, 0, v21, vcc
	v_add_co_u32_e32 v19, vcc, v19, v20
	v_addc_co_u32_e32 v23, vcc, 0, v21, vcc
	v_mad_u64_u32 v[20:21], s[18:19], v19, s30, 0
	v_mov_b32_e32 v22, v21
	v_mad_u64_u32 v[22:23], s[18:19], v23, s30, v[22:23]
	v_sub_co_u32_e32 v6, vcc, v6, v20
	v_subb_co_u32_e32 v7, vcc, v7, v22, vcc
	v_subrev_co_u32_e32 v19, vcc, s30, v6
	v_subbrev_co_u32_e32 v20, vcc, 0, v7, vcc
	v_subrev_co_u32_e32 v21, vcc, s30, v19
	v_subbrev_co_u32_e32 v22, vcc, 0, v20, vcc
	v_cmp_lt_u32_e32 vcc, s31, v19
	v_cndmask_b32_e64 v23, 0, -1, vcc
	v_cmp_eq_u32_e32 vcc, 0, v20
	v_cndmask_b32_e32 v23, -1, v23, vcc
	v_cmp_ne_u32_e32 vcc, 0, v23
	v_cmp_lt_u32_e64 s[18:19], s31, v6
	v_cndmask_b32_e32 v20, v20, v22, vcc
	v_cndmask_b32_e64 v22, 0, -1, s[18:19]
	v_cmp_eq_u32_e64 s[18:19], 0, v7
	v_cndmask_b32_e64 v22, -1, v22, s[18:19]
	v_cmp_ne_u32_e64 s[18:19], 0, v22
	v_cndmask_b32_e32 v19, v19, v21, vcc
	v_cndmask_b32_e64 v7, v7, v20, s[18:19]
	v_cndmask_b32_e64 v6, v6, v19, s[18:19]
	s_branch .LBB29_845
.LBB29_848:
	s_or_b64 exec, exec, s[28:29]
	s_movk_i32 s18, 0x401
	s_add_u32 s18, 0x402, s18
	v_mov_b32_e32 v8, 0xfffff800
	s_addc_u32 s19, 0, 0
	v_add_co_u32_e32 v8, vcc, s18, v8
	s_cmp_lg_u64 vcc, 0
	v_readfirstlane_b32 s28, v8
	s_addc_u32 s18, s19, 1
	s_mul_hi_u32 s29, s28, 0x80000001
	s_mul_i32 s19, s18, 0x80000001
	s_sub_i32 s29, s29, s28
	s_add_i32 s29, s29, s19
	s_mul_i32 vcc_hi, s28, 0x80000001
	s_mul_hi_u32 s19, s28, s29
	s_mul_i32 vcc_lo, s28, s29
	s_mul_hi_u32 s28, s28, vcc_hi
	s_add_u32 s28, s28, vcc_lo
	s_addc_u32 s19, 0, s19
	s_mul_hi_u32 s30, s18, vcc_hi
	s_mul_i32 vcc_hi, s18, vcc_hi
	s_add_u32 s28, s28, vcc_hi
	s_mul_hi_u32 vcc_lo, s18, s29
	s_addc_u32 s19, s19, s30
	s_addc_u32 s28, vcc_lo, 0
	s_mul_i32 s29, s18, s29
	s_add_u32 s19, s19, s29
	s_addc_u32 s28, 0, s28
	v_add_co_u32_e32 v8, vcc, s19, v8
	s_cmp_lg_u64 vcc, 0
	s_addc_u32 s28, s18, s28
	v_mad_u64_u32 v[14:15], s[18:19], v16, s28, 0
	v_mul_hi_u32 v22, v16, v8
	v_add_co_u32_e32 v24, vcc, v22, v14
	v_addc_co_u32_e32 v25, vcc, 0, v15, vcc
	v_mad_u64_u32 v[22:23], s[18:19], v17, v8, 0
	v_add_co_u32_e32 v8, vcc, v24, v22
	v_mad_u64_u32 v[14:15], s[18:19], v17, s28, 0
	v_addc_co_u32_e32 v8, vcc, v25, v23, vcc
	v_addc_co_u32_e32 v15, vcc, 0, v15, vcc
	v_add_co_u32_e32 v8, vcc, v8, v14
	s_brev_b32 s28, -2
	v_addc_co_u32_e32 v22, vcc, 0, v15, vcc
	v_mad_u64_u32 v[14:15], s[18:19], v8, s28, 0
	v_mov_b32_e32 v8, v15
	v_mad_u64_u32 v[22:23], s[18:19], v22, s28, v[8:9]
	v_sub_co_u32_e32 v8, vcc, v16, v14
	v_subb_co_u32_e32 v14, vcc, v17, v22, vcc
	v_subrev_co_u32_e32 v15, vcc, 0x7fffffff, v8
	v_subbrev_co_u32_e32 v16, vcc, 0, v14, vcc
	s_mov_b32 s18, 0x7ffffffe
	v_cmp_lt_u32_e32 vcc, s18, v15
	v_cndmask_b32_e64 v17, 0, -1, vcc
	v_cmp_eq_u32_e32 vcc, 0, v16
	v_cndmask_b32_e32 v16, -1, v17, vcc
	v_add_u32_e32 v17, 0x80000001, v15
	v_cmp_ne_u32_e32 vcc, 0, v16
	v_cndmask_b32_e32 v15, v15, v17, vcc
	v_cmp_lt_u32_e32 vcc, s18, v8
	v_cndmask_b32_e64 v16, 0, -1, vcc
	v_cmp_eq_u32_e32 vcc, 0, v14
	v_cndmask_b32_e32 v14, -1, v16, vcc
	v_cmp_ne_u32_e32 vcc, 0, v14
	v_cndmask_b32_e32 v15, v8, v15, vcc
.LBB29_849:
	s_or_b64 exec, exec, s[26:27]
	s_movk_i32 s26, 0x1388
	v_mov_b32_e32 v14, 0
	s_mov_b32 s27, 0xbc8f1391
	s_mov_b32 s28, 0xbc8f
	s_brev_b32 s29, 12
	s_mov_b32 s30, 0xf800000
	v_mov_b32_e32 v8, 0x260
.LBB29_850:                             ; =>This Inner Loop Header: Depth=1
	v_mul_hi_u32 v16, v15, s27
	v_lshrrev_b32_e32 v16, 15, v16
	v_mul_u32_u24_e32 v22, 0xadc8, v16
	v_sub_u32_e32 v15, v15, v22
	v_mul_u32_u24_e32 v16, 0xd47, v16
	v_mul_lo_u32 v15, v15, s28
	v_xor_b32_e32 v22, 0x7fffffff, v16
	v_sub_u32_e32 v23, 0, v16
	v_cmp_lt_u32_e32 vcc, v15, v16
	v_cndmask_b32_e32 v16, v23, v22, vcc
	v_add_u32_e32 v15, v16, v15
	v_mul_hi_u32 v22, v15, s27
	v_lshrrev_b32_e32 v22, 15, v22
	v_mul_u32_u24_e32 v23, 0xadc8, v22
	v_add_u32_e32 v16, -1, v15
	v_sub_u32_e32 v15, v15, v23
	v_mul_u32_u24_e32 v22, 0xd47, v22
	v_mul_lo_u32 v15, v15, s28
	v_xor_b32_e32 v23, 0x7fffffff, v22
	v_sub_u32_e32 v24, 0, v22
	v_cmp_lt_u32_e32 vcc, v15, v22
	v_cndmask_b32_e32 v22, v24, v23, vcc
	v_add_u32_e32 v15, v22, v15
	v_mul_hi_u32 v23, v15, s27
	v_add_u32_e32 v22, -1, v15
	v_lshrrev_b32_e32 v23, 15, v23
	v_cvt_f32_u32_e32 v22, v22
	v_mul_u32_u24_e32 v24, 0xadc8, v23
	v_cvt_f32_u32_e32 v16, v16
	v_sub_u32_e32 v15, v15, v24
	v_mul_u32_u24_e32 v23, 0xd47, v23
	v_mul_lo_u32 v15, v15, s28
	v_xor_b32_e32 v24, 0x7fffffff, v23
	v_sub_u32_e32 v25, 0, v23
	v_cmp_lt_u32_e32 vcc, v15, v23
	v_fma_f32 v22, v22, s29, 0
	v_cndmask_b32_e32 v23, v25, v24, vcc
	v_fma_f32 v16, v16, s29, 0
	v_mul_f32_e32 v22, v22, v22
	v_add_u32_e32 v15, v23, v15
	v_fmac_f32_e32 v22, v16, v16
	v_mul_hi_u32 v23, v15, s27
	v_mul_f32_e32 v24, 0x4f800000, v22
	v_lshrrev_b32_e32 v23, 15, v23
	v_cmp_gt_f32_e32 vcc, s30, v22
	v_cndmask_b32_e32 v22, v22, v24, vcc
	v_mul_u32_u24_e32 v24, 0xadc8, v23
	v_add_u32_e32 v16, -1, v15
	v_sqrt_f32_e32 v25, v22
	v_sub_u32_e32 v15, v15, v24
	v_mul_u32_u24_e32 v23, 0xd47, v23
	v_mul_lo_u32 v15, v15, s28
	v_xor_b32_e32 v24, 0x7fffffff, v23
	v_sub_u32_e32 v26, 0, v23
	v_cmp_lt_u32_e64 s[18:19], v15, v23
	v_cndmask_b32_e64 v23, v26, v24, s[18:19]
	v_add_u32_e32 v15, v23, v15
	v_add_u32_e32 v23, -1, v25
	v_add_u32_e32 v24, 1, v25
	v_add_u32_e32 v26, -1, v15
	v_fma_f32 v27, -v23, v25, v22
	v_fma_f32 v28, -v24, v25, v22
	v_cvt_f32_u32_e32 v26, v26
	v_cmp_ge_f32_e64 s[18:19], 0, v27
	v_cvt_f32_u32_e32 v16, v16
	v_cndmask_b32_e64 v23, v25, v23, s[18:19]
	v_cmp_lt_f32_e64 s[18:19], 0, v28
	v_cndmask_b32_e64 v23, v23, v24, s[18:19]
	v_mul_f32_e32 v24, 0x37800000, v23
	v_cndmask_b32_e32 v23, v23, v24, vcc
	v_fma_f32 v24, v26, s29, 0
	v_cmp_class_f32_e32 vcc, v22, v8
	v_fma_f32 v16, v16, s29, 0
	v_cndmask_b32_e32 v22, v23, v22, vcc
	v_mul_f32_e32 v23, v24, v24
	v_add_f32_e32 v17, 1.0, v14
	v_cmp_nge_f32_e32 vcc, 1.0, v22
	v_fmac_f32_e32 v23, v16, v16
	v_cndmask_b32_e32 v14, v17, v14, vcc
	v_mul_f32_e32 v16, 0x4f800000, v23
	v_cmp_gt_f32_e32 vcc, s30, v23
	v_cndmask_b32_e32 v16, v23, v16, vcc
	v_sqrt_f32_e32 v22, v16
	s_add_i32 s26, s26, -2
	v_add_f32_e32 v17, 1.0, v14
	s_cmp_lg_u32 s26, 0
	v_add_u32_e32 v23, -1, v22
	v_add_u32_e32 v24, 1, v22
	v_fma_f32 v25, -v23, v22, v16
	v_fma_f32 v26, -v24, v22, v16
	v_cmp_ge_f32_e64 s[18:19], 0, v25
	v_cndmask_b32_e64 v22, v22, v23, s[18:19]
	v_cmp_lt_f32_e64 s[18:19], 0, v26
	v_cndmask_b32_e64 v22, v22, v24, s[18:19]
	v_mul_f32_e32 v23, 0x37800000, v22
	v_cndmask_b32_e32 v22, v22, v23, vcc
	v_cmp_class_f32_e32 vcc, v16, v8
	v_cndmask_b32_e32 v16, v22, v16, vcc
	v_cmp_nge_f32_e32 vcc, 1.0, v16
	v_cndmask_b32_e32 v14, v17, v14, vcc
	s_cbranch_scc1 .LBB29_850
; %bb.851:
	v_mul_f32_e32 v8, 4.0, v14
	s_mov_b32 s26, 0x459c4000
	v_div_scale_f32 v14, s[18:19], s26, s26, v8
	v_rcp_f32_e32 v15, v14
	v_fma_f32 v16, -v14, v15, 1.0
	v_fmac_f32_e32 v15, v16, v15
	v_div_scale_f32 v16, vcc, v8, s26, v8
	v_mul_f32_e32 v17, v16, v15
	v_fma_f32 v22, -v14, v17, v16
	v_fmac_f32_e32 v17, v22, v15
	v_fma_f32 v14, -v14, v17, v16
	v_div_fmas_f32 v14, v14, v15, v17
	v_div_fixup_f32 v8, v14, s26, v8
.LBB29_852:
	s_or_b64 exec, exec, s[20:21]
	v_add_u32_e32 v14, 0x380, v19
	v_cmp_lt_u32_e64 s[18:19], v14, v20
	s_and_saveexec_b64 s[26:27], s[18:19]
	s_cbranch_execz .LBB29_882
; %bb.853:
	v_add_u32_e32 v9, v21, v14
	s_movk_i32 s20, 0x1388
	v_mul_lo_u32 v14, v9, s20
	v_cmp_ne_u32_e32 vcc, 0, v14
	v_mov_b32_e32 v15, 1
	s_and_saveexec_b64 s[28:29], vcc
	s_cbranch_execz .LBB29_879
; %bb.854:
	v_mov_b32_e32 v16, 1
	v_mov_b32_e32 v15, 0
	s_mov_b64 s[34:35], 0xbc8f
	s_mov_b64 s[30:31], 0
	v_mov_b32_e32 v17, 0
	s_brev_b32 s38, -2
	s_mov_b32 s39, 0x7ffffffe
	v_mov_b32_e32 v9, 0xfffff800
	s_movk_i32 s40, 0x401
	s_branch .LBB29_856
.LBB29_855:                             ;   in Loop: Header=BB29_856 Depth=1
	s_or_b64 exec, exec, s[36:37]
	s_mul_i32 s20, s34, s35
	s_mul_hi_u32 s21, s34, s34
	s_add_i32 s21, s21, s20
	s_add_i32 s20, s21, s20
	s_add_u32 vcc_lo, 0x402, s40
	s_mul_i32 s21, s34, s34
	s_addc_u32 s34, 0, 0
	v_add_co_u32_e32 v21, vcc, vcc_lo, v9
	s_cmp_lg_u64 vcc, 0
	v_readfirstlane_b32 vcc_hi, v21
	s_addc_u32 s34, s34, 1
	s_mul_hi_u32 s35, vcc_hi, 0x80000001
	s_mul_i32 vcc_lo, s34, 0x80000001
	s_sub_i32 s35, s35, vcc_hi
	s_add_i32 s35, s35, vcc_lo
	s_mul_i32 s37, vcc_hi, 0x80000001
	s_mul_hi_u32 vcc_lo, vcc_hi, s35
	s_mul_i32 s36, vcc_hi, s35
	s_mul_hi_u32 vcc_hi, vcc_hi, s37
	s_add_u32 vcc_hi, vcc_hi, s36
	s_addc_u32 vcc_lo, 0, vcc_lo
	s_mul_hi_u32 s41, s34, s37
	s_mul_i32 s37, s34, s37
	s_add_u32 vcc_hi, vcc_hi, s37
	s_mul_hi_u32 s36, s34, s35
	s_addc_u32 vcc_lo, vcc_lo, s41
	s_addc_u32 vcc_hi, s36, 0
	s_mul_i32 s35, s34, s35
	s_add_u32 vcc_lo, vcc_lo, s35
	s_addc_u32 s35, 0, vcc_hi
	v_add_co_u32_e32 v21, vcc, vcc_lo, v21
	s_cmp_lg_u64 vcc, 0
	s_addc_u32 vcc_lo, s34, s35
	v_readfirstlane_b32 s35, v21
	s_mul_i32 s34, s21, vcc_lo
	s_mul_hi_u32 s36, s21, s35
	s_mul_hi_u32 vcc_hi, s21, vcc_lo
	s_add_u32 s34, s36, s34
	s_addc_u32 vcc_hi, 0, vcc_hi
	s_mul_hi_u32 s37, s20, s35
	s_mul_i32 s35, s20, s35
	s_add_u32 s34, s34, s35
	s_mul_hi_u32 s36, s20, vcc_lo
	s_addc_u32 vcc_hi, vcc_hi, s37
	s_addc_u32 s34, s36, 0
	s_mul_i32 vcc_lo, s20, vcc_lo
	s_add_u32 vcc_lo, vcc_hi, vcc_lo
	s_addc_u32 vcc_hi, 0, s34
	s_mul_hi_u32 s34, vcc_lo, 0x7fffffff
	s_mul_i32 vcc_lo, vcc_lo, 0x7fffffff
	s_mul_i32 vcc_hi, vcc_hi, 0x7fffffff
	v_mov_b32_e32 v21, vcc_lo
	s_add_i32 s34, s34, vcc_hi
	v_sub_co_u32_e32 v21, vcc, s21, v21
	s_cmp_lg_u64 vcc, 0
	s_subb_u32 s20, s20, s34
	v_subrev_co_u32_e32 v24, vcc, s38, v21
	s_cmp_lg_u64 vcc, 0
	s_subb_u32 s21, s20, 0
	v_subrev_co_u32_e32 v25, vcc, s38, v24
	s_cmp_lg_u64 vcc, 0
	s_subb_u32 vcc_lo, s21, 0
	v_readfirstlane_b32 vcc_hi, v24
	s_cmp_gt_u32 vcc_hi, 0x7ffffffe
	s_cselect_b32 s34, -1, 0
	s_cmp_eq_u32 s21, 0
	s_cselect_b32 s34, s34, -1
	s_cmp_lg_u32 s34, 0
	s_cselect_b32 s21, vcc_lo, s21
	v_readfirstlane_b32 vcc_lo, v25
	s_cselect_b32 vcc_lo, vcc_lo, vcc_hi
	v_readfirstlane_b32 vcc_hi, v21
	s_cmp_gt_u32 vcc_hi, 0x7ffffffe
	s_cselect_b32 s34, -1, 0
	s_cmp_eq_u32 s20, 0
	s_cselect_b32 s34, s34, -1
	s_cmp_lg_u32 s34, 0
	v_lshrrev_b64 v[22:23], 1, v[14:15]
	s_cselect_b32 s34, vcc_lo, vcc_hi
	v_cmp_gt_u64_e32 vcc, 2, v[14:15]
	s_cselect_b32 s35, s21, s20
	s_or_b64 s[30:31], vcc, s[30:31]
	v_pk_mov_b32 v[14:15], v[22:23], v[22:23] op_sel:[0,1]
	s_andn2_b64 exec, exec, s[30:31]
	s_cbranch_execz .LBB29_878
.LBB29_856:                             ; =>This Inner Loop Header: Depth=1
	v_and_b32_e32 v21, 1, v14
	v_cmp_eq_u32_e32 vcc, 1, v21
	s_and_saveexec_b64 s[36:37], vcc
	s_cbranch_execz .LBB29_855
; %bb.857:                              ;   in Loop: Header=BB29_856 Depth=1
	v_mul_lo_u32 v21, s35, v16
	v_mul_lo_u32 v22, s34, v17
	v_mad_u64_u32 v[16:17], s[20:21], s34, v16, 0
	s_add_u32 s20, 0x402, s40
	v_add3_u32 v17, v17, v22, v21
	s_addc_u32 s21, 0, 0
	v_add_co_u32_e32 v21, vcc, s20, v9
	s_cmp_lg_u64 vcc, 0
	v_readfirstlane_b32 vcc_lo, v21
	s_addc_u32 s20, s21, 1
	s_mul_hi_u32 vcc_hi, vcc_lo, 0x80000001
	s_mul_i32 s21, s20, 0x80000001
	s_sub_i32 vcc_hi, vcc_hi, vcc_lo
	s_add_i32 vcc_hi, vcc_hi, s21
	s_mul_i32 s42, vcc_lo, 0x80000001
	s_mul_hi_u32 s21, vcc_lo, vcc_hi
	s_mul_i32 s41, vcc_lo, vcc_hi
	s_mul_hi_u32 vcc_lo, vcc_lo, s42
	s_add_u32 vcc_lo, vcc_lo, s41
	s_addc_u32 s21, 0, s21
	s_mul_hi_u32 s43, s20, s42
	s_mul_i32 s42, s20, s42
	s_add_u32 vcc_lo, vcc_lo, s42
	s_mul_hi_u32 s41, s20, vcc_hi
	s_addc_u32 s21, s21, s43
	s_addc_u32 vcc_lo, s41, 0
	s_mul_i32 vcc_hi, s20, vcc_hi
	s_add_u32 s21, s21, vcc_hi
	s_addc_u32 s41, 0, vcc_lo
	v_add_co_u32_e32 v21, vcc, s21, v21
	s_cmp_lg_u64 vcc, 0
	s_addc_u32 s41, s20, s41
	v_mad_u64_u32 v[22:23], s[20:21], v16, s41, 0
	v_mul_hi_u32 v24, v16, v21
	v_add_co_u32_e32 v26, vcc, v24, v22
	v_addc_co_u32_e32 v27, vcc, 0, v23, vcc
	v_mad_u64_u32 v[24:25], s[20:21], v17, v21, 0
	v_add_co_u32_e32 v21, vcc, v26, v24
	v_mad_u64_u32 v[22:23], s[20:21], v17, s41, 0
	v_addc_co_u32_e32 v21, vcc, v27, v25, vcc
	v_addc_co_u32_e32 v23, vcc, 0, v23, vcc
	v_add_co_u32_e32 v21, vcc, v21, v22
	v_addc_co_u32_e32 v25, vcc, 0, v23, vcc
	v_mad_u64_u32 v[22:23], s[20:21], v21, s38, 0
	v_mov_b32_e32 v24, v23
	v_mad_u64_u32 v[24:25], s[20:21], v25, s38, v[24:25]
	v_sub_co_u32_e32 v16, vcc, v16, v22
	v_subb_co_u32_e32 v17, vcc, v17, v24, vcc
	v_subrev_co_u32_e32 v21, vcc, s38, v16
	v_subbrev_co_u32_e32 v22, vcc, 0, v17, vcc
	v_subrev_co_u32_e32 v23, vcc, s38, v21
	v_subbrev_co_u32_e32 v24, vcc, 0, v22, vcc
	v_cmp_lt_u32_e32 vcc, s39, v21
	v_cndmask_b32_e64 v25, 0, -1, vcc
	v_cmp_eq_u32_e32 vcc, 0, v22
	v_cndmask_b32_e32 v25, -1, v25, vcc
	v_cmp_ne_u32_e32 vcc, 0, v25
	v_cmp_lt_u32_e64 s[20:21], s39, v16
	v_cndmask_b32_e32 v22, v22, v24, vcc
	v_cndmask_b32_e64 v24, 0, -1, s[20:21]
	v_cmp_eq_u32_e64 s[20:21], 0, v17
	v_cndmask_b32_e64 v24, -1, v24, s[20:21]
	v_cmp_ne_u32_e64 s[20:21], 0, v24
	v_cndmask_b32_e32 v21, v21, v23, vcc
	v_cndmask_b32_e64 v17, v17, v22, s[20:21]
	v_cndmask_b32_e64 v16, v16, v21, s[20:21]
	s_branch .LBB29_855
.LBB29_858:
	s_or_b64 exec, exec, s[24:25]
	s_movk_i32 s18, 0x401
	s_add_u32 s18, 0x402, s18
	v_mov_b32_e32 v8, 0xfffff800
	s_addc_u32 s19, 0, 0
	v_add_co_u32_e32 v8, vcc, s18, v8
	s_cmp_lg_u64 vcc, 0
	v_readfirstlane_b32 s24, v8
	s_addc_u32 s18, s19, 1
	s_mul_hi_u32 s25, s24, 0x80000001
	s_mul_i32 s19, s18, 0x80000001
	s_sub_i32 s25, s25, s24
	s_add_i32 s25, s25, s19
	s_mul_i32 s27, s24, 0x80000001
	s_mul_hi_u32 s19, s24, s25
	s_mul_i32 s26, s24, s25
	s_mul_hi_u32 s24, s24, s27
	s_add_u32 s24, s24, s26
	s_addc_u32 s19, 0, s19
	s_mul_hi_u32 s28, s18, s27
	s_mul_i32 s27, s18, s27
	s_add_u32 s24, s24, s27
	s_mul_hi_u32 s26, s18, s25
	s_addc_u32 s19, s19, s28
	s_addc_u32 s24, s26, 0
	s_mul_i32 s25, s18, s25
	s_add_u32 s19, s19, s25
	s_addc_u32 s24, 0, s24
	v_add_co_u32_e32 v8, vcc, s19, v8
	s_cmp_lg_u64 vcc, 0
	s_addc_u32 s24, s18, s24
	v_mad_u64_u32 v[22:23], s[18:19], v24, s24, 0
	v_mul_hi_u32 v30, v24, v8
	v_add_co_u32_e32 v30, vcc, v30, v22
	v_addc_co_u32_e32 v34, vcc, 0, v23, vcc
	v_mad_u64_u32 v[32:33], s[18:19], v25, v8, 0
	v_add_co_u32_e32 v8, vcc, v30, v32
	v_mad_u64_u32 v[22:23], s[18:19], v25, s24, 0
	v_addc_co_u32_e32 v8, vcc, v34, v33, vcc
	v_addc_co_u32_e32 v23, vcc, 0, v23, vcc
	v_add_co_u32_e32 v8, vcc, v8, v22
	s_brev_b32 s24, -2
	v_addc_co_u32_e32 v30, vcc, 0, v23, vcc
	v_mad_u64_u32 v[22:23], s[18:19], v8, s24, 0
	v_mov_b32_e32 v8, v23
	v_mad_u64_u32 v[32:33], s[18:19], v30, s24, v[8:9]
	v_sub_co_u32_e32 v8, vcc, v24, v22
	v_subb_co_u32_e32 v22, vcc, v25, v32, vcc
	v_subrev_co_u32_e32 v23, vcc, 0x7fffffff, v8
	v_subbrev_co_u32_e32 v24, vcc, 0, v22, vcc
	s_mov_b32 s18, 0x7ffffffe
	v_cmp_lt_u32_e32 vcc, s18, v23
	v_cndmask_b32_e64 v25, 0, -1, vcc
	v_cmp_eq_u32_e32 vcc, 0, v24
	v_cndmask_b32_e32 v24, -1, v25, vcc
	v_add_u32_e32 v25, 0x80000001, v23
	v_cmp_ne_u32_e32 vcc, 0, v24
	v_cndmask_b32_e32 v23, v23, v25, vcc
	v_cmp_lt_u32_e32 vcc, s18, v8
	v_cndmask_b32_e64 v24, 0, -1, vcc
	v_cmp_eq_u32_e32 vcc, 0, v22
	v_cndmask_b32_e32 v22, -1, v24, vcc
	v_cmp_ne_u32_e32 vcc, 0, v22
	v_cndmask_b32_e32 v23, v8, v23, vcc
.LBB29_859:
	s_or_b64 exec, exec, s[22:23]
	s_movk_i32 s22, 0x1388
	v_mov_b32_e32 v22, 0
	s_mov_b32 s23, 0xbc8f1391
	s_mov_b32 s24, 0xbc8f
	s_brev_b32 s25, 12
	s_mov_b32 s26, 0xf800000
	v_mov_b32_e32 v8, 0x260
.LBB29_860:                             ; =>This Inner Loop Header: Depth=1
	v_mul_hi_u32 v24, v23, s23
	v_lshrrev_b32_e32 v24, 15, v24
	v_mul_u32_u24_e32 v30, 0xadc8, v24
	v_sub_u32_e32 v23, v23, v30
	v_mul_u32_u24_e32 v24, 0xd47, v24
	v_mul_lo_u32 v23, v23, s24
	v_xor_b32_e32 v30, 0x7fffffff, v24
	v_sub_u32_e32 v32, 0, v24
	v_cmp_lt_u32_e32 vcc, v23, v24
	v_cndmask_b32_e32 v24, v32, v30, vcc
	v_add_u32_e32 v23, v24, v23
	v_mul_hi_u32 v30, v23, s23
	v_lshrrev_b32_e32 v30, 15, v30
	v_mul_u32_u24_e32 v32, 0xadc8, v30
	v_add_u32_e32 v24, -1, v23
	v_sub_u32_e32 v23, v23, v32
	v_mul_u32_u24_e32 v30, 0xd47, v30
	v_mul_lo_u32 v23, v23, s24
	v_xor_b32_e32 v32, 0x7fffffff, v30
	v_sub_u32_e32 v33, 0, v30
	v_cmp_lt_u32_e32 vcc, v23, v30
	v_cndmask_b32_e32 v30, v33, v32, vcc
	v_add_u32_e32 v23, v30, v23
	v_mul_hi_u32 v32, v23, s23
	v_add_u32_e32 v30, -1, v23
	v_lshrrev_b32_e32 v32, 15, v32
	v_cvt_f32_u32_e32 v30, v30
	v_mul_u32_u24_e32 v33, 0xadc8, v32
	v_cvt_f32_u32_e32 v24, v24
	v_sub_u32_e32 v23, v23, v33
	v_mul_u32_u24_e32 v32, 0xd47, v32
	v_mul_lo_u32 v23, v23, s24
	v_xor_b32_e32 v33, 0x7fffffff, v32
	v_sub_u32_e32 v34, 0, v32
	v_cmp_lt_u32_e32 vcc, v23, v32
	v_fma_f32 v30, v30, s25, 0
	v_cndmask_b32_e32 v32, v34, v33, vcc
	v_fma_f32 v24, v24, s25, 0
	v_mul_f32_e32 v30, v30, v30
	v_add_u32_e32 v23, v32, v23
	v_fmac_f32_e32 v30, v24, v24
	v_mul_hi_u32 v32, v23, s23
	v_mul_f32_e32 v33, 0x4f800000, v30
	v_lshrrev_b32_e32 v32, 15, v32
	v_cmp_gt_f32_e32 vcc, s26, v30
	v_cndmask_b32_e32 v30, v30, v33, vcc
	v_mul_u32_u24_e32 v33, 0xadc8, v32
	v_add_u32_e32 v24, -1, v23
	v_sqrt_f32_e32 v34, v30
	v_sub_u32_e32 v23, v23, v33
	v_mul_u32_u24_e32 v32, 0xd47, v32
	v_mul_lo_u32 v23, v23, s24
	v_xor_b32_e32 v33, 0x7fffffff, v32
	v_sub_u32_e32 v35, 0, v32
	v_cmp_lt_u32_e64 s[18:19], v23, v32
	v_cndmask_b32_e64 v32, v35, v33, s[18:19]
	v_add_u32_e32 v23, v32, v23
	v_add_u32_e32 v32, -1, v34
	v_add_u32_e32 v33, 1, v34
	v_add_u32_e32 v35, -1, v23
	v_fma_f32 v36, -v32, v34, v30
	v_fma_f32 v37, -v33, v34, v30
	v_cvt_f32_u32_e32 v35, v35
	v_cmp_ge_f32_e64 s[18:19], 0, v36
	v_cvt_f32_u32_e32 v24, v24
	v_cndmask_b32_e64 v32, v34, v32, s[18:19]
	v_cmp_lt_f32_e64 s[18:19], 0, v37
	v_cndmask_b32_e64 v32, v32, v33, s[18:19]
	v_mul_f32_e32 v33, 0x37800000, v32
	v_cndmask_b32_e32 v32, v32, v33, vcc
	v_fma_f32 v33, v35, s25, 0
	v_cmp_class_f32_e32 vcc, v30, v8
	v_fma_f32 v24, v24, s25, 0
	v_cndmask_b32_e32 v30, v32, v30, vcc
	v_mul_f32_e32 v32, v33, v33
	v_add_f32_e32 v25, 1.0, v22
	v_cmp_nge_f32_e32 vcc, 1.0, v30
	v_fmac_f32_e32 v32, v24, v24
	v_cndmask_b32_e32 v22, v25, v22, vcc
	v_mul_f32_e32 v24, 0x4f800000, v32
	v_cmp_gt_f32_e32 vcc, s26, v32
	v_cndmask_b32_e32 v24, v32, v24, vcc
	v_sqrt_f32_e32 v30, v24
	s_add_i32 s22, s22, -2
	v_add_f32_e32 v25, 1.0, v22
	s_cmp_lg_u32 s22, 0
	v_add_u32_e32 v32, -1, v30
	v_add_u32_e32 v33, 1, v30
	v_fma_f32 v34, -v32, v30, v24
	v_fma_f32 v35, -v33, v30, v24
	v_cmp_ge_f32_e64 s[18:19], 0, v34
	v_cndmask_b32_e64 v30, v30, v32, s[18:19]
	v_cmp_lt_f32_e64 s[18:19], 0, v35
	v_cndmask_b32_e64 v30, v30, v33, s[18:19]
	v_mul_f32_e32 v32, 0x37800000, v30
	v_cndmask_b32_e32 v30, v30, v32, vcc
	v_cmp_class_f32_e32 vcc, v24, v8
	v_cndmask_b32_e32 v24, v30, v24, vcc
	v_cmp_nge_f32_e32 vcc, 1.0, v24
	v_cndmask_b32_e32 v22, v25, v22, vcc
	s_cbranch_scc1 .LBB29_860
; %bb.861:
	v_mul_f32_e32 v8, 4.0, v22
	s_mov_b32 s22, 0x459c4000
	v_div_scale_f32 v22, s[18:19], s22, s22, v8
	v_rcp_f32_e32 v23, v22
	v_fma_f32 v24, -v22, v23, 1.0
	v_fmac_f32_e32 v23, v24, v23
	v_div_scale_f32 v24, vcc, v8, s22, v8
	v_mul_f32_e32 v25, v24, v23
	v_fma_f32 v30, -v22, v25, v24
	v_fmac_f32_e32 v25, v30, v23
	v_fma_f32 v22, -v22, v25, v24
	v_div_fmas_f32 v22, v22, v23, v25
	v_div_fixup_f32 v8, v22, s22, v8
.LBB29_862:
	s_or_b64 exec, exec, s[20:21]
	v_add_u32_e32 v22, 0x380, v27
	v_cmp_lt_u32_e64 s[18:19], v22, v28
	s_and_saveexec_b64 s[22:23], s[18:19]
	s_cbranch_execz .LBB29_891
; %bb.863:
	v_add_u32_e32 v9, v29, v22
	s_movk_i32 s20, 0x1388
	v_mul_lo_u32 v22, v9, s20
	v_cmp_ne_u32_e32 vcc, 0, v22
	v_mov_b32_e32 v23, 1
	s_and_saveexec_b64 s[24:25], vcc
	s_cbranch_execz .LBB29_888
; %bb.864:
	v_mov_b32_e32 v24, 1
	v_mov_b32_e32 v23, 0
	s_mov_b64 s[28:29], 0xbc8f
	s_mov_b64 s[26:27], 0
	v_mov_b32_e32 v25, 0
	s_brev_b32 s34, -2
	s_mov_b32 s35, 0x7ffffffe
	v_mov_b32_e32 v9, 0xfffff800
	s_movk_i32 s36, 0x401
	s_branch .LBB29_866
.LBB29_865:                             ;   in Loop: Header=BB29_866 Depth=1
	s_or_b64 exec, exec, s[30:31]
	s_mul_i32 s20, s28, s29
	s_mul_hi_u32 s21, s28, s28
	s_add_i32 s21, s21, s20
	s_add_i32 s20, s21, s20
	s_mul_i32 s21, s28, s28
	s_add_u32 s28, 0x402, s36
	s_addc_u32 s29, 0, 0
	v_add_co_u32_e32 v30, vcc, s28, v9
	s_cmp_lg_u64 vcc, 0
	v_readfirstlane_b32 vcc_lo, v30
	s_addc_u32 s28, s29, 1
	s_mul_hi_u32 vcc_hi, vcc_lo, 0x80000001
	s_mul_i32 s29, s28, 0x80000001
	s_sub_i32 vcc_hi, vcc_hi, vcc_lo
	s_add_i32 vcc_hi, vcc_hi, s29
	s_mul_i32 s31, vcc_lo, 0x80000001
	s_mul_hi_u32 s29, vcc_lo, vcc_hi
	s_mul_i32 s30, vcc_lo, vcc_hi
	s_mul_hi_u32 vcc_lo, vcc_lo, s31
	s_add_u32 vcc_lo, vcc_lo, s30
	s_addc_u32 s29, 0, s29
	s_mul_hi_u32 s37, s28, s31
	s_mul_i32 s31, s28, s31
	s_add_u32 vcc_lo, vcc_lo, s31
	s_mul_hi_u32 s30, s28, vcc_hi
	s_addc_u32 s29, s29, s37
	s_addc_u32 vcc_lo, s30, 0
	s_mul_i32 vcc_hi, s28, vcc_hi
	s_add_u32 s29, s29, vcc_hi
	s_addc_u32 s30, 0, vcc_lo
	v_add_co_u32_e32 v30, vcc, s29, v30
	s_cmp_lg_u64 vcc, 0
	s_addc_u32 s28, s28, s30
	v_readfirstlane_b32 vcc_hi, v30
	s_mul_i32 vcc_lo, s21, s28
	s_mul_hi_u32 s30, s21, vcc_hi
	s_mul_hi_u32 s29, s21, s28
	s_add_u32 vcc_lo, s30, vcc_lo
	s_addc_u32 s29, 0, s29
	s_mul_hi_u32 s31, s20, vcc_hi
	s_mul_i32 vcc_hi, s20, vcc_hi
	s_add_u32 vcc_lo, vcc_lo, vcc_hi
	s_mul_hi_u32 s30, s20, s28
	s_addc_u32 s29, s29, s31
	s_addc_u32 vcc_lo, s30, 0
	s_mul_i32 s28, s20, s28
	s_add_u32 s28, s29, s28
	s_addc_u32 s29, 0, vcc_lo
	s_mul_hi_u32 vcc_lo, s28, 0x7fffffff
	s_mul_i32 s28, s28, 0x7fffffff
	s_mul_i32 s29, s29, 0x7fffffff
	v_mov_b32_e32 v30, s28
	s_add_i32 s29, vcc_lo, s29
	v_sub_co_u32_e32 v30, vcc, s21, v30
	s_cmp_lg_u64 vcc, 0
	s_subb_u32 s20, s20, s29
	v_subrev_co_u32_e32 v34, vcc, s34, v30
	s_cmp_lg_u64 vcc, 0
	s_subb_u32 s21, s20, 0
	v_subrev_co_u32_e32 v35, vcc, s34, v34
	s_cmp_lg_u64 vcc, 0
	s_subb_u32 s28, s21, 0
	v_readfirstlane_b32 s29, v34
	s_cmp_gt_u32 s29, 0x7ffffffe
	s_cselect_b32 vcc_lo, -1, 0
	s_cmp_eq_u32 s21, 0
	s_cselect_b32 vcc_lo, vcc_lo, -1
	s_cmp_lg_u32 vcc_lo, 0
	s_cselect_b32 s21, s28, s21
	v_readfirstlane_b32 s28, v35
	v_readfirstlane_b32 vcc_lo, v30
	s_cselect_b32 s28, s28, s29
	s_cmp_gt_u32 vcc_lo, 0x7ffffffe
	s_cselect_b32 s29, -1, 0
	s_cmp_eq_u32 s20, 0
	s_cselect_b32 s29, s29, -1
	s_cmp_lg_u32 s29, 0
	v_lshrrev_b64 v[32:33], 1, v[22:23]
	s_cselect_b32 s28, s28, vcc_lo
	v_cmp_gt_u64_e32 vcc, 2, v[22:23]
	s_cselect_b32 s29, s21, s20
	s_or_b64 s[26:27], vcc, s[26:27]
	v_pk_mov_b32 v[22:23], v[32:33], v[32:33] op_sel:[0,1]
	s_andn2_b64 exec, exec, s[26:27]
	s_cbranch_execz .LBB29_887
.LBB29_866:                             ; =>This Inner Loop Header: Depth=1
	v_and_b32_e32 v30, 1, v22
	v_cmp_eq_u32_e32 vcc, 1, v30
	s_and_saveexec_b64 s[30:31], vcc
	s_cbranch_execz .LBB29_865
; %bb.867:                              ;   in Loop: Header=BB29_866 Depth=1
	v_mul_lo_u32 v30, s29, v24
	v_mul_lo_u32 v32, s28, v25
	v_mad_u64_u32 v[24:25], s[20:21], s28, v24, 0
	s_add_u32 s20, 0x402, s36
	v_add3_u32 v25, v25, v32, v30
	s_addc_u32 s21, 0, 0
	v_add_co_u32_e32 v30, vcc, s20, v9
	s_cmp_lg_u64 vcc, 0
	v_readfirstlane_b32 vcc_lo, v30
	s_addc_u32 s20, s21, 1
	s_mul_hi_u32 vcc_hi, vcc_lo, 0x80000001
	s_mul_i32 s21, s20, 0x80000001
	s_sub_i32 vcc_hi, vcc_hi, vcc_lo
	s_add_i32 vcc_hi, vcc_hi, s21
	s_mul_i32 s38, vcc_lo, 0x80000001
	s_mul_hi_u32 s21, vcc_lo, vcc_hi
	s_mul_i32 s37, vcc_lo, vcc_hi
	s_mul_hi_u32 vcc_lo, vcc_lo, s38
	s_add_u32 vcc_lo, vcc_lo, s37
	s_addc_u32 s21, 0, s21
	s_mul_hi_u32 s39, s20, s38
	s_mul_i32 s38, s20, s38
	s_add_u32 vcc_lo, vcc_lo, s38
	s_mul_hi_u32 s37, s20, vcc_hi
	s_addc_u32 s21, s21, s39
	s_addc_u32 vcc_lo, s37, 0
	s_mul_i32 vcc_hi, s20, vcc_hi
	s_add_u32 s21, s21, vcc_hi
	s_addc_u32 s37, 0, vcc_lo
	v_add_co_u32_e32 v30, vcc, s21, v30
	s_cmp_lg_u64 vcc, 0
	s_addc_u32 s37, s20, s37
	v_mad_u64_u32 v[32:33], s[20:21], v24, s37, 0
	v_mul_hi_u32 v34, v24, v30
	v_add_co_u32_e32 v36, vcc, v34, v32
	v_addc_co_u32_e32 v37, vcc, 0, v33, vcc
	v_mad_u64_u32 v[34:35], s[20:21], v25, v30, 0
	v_add_co_u32_e32 v30, vcc, v36, v34
	v_mad_u64_u32 v[32:33], s[20:21], v25, s37, 0
	v_addc_co_u32_e32 v30, vcc, v37, v35, vcc
	v_addc_co_u32_e32 v33, vcc, 0, v33, vcc
	v_add_co_u32_e32 v30, vcc, v30, v32
	v_addc_co_u32_e32 v34, vcc, 0, v33, vcc
	v_mad_u64_u32 v[32:33], s[20:21], v30, s34, 0
	v_mov_b32_e32 v30, v33
	v_mad_u64_u32 v[34:35], s[20:21], v34, s34, v[30:31]
	v_sub_co_u32_e32 v24, vcc, v24, v32
	v_subb_co_u32_e32 v25, vcc, v25, v34, vcc
	v_subrev_co_u32_e32 v30, vcc, s34, v24
	v_subbrev_co_u32_e32 v32, vcc, 0, v25, vcc
	v_subrev_co_u32_e32 v33, vcc, s34, v30
	v_subbrev_co_u32_e32 v34, vcc, 0, v32, vcc
	v_cmp_lt_u32_e32 vcc, s35, v30
	v_cndmask_b32_e64 v35, 0, -1, vcc
	v_cmp_eq_u32_e32 vcc, 0, v32
	v_cndmask_b32_e32 v35, -1, v35, vcc
	v_cmp_ne_u32_e32 vcc, 0, v35
	v_cmp_lt_u32_e64 s[20:21], s35, v24
	v_cndmask_b32_e32 v32, v32, v34, vcc
	v_cndmask_b32_e64 v34, 0, -1, s[20:21]
	v_cmp_eq_u32_e64 s[20:21], 0, v25
	v_cndmask_b32_e64 v34, -1, v34, s[20:21]
	v_cmp_ne_u32_e64 s[20:21], 0, v34
	v_cndmask_b32_e32 v30, v30, v33, vcc
	v_cndmask_b32_e64 v25, v25, v32, s[20:21]
	v_cndmask_b32_e64 v24, v24, v30, s[20:21]
	s_branch .LBB29_865
.LBB29_868:
	s_or_b64 exec, exec, s[24:25]
	s_movk_i32 s18, 0x401
	s_add_u32 s18, 0x402, s18
	v_mov_b32_e32 v4, 0xfffff800
	s_addc_u32 s19, 0, 0
	v_add_co_u32_e32 v4, vcc, s18, v4
	s_cmp_lg_u64 vcc, 0
	v_readfirstlane_b32 s24, v4
	s_addc_u32 s18, s19, 1
	s_mul_hi_u32 s25, s24, 0x80000001
	s_mul_i32 s19, s18, 0x80000001
	s_sub_i32 s25, s25, s24
	s_add_i32 s25, s25, s19
	s_mul_i32 s27, s24, 0x80000001
	s_mul_hi_u32 s19, s24, s25
	s_mul_i32 s26, s24, s25
	s_mul_hi_u32 s24, s24, s27
	s_add_u32 s24, s24, s26
	s_addc_u32 s19, 0, s19
	s_mul_hi_u32 s28, s18, s27
	s_mul_i32 s27, s18, s27
	s_add_u32 s24, s24, s27
	s_mul_hi_u32 s26, s18, s25
	s_addc_u32 s19, s19, s28
	s_addc_u32 s24, s26, 0
	s_mul_i32 s25, s18, s25
	s_add_u32 s19, s19, s25
	s_addc_u32 s24, 0, s24
	v_add_co_u32_e32 v18, vcc, s19, v4
	s_cmp_lg_u64 vcc, 0
	s_addc_u32 s24, s18, s24
	v_mad_u64_u32 v[4:5], s[18:19], v6, s24, 0
	v_mul_hi_u32 v19, v6, v18
	v_add_co_u32_e32 v20, vcc, v19, v4
	v_addc_co_u32_e32 v21, vcc, 0, v5, vcc
	v_mad_u64_u32 v[18:19], s[18:19], v7, v18, 0
	v_add_co_u32_e32 v18, vcc, v20, v18
	v_mad_u64_u32 v[4:5], s[18:19], v7, s24, 0
	v_addc_co_u32_e32 v18, vcc, v21, v19, vcc
	v_addc_co_u32_e32 v5, vcc, 0, v5, vcc
	v_add_co_u32_e32 v4, vcc, v18, v4
	s_brev_b32 s24, -2
	v_addc_co_u32_e32 v19, vcc, 0, v5, vcc
	v_mad_u64_u32 v[4:5], s[18:19], v4, s24, 0
	v_mov_b32_e32 v18, v5
	v_mad_u64_u32 v[18:19], s[18:19], v19, s24, v[18:19]
	v_sub_co_u32_e32 v4, vcc, v6, v4
	v_subb_co_u32_e32 v5, vcc, v7, v18, vcc
	v_subrev_co_u32_e32 v6, vcc, 0x7fffffff, v4
	v_subbrev_co_u32_e32 v7, vcc, 0, v5, vcc
	s_mov_b32 s18, 0x7ffffffe
	v_cmp_lt_u32_e32 vcc, s18, v6
	v_cndmask_b32_e64 v18, 0, -1, vcc
	v_cmp_eq_u32_e32 vcc, 0, v7
	v_cndmask_b32_e32 v7, -1, v18, vcc
	v_add_u32_e32 v18, 0x80000001, v6
	v_cmp_ne_u32_e32 vcc, 0, v7
	v_cndmask_b32_e32 v6, v6, v18, vcc
	v_cmp_lt_u32_e32 vcc, s18, v4
	v_cndmask_b32_e64 v7, 0, -1, vcc
	v_cmp_eq_u32_e32 vcc, 0, v5
	v_cndmask_b32_e32 v5, -1, v7, vcc
	v_cmp_ne_u32_e32 vcc, 0, v5
	v_cndmask_b32_e32 v6, v4, v6, vcc
.LBB29_869:
	s_or_b64 exec, exec, s[22:23]
	s_movk_i32 s22, 0x1388
	v_mov_b32_e32 v5, 0
	s_mov_b32 s23, 0xbc8f1391
	s_mov_b32 s24, 0xbc8f
	s_brev_b32 s25, 12
	s_mov_b32 s26, 0xf800000
	v_mov_b32_e32 v4, 0x260
.LBB29_870:                             ; =>This Inner Loop Header: Depth=1
	v_mul_hi_u32 v7, v6, s23
	v_lshrrev_b32_e32 v7, 15, v7
	v_mul_u32_u24_e32 v19, 0xadc8, v7
	v_sub_u32_e32 v6, v6, v19
	v_mul_u32_u24_e32 v7, 0xd47, v7
	v_mul_lo_u32 v6, v6, s24
	v_xor_b32_e32 v19, 0x7fffffff, v7
	v_sub_u32_e32 v20, 0, v7
	v_cmp_lt_u32_e32 vcc, v6, v7
	v_cndmask_b32_e32 v7, v20, v19, vcc
	v_add_u32_e32 v6, v7, v6
	v_mul_hi_u32 v19, v6, s23
	v_lshrrev_b32_e32 v19, 15, v19
	v_mul_u32_u24_e32 v20, 0xadc8, v19
	v_add_u32_e32 v7, -1, v6
	v_sub_u32_e32 v6, v6, v20
	v_mul_u32_u24_e32 v19, 0xd47, v19
	v_mul_lo_u32 v6, v6, s24
	v_xor_b32_e32 v20, 0x7fffffff, v19
	v_sub_u32_e32 v21, 0, v19
	v_cmp_lt_u32_e32 vcc, v6, v19
	v_cndmask_b32_e32 v19, v21, v20, vcc
	v_add_u32_e32 v6, v19, v6
	v_mul_hi_u32 v20, v6, s23
	v_add_u32_e32 v19, -1, v6
	v_lshrrev_b32_e32 v20, 15, v20
	v_cvt_f32_u32_e32 v19, v19
	v_mul_u32_u24_e32 v21, 0xadc8, v20
	v_cvt_f32_u32_e32 v7, v7
	v_sub_u32_e32 v6, v6, v21
	v_mul_u32_u24_e32 v20, 0xd47, v20
	v_mul_lo_u32 v6, v6, s24
	v_xor_b32_e32 v21, 0x7fffffff, v20
	v_sub_u32_e32 v22, 0, v20
	v_cmp_lt_u32_e32 vcc, v6, v20
	v_fma_f32 v19, v19, s25, 0
	v_cndmask_b32_e32 v20, v22, v21, vcc
	v_fma_f32 v7, v7, s25, 0
	v_mul_f32_e32 v19, v19, v19
	v_add_u32_e32 v6, v20, v6
	v_fmac_f32_e32 v19, v7, v7
	v_mul_hi_u32 v20, v6, s23
	v_mul_f32_e32 v21, 0x4f800000, v19
	v_lshrrev_b32_e32 v20, 15, v20
	v_cmp_gt_f32_e32 vcc, s26, v19
	v_cndmask_b32_e32 v19, v19, v21, vcc
	v_mul_u32_u24_e32 v21, 0xadc8, v20
	v_add_u32_e32 v7, -1, v6
	v_sqrt_f32_e32 v22, v19
	v_sub_u32_e32 v6, v6, v21
	v_mul_u32_u24_e32 v20, 0xd47, v20
	v_mul_lo_u32 v6, v6, s24
	v_xor_b32_e32 v21, 0x7fffffff, v20
	v_sub_u32_e32 v23, 0, v20
	v_cmp_lt_u32_e64 s[18:19], v6, v20
	v_cndmask_b32_e64 v20, v23, v21, s[18:19]
	v_add_u32_e32 v6, v20, v6
	v_add_u32_e32 v20, -1, v22
	v_add_u32_e32 v21, 1, v22
	v_add_u32_e32 v23, -1, v6
	v_fma_f32 v24, -v20, v22, v19
	v_fma_f32 v25, -v21, v22, v19
	v_cvt_f32_u32_e32 v23, v23
	v_cmp_ge_f32_e64 s[18:19], 0, v24
	v_cvt_f32_u32_e32 v7, v7
	v_cndmask_b32_e64 v20, v22, v20, s[18:19]
	v_cmp_lt_f32_e64 s[18:19], 0, v25
	v_cndmask_b32_e64 v20, v20, v21, s[18:19]
	v_mul_f32_e32 v21, 0x37800000, v20
	v_cndmask_b32_e32 v20, v20, v21, vcc
	v_fma_f32 v21, v23, s25, 0
	v_cmp_class_f32_e32 vcc, v19, v4
	v_fma_f32 v7, v7, s25, 0
	v_cndmask_b32_e32 v19, v20, v19, vcc
	v_mul_f32_e32 v20, v21, v21
	v_add_f32_e32 v18, 1.0, v5
	v_cmp_nge_f32_e32 vcc, 1.0, v19
	v_fmac_f32_e32 v20, v7, v7
	v_cndmask_b32_e32 v5, v18, v5, vcc
	v_mul_f32_e32 v7, 0x4f800000, v20
	v_cmp_gt_f32_e32 vcc, s26, v20
	v_cndmask_b32_e32 v7, v20, v7, vcc
	v_sqrt_f32_e32 v19, v7
	s_add_i32 s22, s22, -2
	v_add_f32_e32 v18, 1.0, v5
	s_cmp_lg_u32 s22, 0
	v_add_u32_e32 v20, -1, v19
	v_add_u32_e32 v21, 1, v19
	v_fma_f32 v22, -v20, v19, v7
	v_fma_f32 v23, -v21, v19, v7
	v_cmp_ge_f32_e64 s[18:19], 0, v22
	v_cndmask_b32_e64 v19, v19, v20, s[18:19]
	v_cmp_lt_f32_e64 s[18:19], 0, v23
	v_cndmask_b32_e64 v19, v19, v21, s[18:19]
	v_mul_f32_e32 v20, 0x37800000, v19
	v_cndmask_b32_e32 v19, v19, v20, vcc
	v_cmp_class_f32_e32 vcc, v7, v4
	v_cndmask_b32_e32 v7, v19, v7, vcc
	v_cmp_nge_f32_e32 vcc, 1.0, v7
	v_cndmask_b32_e32 v5, v18, v5, vcc
	s_cbranch_scc1 .LBB29_870
; %bb.871:
	v_mul_f32_e32 v4, 4.0, v5
	s_mov_b32 s22, 0x459c4000
	v_div_scale_f32 v5, s[18:19], s22, s22, v4
	v_rcp_f32_e32 v6, v5
	v_fma_f32 v7, -v5, v6, 1.0
	v_fmac_f32_e32 v6, v7, v6
	v_div_scale_f32 v7, vcc, v4, s22, v4
	v_mul_f32_e32 v18, v7, v6
	v_fma_f32 v19, -v5, v18, v7
	v_fmac_f32_e32 v18, v19, v6
	v_fma_f32 v5, -v5, v18, v7
	v_div_fmas_f32 v5, v5, v6, v18
	v_div_fixup_f32 v18, v5, s22, v4
.LBB29_872:
	s_or_b64 exec, exec, s[20:21]
	v_add_u32_e32 v4, 0x380, v11
	v_cmp_lt_u32_e64 s[18:19], v4, v8
                                        ; implicit-def: $vgpr19
	s_and_saveexec_b64 s[22:23], s[18:19]
	s_cbranch_execz .LBB29_901
; %bb.873:
	v_add_u32_e32 v4, v9, v4
	s_movk_i32 s20, 0x1388
	v_mul_lo_u32 v4, v4, s20
	v_cmp_ne_u32_e32 vcc, 0, v4
	v_mov_b32_e32 v6, 1
	s_and_saveexec_b64 s[24:25], vcc
	s_cbranch_execz .LBB29_898
; %bb.874:
	v_mov_b32_e32 v6, 1
	v_mov_b32_e32 v5, 0
	s_mov_b64 s[28:29], 0xbc8f
	s_mov_b64 s[26:27], 0
	v_mov_b32_e32 v7, 0
	s_brev_b32 s34, -2
	s_mov_b32 s35, 0x7ffffffe
	v_mov_b32_e32 v19, 0xfffff800
	s_movk_i32 s36, 0x401
	s_branch .LBB29_876
.LBB29_875:                             ;   in Loop: Header=BB29_876 Depth=1
	s_or_b64 exec, exec, s[30:31]
	s_mul_i32 s20, s28, s29
	s_mul_hi_u32 s21, s28, s28
	s_add_i32 s21, s21, s20
	s_add_i32 s20, s21, s20
	s_mul_i32 s21, s28, s28
	s_add_u32 s28, 0x402, s36
	s_addc_u32 s29, 0, 0
	v_add_co_u32_e32 v22, vcc, s28, v19
	s_cmp_lg_u64 vcc, 0
	v_readfirstlane_b32 vcc_lo, v22
	s_addc_u32 s28, s29, 1
	s_mul_hi_u32 vcc_hi, vcc_lo, 0x80000001
	s_mul_i32 s29, s28, 0x80000001
	s_sub_i32 vcc_hi, vcc_hi, vcc_lo
	s_add_i32 vcc_hi, vcc_hi, s29
	s_mul_i32 s31, vcc_lo, 0x80000001
	s_mul_hi_u32 s29, vcc_lo, vcc_hi
	s_mul_i32 s30, vcc_lo, vcc_hi
	s_mul_hi_u32 vcc_lo, vcc_lo, s31
	s_add_u32 vcc_lo, vcc_lo, s30
	s_addc_u32 s29, 0, s29
	s_mul_hi_u32 s37, s28, s31
	s_mul_i32 s31, s28, s31
	s_add_u32 vcc_lo, vcc_lo, s31
	s_mul_hi_u32 s30, s28, vcc_hi
	s_addc_u32 s29, s29, s37
	s_addc_u32 vcc_lo, s30, 0
	s_mul_i32 vcc_hi, s28, vcc_hi
	s_add_u32 s29, s29, vcc_hi
	s_addc_u32 s30, 0, vcc_lo
	v_add_co_u32_e32 v22, vcc, s29, v22
	s_cmp_lg_u64 vcc, 0
	s_addc_u32 s28, s28, s30
	v_readfirstlane_b32 vcc_hi, v22
	s_mul_i32 vcc_lo, s21, s28
	s_mul_hi_u32 s30, s21, vcc_hi
	s_mul_hi_u32 s29, s21, s28
	s_add_u32 vcc_lo, s30, vcc_lo
	s_addc_u32 s29, 0, s29
	s_mul_hi_u32 s31, s20, vcc_hi
	s_mul_i32 vcc_hi, s20, vcc_hi
	s_add_u32 vcc_lo, vcc_lo, vcc_hi
	s_mul_hi_u32 s30, s20, s28
	s_addc_u32 s29, s29, s31
	s_addc_u32 vcc_lo, s30, 0
	s_mul_i32 s28, s20, s28
	s_add_u32 s28, s29, s28
	s_addc_u32 s29, 0, vcc_lo
	s_mul_hi_u32 vcc_lo, s28, 0x7fffffff
	s_mul_i32 s28, s28, 0x7fffffff
	s_mul_i32 s29, s29, 0x7fffffff
	v_mov_b32_e32 v22, s28
	s_add_i32 s29, vcc_lo, s29
	v_sub_co_u32_e32 v22, vcc, s21, v22
	s_cmp_lg_u64 vcc, 0
	s_subb_u32 s20, s20, s29
	v_subrev_co_u32_e32 v23, vcc, s34, v22
	s_cmp_lg_u64 vcc, 0
	s_subb_u32 s21, s20, 0
	v_subrev_co_u32_e32 v24, vcc, s34, v23
	s_cmp_lg_u64 vcc, 0
	s_subb_u32 s28, s21, 0
	v_readfirstlane_b32 s29, v23
	s_cmp_gt_u32 s29, 0x7ffffffe
	s_cselect_b32 vcc_lo, -1, 0
	s_cmp_eq_u32 s21, 0
	s_cselect_b32 vcc_lo, vcc_lo, -1
	s_cmp_lg_u32 vcc_lo, 0
	s_cselect_b32 s21, s28, s21
	v_readfirstlane_b32 s28, v24
	v_readfirstlane_b32 vcc_lo, v22
	s_cselect_b32 s28, s28, s29
	s_cmp_gt_u32 vcc_lo, 0x7ffffffe
	s_cselect_b32 s29, -1, 0
	s_cmp_eq_u32 s20, 0
	s_cselect_b32 s29, s29, -1
	s_cmp_lg_u32 s29, 0
	v_lshrrev_b64 v[20:21], 1, v[4:5]
	s_cselect_b32 s28, s28, vcc_lo
	v_cmp_gt_u64_e32 vcc, 2, v[4:5]
	s_cselect_b32 s29, s21, s20
	s_or_b64 s[26:27], vcc, s[26:27]
	v_pk_mov_b32 v[4:5], v[20:21], v[20:21] op_sel:[0,1]
	s_andn2_b64 exec, exec, s[26:27]
	s_cbranch_execz .LBB29_897
.LBB29_876:                             ; =>This Inner Loop Header: Depth=1
	v_and_b32_e32 v20, 1, v4
	v_cmp_eq_u32_e32 vcc, 1, v20
	s_and_saveexec_b64 s[30:31], vcc
	s_cbranch_execz .LBB29_875
; %bb.877:                              ;   in Loop: Header=BB29_876 Depth=1
	v_mul_lo_u32 v20, s29, v6
	v_mul_lo_u32 v21, s28, v7
	v_mad_u64_u32 v[6:7], s[20:21], s28, v6, 0
	s_add_u32 s20, 0x402, s36
	v_add3_u32 v7, v7, v21, v20
	s_addc_u32 s21, 0, 0
	v_add_co_u32_e32 v20, vcc, s20, v19
	s_cmp_lg_u64 vcc, 0
	v_readfirstlane_b32 vcc_lo, v20
	s_addc_u32 s20, s21, 1
	s_mul_hi_u32 vcc_hi, vcc_lo, 0x80000001
	s_mul_i32 s21, s20, 0x80000001
	s_sub_i32 vcc_hi, vcc_hi, vcc_lo
	s_add_i32 vcc_hi, vcc_hi, s21
	s_mul_i32 s38, vcc_lo, 0x80000001
	s_mul_hi_u32 s21, vcc_lo, vcc_hi
	s_mul_i32 s37, vcc_lo, vcc_hi
	s_mul_hi_u32 vcc_lo, vcc_lo, s38
	s_add_u32 vcc_lo, vcc_lo, s37
	s_addc_u32 s21, 0, s21
	s_mul_hi_u32 s39, s20, s38
	s_mul_i32 s38, s20, s38
	s_add_u32 vcc_lo, vcc_lo, s38
	s_mul_hi_u32 s37, s20, vcc_hi
	s_addc_u32 s21, s21, s39
	s_addc_u32 vcc_lo, s37, 0
	s_mul_i32 vcc_hi, s20, vcc_hi
	s_add_u32 s21, s21, vcc_hi
	s_addc_u32 s37, 0, vcc_lo
	v_add_co_u32_e32 v22, vcc, s21, v20
	s_cmp_lg_u64 vcc, 0
	s_addc_u32 s37, s20, s37
	v_mad_u64_u32 v[20:21], s[20:21], v6, s37, 0
	v_mul_hi_u32 v23, v6, v22
	v_add_co_u32_e32 v24, vcc, v23, v20
	v_addc_co_u32_e32 v25, vcc, 0, v21, vcc
	v_mad_u64_u32 v[22:23], s[20:21], v7, v22, 0
	v_add_co_u32_e32 v22, vcc, v24, v22
	v_mad_u64_u32 v[20:21], s[20:21], v7, s37, 0
	v_addc_co_u32_e32 v22, vcc, v25, v23, vcc
	v_addc_co_u32_e32 v21, vcc, 0, v21, vcc
	v_add_co_u32_e32 v20, vcc, v22, v20
	v_addc_co_u32_e32 v23, vcc, 0, v21, vcc
	v_mad_u64_u32 v[20:21], s[20:21], v20, s34, 0
	v_mov_b32_e32 v22, v21
	v_mad_u64_u32 v[22:23], s[20:21], v23, s34, v[22:23]
	v_sub_co_u32_e32 v6, vcc, v6, v20
	v_subb_co_u32_e32 v7, vcc, v7, v22, vcc
	v_subrev_co_u32_e32 v20, vcc, s34, v6
	v_subbrev_co_u32_e32 v21, vcc, 0, v7, vcc
	v_subrev_co_u32_e32 v22, vcc, s34, v20
	v_subbrev_co_u32_e32 v23, vcc, 0, v21, vcc
	v_cmp_lt_u32_e32 vcc, s35, v20
	v_cndmask_b32_e64 v24, 0, -1, vcc
	v_cmp_eq_u32_e32 vcc, 0, v21
	v_cndmask_b32_e32 v24, -1, v24, vcc
	v_cmp_ne_u32_e32 vcc, 0, v24
	v_cmp_lt_u32_e64 s[20:21], s35, v6
	v_cndmask_b32_e32 v21, v21, v23, vcc
	v_cndmask_b32_e64 v23, 0, -1, s[20:21]
	v_cmp_eq_u32_e64 s[20:21], 0, v7
	v_cndmask_b32_e64 v23, -1, v23, s[20:21]
	v_cmp_ne_u32_e64 s[20:21], 0, v23
	v_cndmask_b32_e32 v20, v20, v22, vcc
	v_cndmask_b32_e64 v7, v7, v21, s[20:21]
	v_cndmask_b32_e64 v6, v6, v20, s[20:21]
	s_branch .LBB29_875
.LBB29_878:
	s_or_b64 exec, exec, s[30:31]
	s_movk_i32 s20, 0x401
	s_add_u32 s20, 0x402, s20
	v_mov_b32_e32 v9, 0xfffff800
	s_addc_u32 s21, 0, 0
	v_add_co_u32_e32 v9, vcc, s20, v9
	s_cmp_lg_u64 vcc, 0
	v_readfirstlane_b32 vcc_lo, v9
	s_addc_u32 s20, s21, 1
	s_mul_hi_u32 vcc_hi, vcc_lo, 0x80000001
	s_mul_i32 s21, s20, 0x80000001
	s_sub_i32 vcc_hi, vcc_hi, vcc_lo
	s_add_i32 vcc_hi, vcc_hi, s21
	s_mul_i32 s31, vcc_lo, 0x80000001
	s_mul_hi_u32 s21, vcc_lo, vcc_hi
	s_mul_i32 s30, vcc_lo, vcc_hi
	s_mul_hi_u32 vcc_lo, vcc_lo, s31
	s_add_u32 vcc_lo, vcc_lo, s30
	s_addc_u32 s21, 0, s21
	s_mul_hi_u32 s34, s20, s31
	s_mul_i32 s31, s20, s31
	s_add_u32 vcc_lo, vcc_lo, s31
	s_mul_hi_u32 s30, s20, vcc_hi
	s_addc_u32 s21, s21, s34
	s_addc_u32 vcc_lo, s30, 0
	s_mul_i32 vcc_hi, s20, vcc_hi
	s_add_u32 s21, s21, vcc_hi
	s_addc_u32 s30, 0, vcc_lo
	v_add_co_u32_e32 v9, vcc, s21, v9
	s_cmp_lg_u64 vcc, 0
	s_addc_u32 s30, s20, s30
	v_mad_u64_u32 v[14:15], s[20:21], v16, s30, 0
	v_mul_hi_u32 v21, v16, v9
	v_add_co_u32_e32 v21, vcc, v21, v14
	v_addc_co_u32_e32 v24, vcc, 0, v15, vcc
	v_mad_u64_u32 v[22:23], s[20:21], v17, v9, 0
	v_add_co_u32_e32 v9, vcc, v21, v22
	v_mad_u64_u32 v[14:15], s[20:21], v17, s30, 0
	v_addc_co_u32_e32 v9, vcc, v24, v23, vcc
	v_addc_co_u32_e32 v15, vcc, 0, v15, vcc
	v_add_co_u32_e32 v9, vcc, v9, v14
	v_addc_co_u32_e32 v21, vcc, 0, v15, vcc
	s_brev_b32 vcc_lo, -2
	v_mad_u64_u32 v[14:15], s[20:21], v9, vcc_lo, 0
	v_mov_b32_e32 v22, v15
	v_mad_u64_u32 v[22:23], s[20:21], v21, vcc_lo, v[22:23]
	v_sub_co_u32_e32 v9, vcc, v16, v14
	v_subb_co_u32_e32 v14, vcc, v17, v22, vcc
	v_subrev_co_u32_e32 v15, vcc, 0x7fffffff, v9
	v_subbrev_co_u32_e32 v16, vcc, 0, v14, vcc
	s_mov_b32 s20, 0x7ffffffe
	v_cmp_lt_u32_e32 vcc, s20, v15
	v_cndmask_b32_e64 v17, 0, -1, vcc
	v_cmp_eq_u32_e32 vcc, 0, v16
	v_cndmask_b32_e32 v16, -1, v17, vcc
	v_add_u32_e32 v17, 0x80000001, v15
	v_cmp_ne_u32_e32 vcc, 0, v16
	v_cndmask_b32_e32 v15, v15, v17, vcc
	v_cmp_lt_u32_e32 vcc, s20, v9
	v_cndmask_b32_e64 v16, 0, -1, vcc
	v_cmp_eq_u32_e32 vcc, 0, v14
	v_cndmask_b32_e32 v14, -1, v16, vcc
	v_cmp_ne_u32_e32 vcc, 0, v14
	v_cndmask_b32_e32 v15, v9, v15, vcc
.LBB29_879:
	s_or_b64 exec, exec, s[28:29]
	s_movk_i32 s28, 0x1388
	v_mov_b32_e32 v14, 0
	s_mov_b32 s29, 0xbc8f1391
	s_mov_b32 s30, 0xbc8f
	s_brev_b32 s31, 12
	s_mov_b32 s34, 0xf800000
	v_mov_b32_e32 v9, 0x260
.LBB29_880:                             ; =>This Inner Loop Header: Depth=1
	v_mul_hi_u32 v16, v15, s29
	v_lshrrev_b32_e32 v16, 15, v16
	v_mul_u32_u24_e32 v21, 0xadc8, v16
	v_sub_u32_e32 v15, v15, v21
	v_mul_u32_u24_e32 v16, 0xd47, v16
	v_mul_lo_u32 v15, v15, s30
	v_xor_b32_e32 v21, 0x7fffffff, v16
	v_sub_u32_e32 v22, 0, v16
	v_cmp_lt_u32_e32 vcc, v15, v16
	v_cndmask_b32_e32 v16, v22, v21, vcc
	v_add_u32_e32 v15, v16, v15
	v_mul_hi_u32 v21, v15, s29
	v_lshrrev_b32_e32 v21, 15, v21
	v_mul_u32_u24_e32 v22, 0xadc8, v21
	v_add_u32_e32 v16, -1, v15
	v_sub_u32_e32 v15, v15, v22
	v_mul_u32_u24_e32 v21, 0xd47, v21
	v_mul_lo_u32 v15, v15, s30
	v_xor_b32_e32 v22, 0x7fffffff, v21
	v_sub_u32_e32 v23, 0, v21
	v_cmp_lt_u32_e32 vcc, v15, v21
	v_cndmask_b32_e32 v21, v23, v22, vcc
	v_add_u32_e32 v15, v21, v15
	v_mul_hi_u32 v22, v15, s29
	v_add_u32_e32 v21, -1, v15
	v_lshrrev_b32_e32 v22, 15, v22
	v_cvt_f32_u32_e32 v21, v21
	v_mul_u32_u24_e32 v23, 0xadc8, v22
	v_cvt_f32_u32_e32 v16, v16
	v_sub_u32_e32 v15, v15, v23
	v_mul_u32_u24_e32 v22, 0xd47, v22
	v_mul_lo_u32 v15, v15, s30
	v_xor_b32_e32 v23, 0x7fffffff, v22
	v_sub_u32_e32 v24, 0, v22
	v_cmp_lt_u32_e32 vcc, v15, v22
	v_fma_f32 v21, v21, s31, 0
	v_cndmask_b32_e32 v22, v24, v23, vcc
	v_fma_f32 v16, v16, s31, 0
	v_mul_f32_e32 v21, v21, v21
	v_add_u32_e32 v15, v22, v15
	v_fmac_f32_e32 v21, v16, v16
	v_mul_hi_u32 v22, v15, s29
	v_mul_f32_e32 v23, 0x4f800000, v21
	v_lshrrev_b32_e32 v22, 15, v22
	v_cmp_gt_f32_e32 vcc, s34, v21
	v_cndmask_b32_e32 v21, v21, v23, vcc
	v_mul_u32_u24_e32 v23, 0xadc8, v22
	v_add_u32_e32 v16, -1, v15
	v_sqrt_f32_e32 v24, v21
	v_sub_u32_e32 v15, v15, v23
	v_mul_u32_u24_e32 v22, 0xd47, v22
	v_mul_lo_u32 v15, v15, s30
	v_xor_b32_e32 v23, 0x7fffffff, v22
	v_sub_u32_e32 v25, 0, v22
	v_cmp_lt_u32_e64 s[20:21], v15, v22
	v_cndmask_b32_e64 v22, v25, v23, s[20:21]
	v_add_u32_e32 v15, v22, v15
	v_add_u32_e32 v22, -1, v24
	v_add_u32_e32 v23, 1, v24
	v_add_u32_e32 v25, -1, v15
	v_fma_f32 v26, -v22, v24, v21
	v_fma_f32 v27, -v23, v24, v21
	v_cvt_f32_u32_e32 v25, v25
	v_cmp_ge_f32_e64 s[20:21], 0, v26
	v_cvt_f32_u32_e32 v16, v16
	v_cndmask_b32_e64 v22, v24, v22, s[20:21]
	v_cmp_lt_f32_e64 s[20:21], 0, v27
	v_cndmask_b32_e64 v22, v22, v23, s[20:21]
	v_mul_f32_e32 v23, 0x37800000, v22
	v_cndmask_b32_e32 v22, v22, v23, vcc
	v_fma_f32 v23, v25, s31, 0
	v_cmp_class_f32_e32 vcc, v21, v9
	v_fma_f32 v16, v16, s31, 0
	v_cndmask_b32_e32 v21, v22, v21, vcc
	v_mul_f32_e32 v22, v23, v23
	v_add_f32_e32 v17, 1.0, v14
	v_cmp_nge_f32_e32 vcc, 1.0, v21
	v_fmac_f32_e32 v22, v16, v16
	v_cndmask_b32_e32 v14, v17, v14, vcc
	v_mul_f32_e32 v16, 0x4f800000, v22
	v_cmp_gt_f32_e32 vcc, s34, v22
	v_cndmask_b32_e32 v16, v22, v16, vcc
	v_sqrt_f32_e32 v21, v16
	s_add_i32 s28, s28, -2
	v_add_f32_e32 v17, 1.0, v14
	s_cmp_lg_u32 s28, 0
	v_add_u32_e32 v22, -1, v21
	v_add_u32_e32 v23, 1, v21
	v_fma_f32 v24, -v22, v21, v16
	v_fma_f32 v25, -v23, v21, v16
	v_cmp_ge_f32_e64 s[20:21], 0, v24
	v_cndmask_b32_e64 v21, v21, v22, s[20:21]
	v_cmp_lt_f32_e64 s[20:21], 0, v25
	v_cndmask_b32_e64 v21, v21, v23, s[20:21]
	v_mul_f32_e32 v22, 0x37800000, v21
	v_cndmask_b32_e32 v21, v21, v22, vcc
	v_cmp_class_f32_e32 vcc, v16, v9
	v_cndmask_b32_e32 v16, v21, v16, vcc
	v_cmp_nge_f32_e32 vcc, 1.0, v16
	v_cndmask_b32_e32 v14, v17, v14, vcc
	s_cbranch_scc1 .LBB29_880
; %bb.881:
	v_mul_f32_e32 v9, 4.0, v14
	s_mov_b32 s28, 0x459c4000
	v_div_scale_f32 v14, s[20:21], s28, s28, v9
	v_rcp_f32_e32 v15, v14
	v_fma_f32 v16, -v14, v15, 1.0
	v_fmac_f32_e32 v15, v16, v15
	v_div_scale_f32 v16, vcc, v9, s28, v9
	v_mul_f32_e32 v17, v16, v15
	v_fma_f32 v21, -v14, v17, v16
	v_fmac_f32_e32 v17, v21, v15
	v_fma_f32 v14, -v14, v17, v16
	v_div_fmas_f32 v14, v14, v15, v17
	v_div_fixup_f32 v9, v14, s28, v9
.LBB29_882:
	s_or_b64 exec, exec, s[26:27]
	v_add_f32_e32 v3, v2, v3
	v_cndmask_b32_e64 v2, v2, v3, s[4:5]
	v_add_f32_e32 v3, v4, v2
	v_cndmask_b32_e64 v2, v2, v3, s[6:7]
	;; [unrolled: 2-line block ×7, first 2 shown]
	v_mbcnt_lo_u32_b32 v2, -1, 0
	v_mbcnt_hi_u32_b32 v2, -1, v2
	v_and_b32_e32 v5, 63, v2
	v_cmp_ne_u32_e32 vcc, 63, v5
	v_addc_co_u32_e32 v3, vcc, 0, v2, vcc
	v_lshlrev_b32_e32 v3, 2, v3
	ds_bpermute_b32 v6, v3, v4
	v_min_u32_e32 v3, 0x80, v20
	v_and_b32_e32 v7, 0x3c0, v19
	v_sub_u32_e64 v7, v3, v7 clamp
	v_add_u32_e32 v8, 1, v5
	v_cmp_gt_u32_e64 s[4:5], 62, v5
	v_cmp_lt_u32_e32 vcc, v8, v7
	v_cndmask_b32_e64 v8, 0, 1, s[4:5]
	s_waitcnt lgkmcnt(0)
	v_add_f32_e32 v6, v4, v6
	v_lshlrev_b32_e32 v8, 1, v8
	v_cndmask_b32_e32 v6, v4, v6, vcc
	v_add_lshl_u32 v8, v8, v2, 2
	ds_bpermute_b32 v8, v8, v6
	v_add_u32_e32 v9, 2, v5
	v_cmp_lt_u32_e64 s[4:5], v9, v7
	v_add_u32_e32 v9, 4, v5
	s_waitcnt lgkmcnt(0)
	v_add_f32_e32 v8, v6, v8
	v_cndmask_b32_e64 v6, v6, v8, s[4:5]
	v_cmp_gt_u32_e64 s[4:5], 60, v5
	v_cndmask_b32_e64 v8, 0, 1, s[4:5]
	v_lshlrev_b32_e32 v8, 2, v8
	v_add_lshl_u32 v8, v8, v2, 2
	ds_bpermute_b32 v8, v8, v6
	v_cmp_lt_u32_e64 s[4:5], v9, v7
	v_add_u32_e32 v9, 8, v5
	s_waitcnt lgkmcnt(0)
	v_add_f32_e32 v8, v6, v8
	v_cndmask_b32_e64 v6, v6, v8, s[4:5]
	v_cmp_gt_u32_e64 s[4:5], 56, v5
	v_cndmask_b32_e64 v8, 0, 1, s[4:5]
	v_lshlrev_b32_e32 v8, 3, v8
	v_add_lshl_u32 v8, v8, v2, 2
	ds_bpermute_b32 v8, v8, v6
	;; [unrolled: 10-line block ×3, first 2 shown]
	v_cmp_lt_u32_e64 s[4:5], v9, v7
	s_waitcnt lgkmcnt(0)
	v_add_f32_e32 v8, v6, v8
	v_cndmask_b32_e64 v6, v6, v8, s[4:5]
	v_cmp_gt_u32_e64 s[4:5], 32, v5
	v_cndmask_b32_e64 v8, 0, 1, s[4:5]
	v_lshlrev_b32_e32 v8, 5, v8
	v_add_lshl_u32 v8, v8, v2, 2
	ds_bpermute_b32 v8, v8, v6
	v_add_u32_e32 v5, 32, v5
	v_cmp_lt_u32_e64 s[4:5], v5, v7
	s_waitcnt lgkmcnt(0)
	v_add_f32_e32 v8, v6, v8
	v_cndmask_b32_e64 v5, v6, v8, s[4:5]
	v_cndmask_b32_e32 v4, v4, v5, vcc
	v_cmp_eq_u32_e32 vcc, 0, v2
	s_and_saveexec_b64 s[4:5], vcc
	s_cbranch_execz .LBB29_884
; %bb.883:
	v_lshrrev_b32_e32 v5, 4, v19
	v_and_b32_e32 v5, 60, v5
	ds_write_b32 v5, v4 offset:48
.LBB29_884:
	s_or_b64 exec, exec, s[4:5]
	v_cmp_gt_u32_e32 vcc, 2, v19
	s_waitcnt lgkmcnt(0)
	s_barrier
	s_and_saveexec_b64 s[4:5], vcc
	s_cbranch_execz .LBB29_886
; %bb.885:
	v_lshlrev_b32_e32 v4, 2, v2
	ds_read_b32 v5, v4 offset:48
	v_or_b32_e32 v4, 4, v4
	v_add_u32_e32 v3, 63, v3
	v_and_b32_e32 v2, 1, v2
	v_lshrrev_b32_e32 v3, 6, v3
	s_waitcnt lgkmcnt(0)
	ds_bpermute_b32 v4, v4, v5
	v_add_u32_e32 v2, 1, v2
	v_cmp_lt_u32_e32 vcc, v2, v3
	s_waitcnt lgkmcnt(0)
	v_add_f32_e32 v4, v5, v4
	v_cndmask_b32_e32 v4, v5, v4, vcc
.LBB29_886:
	s_or_b64 exec, exec, s[4:5]
	s_or_b64 exec, exec, s[24:25]
	v_cmp_eq_u32_e32 vcc, 0, v19
	s_and_b64 exec, exec, vcc
	s_cbranch_execz .LBB29_1229
; %bb.1239:
	s_getpc_b64 s[92:93]
.Lpost_getpc7:
	s_add_u32 s92, s92, (.LBB29_19-.Lpost_getpc7)&4294967295
	s_addc_u32 s93, s93, (.LBB29_19-.Lpost_getpc7)>>32
	s_setpc_b64 s[92:93]
.LBB29_1229:
	s_getpc_b64 s[92:93]
.Lpost_getpc2:
	s_add_u32 s92, s92, (.LBB29_20-.Lpost_getpc2)&4294967295
	s_addc_u32 s93, s93, (.LBB29_20-.Lpost_getpc2)>>32
	s_setpc_b64 s[92:93]
.LBB29_887:
	s_or_b64 exec, exec, s[26:27]
	s_movk_i32 s20, 0x401
	s_add_u32 s20, 0x402, s20
	v_mov_b32_e32 v9, 0xfffff800
	s_addc_u32 s21, 0, 0
	v_add_co_u32_e32 v9, vcc, s20, v9
	s_cmp_lg_u64 vcc, 0
	v_readfirstlane_b32 s26, v9
	s_addc_u32 s20, s21, 1
	s_mul_hi_u32 s27, s26, 0x80000001
	s_mul_i32 s21, s20, 0x80000001
	s_sub_i32 s27, s27, s26
	s_add_i32 s27, s27, s21
	s_mul_i32 s29, s26, 0x80000001
	s_mul_hi_u32 s21, s26, s27
	s_mul_i32 s28, s26, s27
	s_mul_hi_u32 s26, s26, s29
	s_add_u32 s26, s26, s28
	s_addc_u32 s21, 0, s21
	s_mul_hi_u32 vcc_lo, s20, s29
	s_mul_i32 s29, s20, s29
	s_add_u32 s26, s26, s29
	s_mul_hi_u32 s28, s20, s27
	s_addc_u32 s21, s21, vcc_lo
	s_addc_u32 s26, s28, 0
	s_mul_i32 s27, s20, s27
	s_add_u32 s21, s21, s27
	s_addc_u32 s26, 0, s26
	v_add_co_u32_e32 v9, vcc, s21, v9
	s_cmp_lg_u64 vcc, 0
	s_addc_u32 s26, s20, s26
	v_mad_u64_u32 v[22:23], s[20:21], v24, s26, 0
	v_mul_hi_u32 v30, v24, v9
	v_add_co_u32_e32 v30, vcc, v30, v22
	v_addc_co_u32_e32 v34, vcc, 0, v23, vcc
	v_mad_u64_u32 v[32:33], s[20:21], v25, v9, 0
	v_add_co_u32_e32 v9, vcc, v30, v32
	v_mad_u64_u32 v[22:23], s[20:21], v25, s26, 0
	v_addc_co_u32_e32 v9, vcc, v34, v33, vcc
	v_addc_co_u32_e32 v23, vcc, 0, v23, vcc
	v_add_co_u32_e32 v9, vcc, v9, v22
	s_brev_b32 s26, -2
	v_addc_co_u32_e32 v32, vcc, 0, v23, vcc
	v_mad_u64_u32 v[22:23], s[20:21], v9, s26, 0
	v_mov_b32_e32 v30, v23
	v_mad_u64_u32 v[32:33], s[20:21], v32, s26, v[30:31]
	v_sub_co_u32_e32 v9, vcc, v24, v22
	v_subb_co_u32_e32 v22, vcc, v25, v32, vcc
	v_subrev_co_u32_e32 v23, vcc, 0x7fffffff, v9
	v_subbrev_co_u32_e32 v24, vcc, 0, v22, vcc
	s_mov_b32 s20, 0x7ffffffe
	v_cmp_lt_u32_e32 vcc, s20, v23
	v_cndmask_b32_e64 v25, 0, -1, vcc
	v_cmp_eq_u32_e32 vcc, 0, v24
	v_cndmask_b32_e32 v24, -1, v25, vcc
	v_add_u32_e32 v25, 0x80000001, v23
	v_cmp_ne_u32_e32 vcc, 0, v24
	v_cndmask_b32_e32 v23, v23, v25, vcc
	v_cmp_lt_u32_e32 vcc, s20, v9
	v_cndmask_b32_e64 v24, 0, -1, vcc
	v_cmp_eq_u32_e32 vcc, 0, v22
	v_cndmask_b32_e32 v22, -1, v24, vcc
	v_cmp_ne_u32_e32 vcc, 0, v22
	v_cndmask_b32_e32 v23, v9, v23, vcc
.LBB29_888:
	s_or_b64 exec, exec, s[24:25]
	s_movk_i32 s24, 0x1388
	v_mov_b32_e32 v22, 0
	s_mov_b32 s25, 0xbc8f1391
	s_mov_b32 s26, 0xbc8f
	s_brev_b32 s27, 12
	s_mov_b32 s28, 0xf800000
	v_mov_b32_e32 v9, 0x260
.LBB29_889:                             ; =>This Inner Loop Header: Depth=1
	v_mul_hi_u32 v24, v23, s25
	v_lshrrev_b32_e32 v24, 15, v24
	v_mul_u32_u24_e32 v30, 0xadc8, v24
	v_sub_u32_e32 v23, v23, v30
	v_mul_u32_u24_e32 v24, 0xd47, v24
	v_mul_lo_u32 v23, v23, s26
	v_xor_b32_e32 v30, 0x7fffffff, v24
	v_sub_u32_e32 v32, 0, v24
	v_cmp_lt_u32_e32 vcc, v23, v24
	v_cndmask_b32_e32 v24, v32, v30, vcc
	v_add_u32_e32 v23, v24, v23
	v_mul_hi_u32 v30, v23, s25
	v_lshrrev_b32_e32 v30, 15, v30
	v_mul_u32_u24_e32 v32, 0xadc8, v30
	v_add_u32_e32 v24, -1, v23
	v_sub_u32_e32 v23, v23, v32
	v_mul_u32_u24_e32 v30, 0xd47, v30
	v_mul_lo_u32 v23, v23, s26
	v_xor_b32_e32 v32, 0x7fffffff, v30
	v_sub_u32_e32 v33, 0, v30
	v_cmp_lt_u32_e32 vcc, v23, v30
	v_cndmask_b32_e32 v30, v33, v32, vcc
	v_add_u32_e32 v23, v30, v23
	v_mul_hi_u32 v32, v23, s25
	v_add_u32_e32 v30, -1, v23
	v_lshrrev_b32_e32 v32, 15, v32
	v_cvt_f32_u32_e32 v30, v30
	v_mul_u32_u24_e32 v33, 0xadc8, v32
	v_cvt_f32_u32_e32 v24, v24
	v_sub_u32_e32 v23, v23, v33
	v_mul_u32_u24_e32 v32, 0xd47, v32
	v_mul_lo_u32 v23, v23, s26
	v_xor_b32_e32 v33, 0x7fffffff, v32
	v_sub_u32_e32 v34, 0, v32
	v_cmp_lt_u32_e32 vcc, v23, v32
	v_fma_f32 v30, v30, s27, 0
	v_cndmask_b32_e32 v32, v34, v33, vcc
	v_fma_f32 v24, v24, s27, 0
	v_mul_f32_e32 v30, v30, v30
	v_add_u32_e32 v23, v32, v23
	v_fmac_f32_e32 v30, v24, v24
	v_mul_hi_u32 v32, v23, s25
	v_mul_f32_e32 v33, 0x4f800000, v30
	v_lshrrev_b32_e32 v32, 15, v32
	v_cmp_gt_f32_e32 vcc, s28, v30
	v_cndmask_b32_e32 v30, v30, v33, vcc
	v_mul_u32_u24_e32 v33, 0xadc8, v32
	v_add_u32_e32 v24, -1, v23
	v_sqrt_f32_e32 v34, v30
	v_sub_u32_e32 v23, v23, v33
	v_mul_u32_u24_e32 v32, 0xd47, v32
	v_mul_lo_u32 v23, v23, s26
	v_xor_b32_e32 v33, 0x7fffffff, v32
	v_sub_u32_e32 v35, 0, v32
	v_cmp_lt_u32_e64 s[20:21], v23, v32
	v_cndmask_b32_e64 v32, v35, v33, s[20:21]
	v_add_u32_e32 v23, v32, v23
	v_add_u32_e32 v32, -1, v34
	v_add_u32_e32 v33, 1, v34
	v_add_u32_e32 v35, -1, v23
	v_fma_f32 v36, -v32, v34, v30
	v_fma_f32 v37, -v33, v34, v30
	v_cvt_f32_u32_e32 v35, v35
	v_cmp_ge_f32_e64 s[20:21], 0, v36
	v_cvt_f32_u32_e32 v24, v24
	v_cndmask_b32_e64 v32, v34, v32, s[20:21]
	v_cmp_lt_f32_e64 s[20:21], 0, v37
	v_cndmask_b32_e64 v32, v32, v33, s[20:21]
	v_mul_f32_e32 v33, 0x37800000, v32
	v_cndmask_b32_e32 v32, v32, v33, vcc
	v_fma_f32 v33, v35, s27, 0
	v_cmp_class_f32_e32 vcc, v30, v9
	v_fma_f32 v24, v24, s27, 0
	v_cndmask_b32_e32 v30, v32, v30, vcc
	v_mul_f32_e32 v32, v33, v33
	v_add_f32_e32 v25, 1.0, v22
	v_cmp_nge_f32_e32 vcc, 1.0, v30
	v_fmac_f32_e32 v32, v24, v24
	v_cndmask_b32_e32 v22, v25, v22, vcc
	v_mul_f32_e32 v24, 0x4f800000, v32
	v_cmp_gt_f32_e32 vcc, s28, v32
	v_cndmask_b32_e32 v24, v32, v24, vcc
	v_sqrt_f32_e32 v30, v24
	s_add_i32 s24, s24, -2
	v_add_f32_e32 v25, 1.0, v22
	s_cmp_lg_u32 s24, 0
	v_add_u32_e32 v32, -1, v30
	v_add_u32_e32 v33, 1, v30
	v_fma_f32 v34, -v32, v30, v24
	v_fma_f32 v35, -v33, v30, v24
	v_cmp_ge_f32_e64 s[20:21], 0, v34
	v_cndmask_b32_e64 v30, v30, v32, s[20:21]
	v_cmp_lt_f32_e64 s[20:21], 0, v35
	v_cndmask_b32_e64 v30, v30, v33, s[20:21]
	v_mul_f32_e32 v32, 0x37800000, v30
	v_cndmask_b32_e32 v30, v30, v32, vcc
	v_cmp_class_f32_e32 vcc, v24, v9
	v_cndmask_b32_e32 v24, v30, v24, vcc
	v_cmp_nge_f32_e32 vcc, 1.0, v24
	v_cndmask_b32_e32 v22, v25, v22, vcc
	s_cbranch_scc1 .LBB29_889
; %bb.890:
	v_mul_f32_e32 v9, 4.0, v22
	s_mov_b32 s24, 0x459c4000
	v_div_scale_f32 v22, s[20:21], s24, s24, v9
	v_rcp_f32_e32 v23, v22
	v_fma_f32 v24, -v22, v23, 1.0
	v_fmac_f32_e32 v23, v24, v23
	v_div_scale_f32 v24, vcc, v9, s24, v9
	v_mul_f32_e32 v25, v24, v23
	v_fma_f32 v30, -v22, v25, v24
	v_fmac_f32_e32 v25, v30, v23
	v_fma_f32 v22, -v22, v25, v24
	v_div_fmas_f32 v22, v22, v23, v25
	v_div_fixup_f32 v9, v22, s24, v9
.LBB29_891:
	s_or_b64 exec, exec, s[22:23]
	v_or_b32_e32 v22, 0x400, v27
	v_cmp_lt_u32_e64 s[20:21], v22, v28
	s_and_saveexec_b64 s[24:25], s[20:21]
	s_cbranch_execz .LBB29_911
; %bb.892:
	v_add_u32_e32 v10, v29, v22
	s_movk_i32 s22, 0x1388
	v_mul_lo_u32 v22, v10, s22
	v_cmp_ne_u32_e32 vcc, 0, v22
	v_mov_b32_e32 v23, 1
	s_and_saveexec_b64 s[26:27], vcc
	s_cbranch_execz .LBB29_908
; %bb.893:
	v_mov_b32_e32 v24, 1
	v_mov_b32_e32 v23, 0
	s_mov_b64 s[30:31], 0xbc8f
	s_mov_b64 s[28:29], 0
	v_mov_b32_e32 v25, 0
	s_brev_b32 s36, -2
	s_mov_b32 s37, 0x7ffffffe
	v_mov_b32_e32 v10, 0xfffff800
	s_movk_i32 s38, 0x401
	s_branch .LBB29_895
.LBB29_894:                             ;   in Loop: Header=BB29_895 Depth=1
	s_or_b64 exec, exec, s[34:35]
	s_mul_i32 s22, s30, s31
	s_mul_hi_u32 s23, s30, s30
	s_add_i32 s23, s23, s22
	s_add_i32 s22, s23, s22
	s_add_u32 vcc_lo, 0x402, s38
	s_mul_i32 s23, s30, s30
	s_addc_u32 s30, 0, 0
	v_add_co_u32_e32 v30, vcc, vcc_lo, v10
	s_cmp_lg_u64 vcc, 0
	v_readfirstlane_b32 vcc_hi, v30
	s_addc_u32 s30, s30, 1
	s_mul_hi_u32 s31, vcc_hi, 0x80000001
	s_mul_i32 vcc_lo, s30, 0x80000001
	s_sub_i32 s31, s31, vcc_hi
	s_add_i32 s31, s31, vcc_lo
	s_mul_i32 s35, vcc_hi, 0x80000001
	s_mul_hi_u32 vcc_lo, vcc_hi, s31
	s_mul_i32 s34, vcc_hi, s31
	s_mul_hi_u32 vcc_hi, vcc_hi, s35
	s_add_u32 vcc_hi, vcc_hi, s34
	s_addc_u32 vcc_lo, 0, vcc_lo
	s_mul_hi_u32 s39, s30, s35
	s_mul_i32 s35, s30, s35
	s_add_u32 vcc_hi, vcc_hi, s35
	s_mul_hi_u32 s34, s30, s31
	s_addc_u32 vcc_lo, vcc_lo, s39
	s_addc_u32 vcc_hi, s34, 0
	s_mul_i32 s31, s30, s31
	s_add_u32 vcc_lo, vcc_lo, s31
	s_addc_u32 s31, 0, vcc_hi
	v_add_co_u32_e32 v30, vcc, vcc_lo, v30
	s_cmp_lg_u64 vcc, 0
	s_addc_u32 vcc_lo, s30, s31
	v_readfirstlane_b32 s31, v30
	s_mul_i32 s30, s23, vcc_lo
	s_mul_hi_u32 s34, s23, s31
	s_mul_hi_u32 vcc_hi, s23, vcc_lo
	s_add_u32 s30, s34, s30
	s_addc_u32 vcc_hi, 0, vcc_hi
	s_mul_hi_u32 s35, s22, s31
	s_mul_i32 s31, s22, s31
	s_add_u32 s30, s30, s31
	s_mul_hi_u32 s34, s22, vcc_lo
	s_addc_u32 vcc_hi, vcc_hi, s35
	s_addc_u32 s30, s34, 0
	s_mul_i32 vcc_lo, s22, vcc_lo
	s_add_u32 vcc_lo, vcc_hi, vcc_lo
	s_addc_u32 vcc_hi, 0, s30
	s_mul_hi_u32 s30, vcc_lo, 0x7fffffff
	s_mul_i32 vcc_lo, vcc_lo, 0x7fffffff
	s_mul_i32 vcc_hi, vcc_hi, 0x7fffffff
	v_mov_b32_e32 v30, vcc_lo
	s_add_i32 s30, s30, vcc_hi
	v_sub_co_u32_e32 v30, vcc, s23, v30
	s_cmp_lg_u64 vcc, 0
	s_subb_u32 s22, s22, s30
	v_subrev_co_u32_e32 v34, vcc, s36, v30
	s_cmp_lg_u64 vcc, 0
	s_subb_u32 s23, s22, 0
	v_subrev_co_u32_e32 v35, vcc, s36, v34
	s_cmp_lg_u64 vcc, 0
	s_subb_u32 vcc_lo, s23, 0
	v_readfirstlane_b32 vcc_hi, v34
	s_cmp_gt_u32 vcc_hi, 0x7ffffffe
	s_cselect_b32 s30, -1, 0
	s_cmp_eq_u32 s23, 0
	s_cselect_b32 s30, s30, -1
	s_cmp_lg_u32 s30, 0
	s_cselect_b32 s23, vcc_lo, s23
	v_readfirstlane_b32 vcc_lo, v35
	s_cselect_b32 vcc_lo, vcc_lo, vcc_hi
	v_readfirstlane_b32 vcc_hi, v30
	s_cmp_gt_u32 vcc_hi, 0x7ffffffe
	s_cselect_b32 s30, -1, 0
	s_cmp_eq_u32 s22, 0
	s_cselect_b32 s30, s30, -1
	s_cmp_lg_u32 s30, 0
	v_lshrrev_b64 v[32:33], 1, v[22:23]
	s_cselect_b32 s30, vcc_lo, vcc_hi
	v_cmp_gt_u64_e32 vcc, 2, v[22:23]
	s_cselect_b32 s31, s23, s22
	s_or_b64 s[28:29], vcc, s[28:29]
	v_pk_mov_b32 v[22:23], v[32:33], v[32:33] op_sel:[0,1]
	s_andn2_b64 exec, exec, s[28:29]
	s_cbranch_execz .LBB29_907
.LBB29_895:                             ; =>This Inner Loop Header: Depth=1
	v_and_b32_e32 v30, 1, v22
	v_cmp_eq_u32_e32 vcc, 1, v30
	s_and_saveexec_b64 s[34:35], vcc
	s_cbranch_execz .LBB29_894
; %bb.896:                              ;   in Loop: Header=BB29_895 Depth=1
	v_mul_lo_u32 v30, s31, v24
	v_mul_lo_u32 v32, s30, v25
	v_mad_u64_u32 v[24:25], s[22:23], s30, v24, 0
	s_add_u32 s22, 0x402, s38
	v_add3_u32 v25, v25, v32, v30
	s_addc_u32 s23, 0, 0
	v_add_co_u32_e32 v30, vcc, s22, v10
	s_cmp_lg_u64 vcc, 0
	v_readfirstlane_b32 vcc_lo, v30
	s_addc_u32 s22, s23, 1
	s_mul_hi_u32 vcc_hi, vcc_lo, 0x80000001
	s_mul_i32 s23, s22, 0x80000001
	s_sub_i32 vcc_hi, vcc_hi, vcc_lo
	s_add_i32 vcc_hi, vcc_hi, s23
	s_mul_i32 s44, vcc_lo, 0x80000001
	s_mul_hi_u32 s23, vcc_lo, vcc_hi
	s_mul_i32 s39, vcc_lo, vcc_hi
	s_mul_hi_u32 vcc_lo, vcc_lo, s44
	s_add_u32 vcc_lo, vcc_lo, s39
	s_addc_u32 s23, 0, s23
	s_mul_hi_u32 s45, s22, s44
	s_mul_i32 s44, s22, s44
	s_add_u32 vcc_lo, vcc_lo, s44
	s_mul_hi_u32 s39, s22, vcc_hi
	s_addc_u32 s23, s23, s45
	s_addc_u32 vcc_lo, s39, 0
	s_mul_i32 vcc_hi, s22, vcc_hi
	s_add_u32 s23, s23, vcc_hi
	s_addc_u32 s39, 0, vcc_lo
	v_add_co_u32_e32 v30, vcc, s23, v30
	s_cmp_lg_u64 vcc, 0
	s_addc_u32 s39, s22, s39
	v_mad_u64_u32 v[32:33], s[22:23], v24, s39, 0
	v_mul_hi_u32 v34, v24, v30
	v_add_co_u32_e32 v36, vcc, v34, v32
	v_addc_co_u32_e32 v37, vcc, 0, v33, vcc
	v_mad_u64_u32 v[34:35], s[22:23], v25, v30, 0
	v_add_co_u32_e32 v30, vcc, v36, v34
	v_mad_u64_u32 v[32:33], s[22:23], v25, s39, 0
	v_addc_co_u32_e32 v30, vcc, v37, v35, vcc
	v_addc_co_u32_e32 v33, vcc, 0, v33, vcc
	v_add_co_u32_e32 v30, vcc, v30, v32
	v_addc_co_u32_e32 v34, vcc, 0, v33, vcc
	v_mad_u64_u32 v[32:33], s[22:23], v30, s36, 0
	v_mov_b32_e32 v30, v33
	v_mad_u64_u32 v[34:35], s[22:23], v34, s36, v[30:31]
	v_sub_co_u32_e32 v24, vcc, v24, v32
	v_subb_co_u32_e32 v25, vcc, v25, v34, vcc
	v_subrev_co_u32_e32 v30, vcc, s36, v24
	v_subbrev_co_u32_e32 v32, vcc, 0, v25, vcc
	v_subrev_co_u32_e32 v33, vcc, s36, v30
	v_subbrev_co_u32_e32 v34, vcc, 0, v32, vcc
	v_cmp_lt_u32_e32 vcc, s37, v30
	v_cndmask_b32_e64 v35, 0, -1, vcc
	v_cmp_eq_u32_e32 vcc, 0, v32
	v_cndmask_b32_e32 v35, -1, v35, vcc
	v_cmp_ne_u32_e32 vcc, 0, v35
	v_cmp_lt_u32_e64 s[22:23], s37, v24
	v_cndmask_b32_e32 v32, v32, v34, vcc
	v_cndmask_b32_e64 v34, 0, -1, s[22:23]
	v_cmp_eq_u32_e64 s[22:23], 0, v25
	v_cndmask_b32_e64 v34, -1, v34, s[22:23]
	v_cmp_ne_u32_e64 s[22:23], 0, v34
	v_cndmask_b32_e32 v30, v30, v33, vcc
	v_cndmask_b32_e64 v25, v25, v32, s[22:23]
	v_cndmask_b32_e64 v24, v24, v30, s[22:23]
	s_branch .LBB29_894
.LBB29_897:
	s_or_b64 exec, exec, s[26:27]
	s_movk_i32 s20, 0x401
	s_add_u32 s20, 0x402, s20
	v_mov_b32_e32 v4, 0xfffff800
	s_addc_u32 s21, 0, 0
	v_add_co_u32_e32 v4, vcc, s20, v4
	s_cmp_lg_u64 vcc, 0
	v_readfirstlane_b32 s26, v4
	s_addc_u32 s20, s21, 1
	s_mul_hi_u32 s27, s26, 0x80000001
	s_mul_i32 s21, s20, 0x80000001
	s_sub_i32 s27, s27, s26
	s_add_i32 s27, s27, s21
	s_mul_i32 s29, s26, 0x80000001
	s_mul_hi_u32 s21, s26, s27
	s_mul_i32 s28, s26, s27
	s_mul_hi_u32 s26, s26, s29
	s_add_u32 s26, s26, s28
	s_addc_u32 s21, 0, s21
	s_mul_hi_u32 vcc_lo, s20, s29
	s_mul_i32 s29, s20, s29
	s_add_u32 s26, s26, s29
	s_mul_hi_u32 s28, s20, s27
	s_addc_u32 s21, s21, vcc_lo
	s_addc_u32 s26, s28, 0
	s_mul_i32 s27, s20, s27
	s_add_u32 s21, s21, s27
	s_addc_u32 s26, 0, s26
	v_add_co_u32_e32 v19, vcc, s21, v4
	s_cmp_lg_u64 vcc, 0
	s_addc_u32 s26, s20, s26
	v_mad_u64_u32 v[4:5], s[20:21], v6, s26, 0
	v_mul_hi_u32 v20, v6, v19
	v_add_co_u32_e32 v22, vcc, v20, v4
	v_addc_co_u32_e32 v23, vcc, 0, v5, vcc
	v_mad_u64_u32 v[20:21], s[20:21], v7, v19, 0
	v_add_co_u32_e32 v19, vcc, v22, v20
	v_mad_u64_u32 v[4:5], s[20:21], v7, s26, 0
	v_addc_co_u32_e32 v19, vcc, v23, v21, vcc
	v_addc_co_u32_e32 v5, vcc, 0, v5, vcc
	v_add_co_u32_e32 v4, vcc, v19, v4
	s_brev_b32 s26, -2
	v_addc_co_u32_e32 v19, vcc, 0, v5, vcc
	v_mad_u64_u32 v[4:5], s[20:21], v4, s26, 0
	v_mov_b32_e32 v20, v5
	v_mad_u64_u32 v[20:21], s[20:21], v19, s26, v[20:21]
	v_sub_co_u32_e32 v4, vcc, v6, v4
	v_subb_co_u32_e32 v5, vcc, v7, v20, vcc
	v_subrev_co_u32_e32 v6, vcc, 0x7fffffff, v4
	v_subbrev_co_u32_e32 v7, vcc, 0, v5, vcc
	s_mov_b32 s20, 0x7ffffffe
	v_cmp_lt_u32_e32 vcc, s20, v6
	v_cndmask_b32_e64 v19, 0, -1, vcc
	v_cmp_eq_u32_e32 vcc, 0, v7
	v_cndmask_b32_e32 v7, -1, v19, vcc
	v_add_u32_e32 v19, 0x80000001, v6
	v_cmp_ne_u32_e32 vcc, 0, v7
	v_cndmask_b32_e32 v6, v6, v19, vcc
	v_cmp_lt_u32_e32 vcc, s20, v4
	v_cndmask_b32_e64 v7, 0, -1, vcc
	v_cmp_eq_u32_e32 vcc, 0, v5
	v_cndmask_b32_e32 v5, -1, v7, vcc
	v_cmp_ne_u32_e32 vcc, 0, v5
	v_cndmask_b32_e32 v6, v4, v6, vcc
.LBB29_898:
	s_or_b64 exec, exec, s[24:25]
	s_movk_i32 s24, 0x1388
	v_mov_b32_e32 v5, 0
	s_mov_b32 s25, 0xbc8f1391
	s_mov_b32 s26, 0xbc8f
	s_brev_b32 s27, 12
	s_mov_b32 s28, 0xf800000
	v_mov_b32_e32 v4, 0x260
.LBB29_899:                             ; =>This Inner Loop Header: Depth=1
	v_mul_hi_u32 v7, v6, s25
	v_lshrrev_b32_e32 v7, 15, v7
	v_mul_u32_u24_e32 v20, 0xadc8, v7
	v_sub_u32_e32 v6, v6, v20
	v_mul_u32_u24_e32 v7, 0xd47, v7
	v_mul_lo_u32 v6, v6, s26
	v_xor_b32_e32 v20, 0x7fffffff, v7
	v_sub_u32_e32 v21, 0, v7
	v_cmp_lt_u32_e32 vcc, v6, v7
	v_cndmask_b32_e32 v7, v21, v20, vcc
	v_add_u32_e32 v6, v7, v6
	v_mul_hi_u32 v20, v6, s25
	v_lshrrev_b32_e32 v20, 15, v20
	v_mul_u32_u24_e32 v21, 0xadc8, v20
	v_add_u32_e32 v7, -1, v6
	v_sub_u32_e32 v6, v6, v21
	v_mul_u32_u24_e32 v20, 0xd47, v20
	v_mul_lo_u32 v6, v6, s26
	v_xor_b32_e32 v21, 0x7fffffff, v20
	v_sub_u32_e32 v22, 0, v20
	v_cmp_lt_u32_e32 vcc, v6, v20
	v_cndmask_b32_e32 v20, v22, v21, vcc
	v_add_u32_e32 v6, v20, v6
	v_mul_hi_u32 v21, v6, s25
	v_add_u32_e32 v20, -1, v6
	v_lshrrev_b32_e32 v21, 15, v21
	v_cvt_f32_u32_e32 v20, v20
	v_mul_u32_u24_e32 v22, 0xadc8, v21
	v_cvt_f32_u32_e32 v7, v7
	v_sub_u32_e32 v6, v6, v22
	v_mul_u32_u24_e32 v21, 0xd47, v21
	v_mul_lo_u32 v6, v6, s26
	v_xor_b32_e32 v22, 0x7fffffff, v21
	v_sub_u32_e32 v23, 0, v21
	v_cmp_lt_u32_e32 vcc, v6, v21
	v_fma_f32 v20, v20, s27, 0
	v_cndmask_b32_e32 v21, v23, v22, vcc
	v_fma_f32 v7, v7, s27, 0
	v_mul_f32_e32 v20, v20, v20
	v_add_u32_e32 v6, v21, v6
	v_fmac_f32_e32 v20, v7, v7
	v_mul_hi_u32 v21, v6, s25
	v_mul_f32_e32 v22, 0x4f800000, v20
	v_lshrrev_b32_e32 v21, 15, v21
	v_cmp_gt_f32_e32 vcc, s28, v20
	v_cndmask_b32_e32 v20, v20, v22, vcc
	v_mul_u32_u24_e32 v22, 0xadc8, v21
	v_add_u32_e32 v7, -1, v6
	v_sqrt_f32_e32 v23, v20
	v_sub_u32_e32 v6, v6, v22
	v_mul_u32_u24_e32 v21, 0xd47, v21
	v_mul_lo_u32 v6, v6, s26
	v_xor_b32_e32 v22, 0x7fffffff, v21
	v_sub_u32_e32 v24, 0, v21
	v_cmp_lt_u32_e64 s[20:21], v6, v21
	v_cndmask_b32_e64 v21, v24, v22, s[20:21]
	v_add_u32_e32 v6, v21, v6
	v_add_u32_e32 v21, -1, v23
	v_add_u32_e32 v22, 1, v23
	v_add_u32_e32 v24, -1, v6
	v_fma_f32 v25, -v21, v23, v20
	v_fma_f32 v26, -v22, v23, v20
	v_cvt_f32_u32_e32 v24, v24
	v_cmp_ge_f32_e64 s[20:21], 0, v25
	v_cvt_f32_u32_e32 v7, v7
	v_cndmask_b32_e64 v21, v23, v21, s[20:21]
	v_cmp_lt_f32_e64 s[20:21], 0, v26
	v_cndmask_b32_e64 v21, v21, v22, s[20:21]
	v_mul_f32_e32 v22, 0x37800000, v21
	v_cndmask_b32_e32 v21, v21, v22, vcc
	v_fma_f32 v22, v24, s27, 0
	v_cmp_class_f32_e32 vcc, v20, v4
	v_fma_f32 v7, v7, s27, 0
	v_cndmask_b32_e32 v20, v21, v20, vcc
	v_mul_f32_e32 v21, v22, v22
	v_add_f32_e32 v19, 1.0, v5
	v_cmp_nge_f32_e32 vcc, 1.0, v20
	v_fmac_f32_e32 v21, v7, v7
	v_cndmask_b32_e32 v5, v19, v5, vcc
	v_mul_f32_e32 v7, 0x4f800000, v21
	v_cmp_gt_f32_e32 vcc, s28, v21
	v_cndmask_b32_e32 v7, v21, v7, vcc
	v_sqrt_f32_e32 v20, v7
	s_add_i32 s24, s24, -2
	v_add_f32_e32 v19, 1.0, v5
	s_cmp_lg_u32 s24, 0
	v_add_u32_e32 v21, -1, v20
	v_add_u32_e32 v22, 1, v20
	v_fma_f32 v23, -v21, v20, v7
	v_fma_f32 v24, -v22, v20, v7
	v_cmp_ge_f32_e64 s[20:21], 0, v23
	v_cndmask_b32_e64 v20, v20, v21, s[20:21]
	v_cmp_lt_f32_e64 s[20:21], 0, v24
	v_cndmask_b32_e64 v20, v20, v22, s[20:21]
	v_mul_f32_e32 v21, 0x37800000, v20
	v_cndmask_b32_e32 v20, v20, v21, vcc
	v_cmp_class_f32_e32 vcc, v7, v4
	v_cndmask_b32_e32 v7, v20, v7, vcc
	v_cmp_nge_f32_e32 vcc, 1.0, v7
	v_cndmask_b32_e32 v5, v19, v5, vcc
	s_cbranch_scc1 .LBB29_899
; %bb.900:
	v_mul_f32_e32 v4, 4.0, v5
	s_mov_b32 s24, 0x459c4000
	v_div_scale_f32 v5, s[20:21], s24, s24, v4
	v_rcp_f32_e32 v6, v5
	v_fma_f32 v7, -v5, v6, 1.0
	v_fmac_f32_e32 v6, v7, v6
	v_div_scale_f32 v7, vcc, v4, s24, v4
	v_mul_f32_e32 v19, v7, v6
	v_fma_f32 v20, -v5, v19, v7
	v_fmac_f32_e32 v19, v20, v6
	v_fma_f32 v5, -v5, v19, v7
	v_div_fmas_f32 v5, v5, v6, v19
	v_div_fixup_f32 v19, v5, s24, v4
.LBB29_901:
	s_or_b64 exec, exec, s[22:23]
	v_or_b32_e32 v4, 0x400, v11
	v_cmp_lt_u32_e64 s[20:21], v4, v8
                                        ; implicit-def: $vgpr20
	s_and_saveexec_b64 s[24:25], s[20:21]
	s_cbranch_execz .LBB29_921
; %bb.902:
	v_add_u32_e32 v4, v9, v4
	s_movk_i32 s22, 0x1388
	v_mul_lo_u32 v4, v4, s22
	v_cmp_ne_u32_e32 vcc, 0, v4
	v_mov_b32_e32 v6, 1
	s_and_saveexec_b64 s[26:27], vcc
	s_cbranch_execz .LBB29_918
; %bb.903:
	v_mov_b32_e32 v6, 1
	v_mov_b32_e32 v5, 0
	s_mov_b64 s[30:31], 0xbc8f
	s_mov_b64 s[28:29], 0
	v_mov_b32_e32 v7, 0
	s_brev_b32 s36, -2
	s_mov_b32 s37, 0x7ffffffe
	v_mov_b32_e32 v20, 0xfffff800
	s_movk_i32 s38, 0x401
	s_branch .LBB29_905
.LBB29_904:                             ;   in Loop: Header=BB29_905 Depth=1
	s_or_b64 exec, exec, s[34:35]
	s_mul_i32 s22, s30, s31
	s_mul_hi_u32 s23, s30, s30
	s_add_i32 s23, s23, s22
	s_add_i32 s22, s23, s22
	s_add_u32 vcc_lo, 0x402, s38
	s_mul_i32 s23, s30, s30
	s_addc_u32 s30, 0, 0
	v_add_co_u32_e32 v21, vcc, vcc_lo, v20
	s_cmp_lg_u64 vcc, 0
	v_readfirstlane_b32 vcc_hi, v21
	s_addc_u32 s30, s30, 1
	s_mul_hi_u32 s31, vcc_hi, 0x80000001
	s_mul_i32 vcc_lo, s30, 0x80000001
	s_sub_i32 s31, s31, vcc_hi
	s_add_i32 s31, s31, vcc_lo
	s_mul_i32 s35, vcc_hi, 0x80000001
	s_mul_hi_u32 vcc_lo, vcc_hi, s31
	s_mul_i32 s34, vcc_hi, s31
	s_mul_hi_u32 vcc_hi, vcc_hi, s35
	s_add_u32 vcc_hi, vcc_hi, s34
	s_addc_u32 vcc_lo, 0, vcc_lo
	s_mul_hi_u32 s39, s30, s35
	s_mul_i32 s35, s30, s35
	s_add_u32 vcc_hi, vcc_hi, s35
	s_mul_hi_u32 s34, s30, s31
	s_addc_u32 vcc_lo, vcc_lo, s39
	s_addc_u32 vcc_hi, s34, 0
	s_mul_i32 s31, s30, s31
	s_add_u32 vcc_lo, vcc_lo, s31
	s_addc_u32 s31, 0, vcc_hi
	v_add_co_u32_e32 v21, vcc, vcc_lo, v21
	s_cmp_lg_u64 vcc, 0
	s_addc_u32 vcc_lo, s30, s31
	v_readfirstlane_b32 s31, v21
	s_mul_i32 s30, s23, vcc_lo
	s_mul_hi_u32 s34, s23, s31
	s_mul_hi_u32 vcc_hi, s23, vcc_lo
	s_add_u32 s30, s34, s30
	s_addc_u32 vcc_hi, 0, vcc_hi
	s_mul_hi_u32 s35, s22, s31
	s_mul_i32 s31, s22, s31
	s_add_u32 s30, s30, s31
	s_mul_hi_u32 s34, s22, vcc_lo
	s_addc_u32 vcc_hi, vcc_hi, s35
	s_addc_u32 s30, s34, 0
	s_mul_i32 vcc_lo, s22, vcc_lo
	s_add_u32 vcc_lo, vcc_hi, vcc_lo
	s_addc_u32 vcc_hi, 0, s30
	s_mul_hi_u32 s30, vcc_lo, 0x7fffffff
	s_mul_i32 vcc_lo, vcc_lo, 0x7fffffff
	s_mul_i32 vcc_hi, vcc_hi, 0x7fffffff
	v_mov_b32_e32 v21, vcc_lo
	s_add_i32 s30, s30, vcc_hi
	v_sub_co_u32_e32 v21, vcc, s23, v21
	s_cmp_lg_u64 vcc, 0
	s_subb_u32 s22, s22, s30
	v_subrev_co_u32_e32 v24, vcc, s36, v21
	s_cmp_lg_u64 vcc, 0
	s_subb_u32 s23, s22, 0
	v_subrev_co_u32_e32 v25, vcc, s36, v24
	s_cmp_lg_u64 vcc, 0
	s_subb_u32 vcc_lo, s23, 0
	v_readfirstlane_b32 vcc_hi, v24
	s_cmp_gt_u32 vcc_hi, 0x7ffffffe
	s_cselect_b32 s30, -1, 0
	s_cmp_eq_u32 s23, 0
	s_cselect_b32 s30, s30, -1
	s_cmp_lg_u32 s30, 0
	s_cselect_b32 s23, vcc_lo, s23
	v_readfirstlane_b32 vcc_lo, v25
	s_cselect_b32 vcc_lo, vcc_lo, vcc_hi
	v_readfirstlane_b32 vcc_hi, v21
	s_cmp_gt_u32 vcc_hi, 0x7ffffffe
	s_cselect_b32 s30, -1, 0
	s_cmp_eq_u32 s22, 0
	s_cselect_b32 s30, s30, -1
	s_cmp_lg_u32 s30, 0
	v_lshrrev_b64 v[22:23], 1, v[4:5]
	s_cselect_b32 s30, vcc_lo, vcc_hi
	v_cmp_gt_u64_e32 vcc, 2, v[4:5]
	s_cselect_b32 s31, s23, s22
	s_or_b64 s[28:29], vcc, s[28:29]
	v_pk_mov_b32 v[4:5], v[22:23], v[22:23] op_sel:[0,1]
	s_andn2_b64 exec, exec, s[28:29]
	s_cbranch_execz .LBB29_917
.LBB29_905:                             ; =>This Inner Loop Header: Depth=1
	v_and_b32_e32 v21, 1, v4
	v_cmp_eq_u32_e32 vcc, 1, v21
	s_and_saveexec_b64 s[34:35], vcc
	s_cbranch_execz .LBB29_904
; %bb.906:                              ;   in Loop: Header=BB29_905 Depth=1
	v_mul_lo_u32 v21, s31, v6
	v_mul_lo_u32 v22, s30, v7
	v_mad_u64_u32 v[6:7], s[22:23], s30, v6, 0
	s_add_u32 s22, 0x402, s38
	v_add3_u32 v7, v7, v22, v21
	s_addc_u32 s23, 0, 0
	v_add_co_u32_e32 v21, vcc, s22, v20
	s_cmp_lg_u64 vcc, 0
	v_readfirstlane_b32 vcc_lo, v21
	s_addc_u32 s22, s23, 1
	s_mul_hi_u32 vcc_hi, vcc_lo, 0x80000001
	s_mul_i32 s23, s22, 0x80000001
	s_sub_i32 vcc_hi, vcc_hi, vcc_lo
	s_add_i32 vcc_hi, vcc_hi, s23
	s_mul_i32 s40, vcc_lo, 0x80000001
	s_mul_hi_u32 s23, vcc_lo, vcc_hi
	s_mul_i32 s39, vcc_lo, vcc_hi
	s_mul_hi_u32 vcc_lo, vcc_lo, s40
	s_add_u32 vcc_lo, vcc_lo, s39
	s_addc_u32 s23, 0, s23
	s_mul_hi_u32 s41, s22, s40
	s_mul_i32 s40, s22, s40
	s_add_u32 vcc_lo, vcc_lo, s40
	s_mul_hi_u32 s39, s22, vcc_hi
	s_addc_u32 s23, s23, s41
	s_addc_u32 vcc_lo, s39, 0
	s_mul_i32 vcc_hi, s22, vcc_hi
	s_add_u32 s23, s23, vcc_hi
	s_addc_u32 s39, 0, vcc_lo
	v_add_co_u32_e32 v21, vcc, s23, v21
	s_cmp_lg_u64 vcc, 0
	s_addc_u32 s39, s22, s39
	v_mad_u64_u32 v[22:23], s[22:23], v6, s39, 0
	v_mul_hi_u32 v24, v6, v21
	v_add_co_u32_e32 v26, vcc, v24, v22
	v_addc_co_u32_e32 v27, vcc, 0, v23, vcc
	v_mad_u64_u32 v[24:25], s[22:23], v7, v21, 0
	v_add_co_u32_e32 v21, vcc, v26, v24
	v_mad_u64_u32 v[22:23], s[22:23], v7, s39, 0
	v_addc_co_u32_e32 v21, vcc, v27, v25, vcc
	v_addc_co_u32_e32 v23, vcc, 0, v23, vcc
	v_add_co_u32_e32 v21, vcc, v21, v22
	v_addc_co_u32_e32 v25, vcc, 0, v23, vcc
	v_mad_u64_u32 v[22:23], s[22:23], v21, s36, 0
	v_mov_b32_e32 v24, v23
	v_mad_u64_u32 v[24:25], s[22:23], v25, s36, v[24:25]
	v_sub_co_u32_e32 v6, vcc, v6, v22
	v_subb_co_u32_e32 v7, vcc, v7, v24, vcc
	v_subrev_co_u32_e32 v21, vcc, s36, v6
	v_subbrev_co_u32_e32 v22, vcc, 0, v7, vcc
	v_subrev_co_u32_e32 v23, vcc, s36, v21
	v_subbrev_co_u32_e32 v24, vcc, 0, v22, vcc
	v_cmp_lt_u32_e32 vcc, s37, v21
	v_cndmask_b32_e64 v25, 0, -1, vcc
	v_cmp_eq_u32_e32 vcc, 0, v22
	v_cndmask_b32_e32 v25, -1, v25, vcc
	v_cmp_ne_u32_e32 vcc, 0, v25
	v_cmp_lt_u32_e64 s[22:23], s37, v6
	v_cndmask_b32_e32 v22, v22, v24, vcc
	v_cndmask_b32_e64 v24, 0, -1, s[22:23]
	v_cmp_eq_u32_e64 s[22:23], 0, v7
	v_cndmask_b32_e64 v24, -1, v24, s[22:23]
	v_cmp_ne_u32_e64 s[22:23], 0, v24
	v_cndmask_b32_e32 v21, v21, v23, vcc
	v_cndmask_b32_e64 v7, v7, v22, s[22:23]
	v_cndmask_b32_e64 v6, v6, v21, s[22:23]
	s_branch .LBB29_904
.LBB29_907:
	s_or_b64 exec, exec, s[28:29]
	s_movk_i32 s22, 0x401
	s_add_u32 s22, 0x402, s22
	v_mov_b32_e32 v10, 0xfffff800
	s_addc_u32 s23, 0, 0
	v_add_co_u32_e32 v10, vcc, s22, v10
	s_cmp_lg_u64 vcc, 0
	v_readfirstlane_b32 s28, v10
	s_addc_u32 s22, s23, 1
	s_mul_hi_u32 s29, s28, 0x80000001
	s_mul_i32 s23, s22, 0x80000001
	s_sub_i32 s29, s29, s28
	s_add_i32 s29, s29, s23
	s_mul_i32 vcc_hi, s28, 0x80000001
	s_mul_hi_u32 s23, s28, s29
	s_mul_i32 vcc_lo, s28, s29
	s_mul_hi_u32 s28, s28, vcc_hi
	s_add_u32 s28, s28, vcc_lo
	s_addc_u32 s23, 0, s23
	s_mul_hi_u32 s30, s22, vcc_hi
	s_mul_i32 vcc_hi, s22, vcc_hi
	s_add_u32 s28, s28, vcc_hi
	s_mul_hi_u32 vcc_lo, s22, s29
	s_addc_u32 s23, s23, s30
	s_addc_u32 s28, vcc_lo, 0
	s_mul_i32 s29, s22, s29
	s_add_u32 s23, s23, s29
	s_addc_u32 s28, 0, s28
	v_add_co_u32_e32 v10, vcc, s23, v10
	s_cmp_lg_u64 vcc, 0
	s_addc_u32 s28, s22, s28
	v_mad_u64_u32 v[22:23], s[22:23], v24, s28, 0
	v_mul_hi_u32 v30, v24, v10
	v_add_co_u32_e32 v30, vcc, v30, v22
	v_addc_co_u32_e32 v34, vcc, 0, v23, vcc
	v_mad_u64_u32 v[32:33], s[22:23], v25, v10, 0
	v_add_co_u32_e32 v10, vcc, v30, v32
	v_mad_u64_u32 v[22:23], s[22:23], v25, s28, 0
	v_addc_co_u32_e32 v10, vcc, v34, v33, vcc
	v_addc_co_u32_e32 v23, vcc, 0, v23, vcc
	v_add_co_u32_e32 v10, vcc, v10, v22
	s_brev_b32 s28, -2
	v_addc_co_u32_e32 v30, vcc, 0, v23, vcc
	v_mad_u64_u32 v[22:23], s[22:23], v10, s28, 0
	v_mov_b32_e32 v10, v23
	v_mad_u64_u32 v[32:33], s[22:23], v30, s28, v[10:11]
	v_sub_co_u32_e32 v10, vcc, v24, v22
	v_subb_co_u32_e32 v22, vcc, v25, v32, vcc
	v_subrev_co_u32_e32 v23, vcc, 0x7fffffff, v10
	v_subbrev_co_u32_e32 v24, vcc, 0, v22, vcc
	s_mov_b32 s22, 0x7ffffffe
	v_cmp_lt_u32_e32 vcc, s22, v23
	v_cndmask_b32_e64 v25, 0, -1, vcc
	v_cmp_eq_u32_e32 vcc, 0, v24
	v_cndmask_b32_e32 v24, -1, v25, vcc
	v_add_u32_e32 v25, 0x80000001, v23
	v_cmp_ne_u32_e32 vcc, 0, v24
	v_cndmask_b32_e32 v23, v23, v25, vcc
	v_cmp_lt_u32_e32 vcc, s22, v10
	v_cndmask_b32_e64 v24, 0, -1, vcc
	v_cmp_eq_u32_e32 vcc, 0, v22
	v_cndmask_b32_e32 v22, -1, v24, vcc
	v_cmp_ne_u32_e32 vcc, 0, v22
	v_cndmask_b32_e32 v23, v10, v23, vcc
.LBB29_908:
	s_or_b64 exec, exec, s[26:27]
	s_movk_i32 s26, 0x1388
	v_mov_b32_e32 v22, 0
	s_mov_b32 s27, 0xbc8f1391
	s_mov_b32 s28, 0xbc8f
	s_brev_b32 s29, 12
	s_mov_b32 s30, 0xf800000
	v_mov_b32_e32 v10, 0x260
.LBB29_909:                             ; =>This Inner Loop Header: Depth=1
	v_mul_hi_u32 v24, v23, s27
	v_lshrrev_b32_e32 v24, 15, v24
	v_mul_u32_u24_e32 v30, 0xadc8, v24
	v_sub_u32_e32 v23, v23, v30
	v_mul_u32_u24_e32 v24, 0xd47, v24
	v_mul_lo_u32 v23, v23, s28
	v_xor_b32_e32 v30, 0x7fffffff, v24
	v_sub_u32_e32 v32, 0, v24
	v_cmp_lt_u32_e32 vcc, v23, v24
	v_cndmask_b32_e32 v24, v32, v30, vcc
	v_add_u32_e32 v23, v24, v23
	v_mul_hi_u32 v30, v23, s27
	v_lshrrev_b32_e32 v30, 15, v30
	v_mul_u32_u24_e32 v32, 0xadc8, v30
	v_add_u32_e32 v24, -1, v23
	v_sub_u32_e32 v23, v23, v32
	v_mul_u32_u24_e32 v30, 0xd47, v30
	v_mul_lo_u32 v23, v23, s28
	v_xor_b32_e32 v32, 0x7fffffff, v30
	v_sub_u32_e32 v33, 0, v30
	v_cmp_lt_u32_e32 vcc, v23, v30
	v_cndmask_b32_e32 v30, v33, v32, vcc
	v_add_u32_e32 v23, v30, v23
	v_mul_hi_u32 v32, v23, s27
	v_add_u32_e32 v30, -1, v23
	v_lshrrev_b32_e32 v32, 15, v32
	v_cvt_f32_u32_e32 v30, v30
	v_mul_u32_u24_e32 v33, 0xadc8, v32
	v_cvt_f32_u32_e32 v24, v24
	v_sub_u32_e32 v23, v23, v33
	v_mul_u32_u24_e32 v32, 0xd47, v32
	v_mul_lo_u32 v23, v23, s28
	v_xor_b32_e32 v33, 0x7fffffff, v32
	v_sub_u32_e32 v34, 0, v32
	v_cmp_lt_u32_e32 vcc, v23, v32
	v_fma_f32 v30, v30, s29, 0
	v_cndmask_b32_e32 v32, v34, v33, vcc
	v_fma_f32 v24, v24, s29, 0
	v_mul_f32_e32 v30, v30, v30
	v_add_u32_e32 v23, v32, v23
	v_fmac_f32_e32 v30, v24, v24
	v_mul_hi_u32 v32, v23, s27
	v_mul_f32_e32 v33, 0x4f800000, v30
	v_lshrrev_b32_e32 v32, 15, v32
	v_cmp_gt_f32_e32 vcc, s30, v30
	v_cndmask_b32_e32 v30, v30, v33, vcc
	v_mul_u32_u24_e32 v33, 0xadc8, v32
	v_add_u32_e32 v24, -1, v23
	v_sqrt_f32_e32 v34, v30
	v_sub_u32_e32 v23, v23, v33
	v_mul_u32_u24_e32 v32, 0xd47, v32
	v_mul_lo_u32 v23, v23, s28
	v_xor_b32_e32 v33, 0x7fffffff, v32
	v_sub_u32_e32 v35, 0, v32
	v_cmp_lt_u32_e64 s[22:23], v23, v32
	v_cndmask_b32_e64 v32, v35, v33, s[22:23]
	v_add_u32_e32 v23, v32, v23
	v_add_u32_e32 v32, -1, v34
	v_add_u32_e32 v33, 1, v34
	v_add_u32_e32 v35, -1, v23
	v_fma_f32 v36, -v32, v34, v30
	v_fma_f32 v37, -v33, v34, v30
	v_cvt_f32_u32_e32 v35, v35
	v_cmp_ge_f32_e64 s[22:23], 0, v36
	v_cvt_f32_u32_e32 v24, v24
	v_cndmask_b32_e64 v32, v34, v32, s[22:23]
	v_cmp_lt_f32_e64 s[22:23], 0, v37
	v_cndmask_b32_e64 v32, v32, v33, s[22:23]
	v_mul_f32_e32 v33, 0x37800000, v32
	v_cndmask_b32_e32 v32, v32, v33, vcc
	v_fma_f32 v33, v35, s29, 0
	v_cmp_class_f32_e32 vcc, v30, v10
	v_fma_f32 v24, v24, s29, 0
	v_cndmask_b32_e32 v30, v32, v30, vcc
	v_mul_f32_e32 v32, v33, v33
	v_add_f32_e32 v25, 1.0, v22
	v_cmp_nge_f32_e32 vcc, 1.0, v30
	v_fmac_f32_e32 v32, v24, v24
	v_cndmask_b32_e32 v22, v25, v22, vcc
	v_mul_f32_e32 v24, 0x4f800000, v32
	v_cmp_gt_f32_e32 vcc, s30, v32
	v_cndmask_b32_e32 v24, v32, v24, vcc
	v_sqrt_f32_e32 v30, v24
	s_add_i32 s26, s26, -2
	v_add_f32_e32 v25, 1.0, v22
	s_cmp_lg_u32 s26, 0
	v_add_u32_e32 v32, -1, v30
	v_add_u32_e32 v33, 1, v30
	v_fma_f32 v34, -v32, v30, v24
	v_fma_f32 v35, -v33, v30, v24
	v_cmp_ge_f32_e64 s[22:23], 0, v34
	v_cndmask_b32_e64 v30, v30, v32, s[22:23]
	v_cmp_lt_f32_e64 s[22:23], 0, v35
	v_cndmask_b32_e64 v30, v30, v33, s[22:23]
	v_mul_f32_e32 v32, 0x37800000, v30
	v_cndmask_b32_e32 v30, v30, v32, vcc
	v_cmp_class_f32_e32 vcc, v24, v10
	v_cndmask_b32_e32 v24, v30, v24, vcc
	v_cmp_nge_f32_e32 vcc, 1.0, v24
	v_cndmask_b32_e32 v22, v25, v22, vcc
	s_cbranch_scc1 .LBB29_909
; %bb.910:
	v_mul_f32_e32 v10, 4.0, v22
	s_mov_b32 s26, 0x459c4000
	v_div_scale_f32 v22, s[22:23], s26, s26, v10
	v_rcp_f32_e32 v23, v22
	v_fma_f32 v24, -v22, v23, 1.0
	v_fmac_f32_e32 v23, v24, v23
	v_div_scale_f32 v24, vcc, v10, s26, v10
	v_mul_f32_e32 v25, v24, v23
	v_fma_f32 v30, -v22, v25, v24
	v_fmac_f32_e32 v25, v30, v23
	v_fma_f32 v22, -v22, v25, v24
	v_div_fmas_f32 v22, v22, v23, v25
	v_div_fixup_f32 v10, v22, s26, v10
.LBB29_911:
	s_or_b64 exec, exec, s[24:25]
	v_add_u32_e32 v22, 0x480, v27
	v_cmp_lt_u32_e64 s[22:23], v22, v28
	s_and_saveexec_b64 s[26:27], s[22:23]
	s_cbranch_execz .LBB29_931
; %bb.912:
	v_add_u32_e32 v11, v29, v22
	s_movk_i32 s24, 0x1388
	v_mul_lo_u32 v22, v11, s24
	v_cmp_ne_u32_e32 vcc, 0, v22
	v_mov_b32_e32 v23, 1
	s_and_saveexec_b64 s[28:29], vcc
	s_cbranch_execz .LBB29_928
; %bb.913:
	v_mov_b32_e32 v24, 1
	v_mov_b32_e32 v23, 0
	s_mov_b64 s[34:35], 0xbc8f
	s_mov_b64 s[30:31], 0
	v_mov_b32_e32 v25, 0
	s_brev_b32 s38, -2
	s_mov_b32 s39, 0x7ffffffe
	v_mov_b32_e32 v11, 0xfffff800
	s_movk_i32 s44, 0x401
	s_branch .LBB29_915
.LBB29_914:                             ;   in Loop: Header=BB29_915 Depth=1
	s_or_b64 exec, exec, s[36:37]
	s_mul_i32 s24, s34, s35
	s_mul_hi_u32 s25, s34, s34
	s_add_i32 s25, s25, s24
	s_add_i32 s24, s25, s24
	s_add_u32 vcc_lo, 0x402, s44
	s_mul_i32 s25, s34, s34
	s_addc_u32 s34, 0, 0
	v_add_co_u32_e32 v30, vcc, vcc_lo, v11
	s_cmp_lg_u64 vcc, 0
	v_readfirstlane_b32 vcc_hi, v30
	s_addc_u32 s34, s34, 1
	s_mul_hi_u32 s35, vcc_hi, 0x80000001
	s_mul_i32 vcc_lo, s34, 0x80000001
	s_sub_i32 s35, s35, vcc_hi
	s_add_i32 s35, s35, vcc_lo
	s_mul_i32 s37, vcc_hi, 0x80000001
	s_mul_hi_u32 vcc_lo, vcc_hi, s35
	s_mul_i32 s36, vcc_hi, s35
	s_mul_hi_u32 vcc_hi, vcc_hi, s37
	s_add_u32 vcc_hi, vcc_hi, s36
	s_addc_u32 vcc_lo, 0, vcc_lo
	s_mul_hi_u32 s45, s34, s37
	s_mul_i32 s37, s34, s37
	s_add_u32 vcc_hi, vcc_hi, s37
	s_mul_hi_u32 s36, s34, s35
	s_addc_u32 vcc_lo, vcc_lo, s45
	s_addc_u32 vcc_hi, s36, 0
	s_mul_i32 s35, s34, s35
	s_add_u32 vcc_lo, vcc_lo, s35
	s_addc_u32 s35, 0, vcc_hi
	v_add_co_u32_e32 v30, vcc, vcc_lo, v30
	s_cmp_lg_u64 vcc, 0
	s_addc_u32 vcc_lo, s34, s35
	v_readfirstlane_b32 s35, v30
	s_mul_i32 s34, s25, vcc_lo
	s_mul_hi_u32 s36, s25, s35
	s_mul_hi_u32 vcc_hi, s25, vcc_lo
	s_add_u32 s34, s36, s34
	s_addc_u32 vcc_hi, 0, vcc_hi
	s_mul_hi_u32 s37, s24, s35
	s_mul_i32 s35, s24, s35
	s_add_u32 s34, s34, s35
	s_mul_hi_u32 s36, s24, vcc_lo
	s_addc_u32 vcc_hi, vcc_hi, s37
	s_addc_u32 s34, s36, 0
	s_mul_i32 vcc_lo, s24, vcc_lo
	s_add_u32 vcc_lo, vcc_hi, vcc_lo
	s_addc_u32 vcc_hi, 0, s34
	s_mul_hi_u32 s34, vcc_lo, 0x7fffffff
	s_mul_i32 vcc_lo, vcc_lo, 0x7fffffff
	s_mul_i32 vcc_hi, vcc_hi, 0x7fffffff
	v_mov_b32_e32 v30, vcc_lo
	s_add_i32 s34, s34, vcc_hi
	v_sub_co_u32_e32 v30, vcc, s25, v30
	s_cmp_lg_u64 vcc, 0
	s_subb_u32 s24, s24, s34
	v_subrev_co_u32_e32 v34, vcc, s38, v30
	s_cmp_lg_u64 vcc, 0
	s_subb_u32 s25, s24, 0
	v_subrev_co_u32_e32 v35, vcc, s38, v34
	s_cmp_lg_u64 vcc, 0
	s_subb_u32 vcc_lo, s25, 0
	v_readfirstlane_b32 vcc_hi, v34
	s_cmp_gt_u32 vcc_hi, 0x7ffffffe
	s_cselect_b32 s34, -1, 0
	s_cmp_eq_u32 s25, 0
	s_cselect_b32 s34, s34, -1
	s_cmp_lg_u32 s34, 0
	s_cselect_b32 s25, vcc_lo, s25
	v_readfirstlane_b32 vcc_lo, v35
	s_cselect_b32 vcc_lo, vcc_lo, vcc_hi
	v_readfirstlane_b32 vcc_hi, v30
	s_cmp_gt_u32 vcc_hi, 0x7ffffffe
	s_cselect_b32 s34, -1, 0
	s_cmp_eq_u32 s24, 0
	s_cselect_b32 s34, s34, -1
	s_cmp_lg_u32 s34, 0
	v_lshrrev_b64 v[32:33], 1, v[22:23]
	s_cselect_b32 s34, vcc_lo, vcc_hi
	v_cmp_gt_u64_e32 vcc, 2, v[22:23]
	s_cselect_b32 s35, s25, s24
	s_or_b64 s[30:31], vcc, s[30:31]
	v_pk_mov_b32 v[22:23], v[32:33], v[32:33] op_sel:[0,1]
	s_andn2_b64 exec, exec, s[30:31]
	s_cbranch_execz .LBB29_927
.LBB29_915:                             ; =>This Inner Loop Header: Depth=1
	v_and_b32_e32 v30, 1, v22
	v_cmp_eq_u32_e32 vcc, 1, v30
	s_and_saveexec_b64 s[36:37], vcc
	s_cbranch_execz .LBB29_914
; %bb.916:                              ;   in Loop: Header=BB29_915 Depth=1
	v_mul_lo_u32 v30, s35, v24
	v_mul_lo_u32 v32, s34, v25
	v_mad_u64_u32 v[24:25], s[24:25], s34, v24, 0
	s_add_u32 s24, 0x402, s44
	v_add3_u32 v25, v25, v32, v30
	s_addc_u32 s25, 0, 0
	v_add_co_u32_e32 v30, vcc, s24, v11
	s_cmp_lg_u64 vcc, 0
	v_readfirstlane_b32 vcc_lo, v30
	s_addc_u32 s24, s25, 1
	s_mul_hi_u32 vcc_hi, vcc_lo, 0x80000001
	s_mul_i32 s25, s24, 0x80000001
	s_sub_i32 vcc_hi, vcc_hi, vcc_lo
	s_add_i32 vcc_hi, vcc_hi, s25
	s_mul_i32 s46, vcc_lo, 0x80000001
	s_mul_hi_u32 s25, vcc_lo, vcc_hi
	s_mul_i32 s45, vcc_lo, vcc_hi
	s_mul_hi_u32 vcc_lo, vcc_lo, s46
	s_add_u32 vcc_lo, vcc_lo, s45
	s_addc_u32 s25, 0, s25
	s_mul_hi_u32 s47, s24, s46
	s_mul_i32 s46, s24, s46
	s_add_u32 vcc_lo, vcc_lo, s46
	s_mul_hi_u32 s45, s24, vcc_hi
	s_addc_u32 s25, s25, s47
	s_addc_u32 vcc_lo, s45, 0
	s_mul_i32 vcc_hi, s24, vcc_hi
	s_add_u32 s25, s25, vcc_hi
	s_addc_u32 s45, 0, vcc_lo
	v_add_co_u32_e32 v30, vcc, s25, v30
	s_cmp_lg_u64 vcc, 0
	s_addc_u32 s45, s24, s45
	v_mad_u64_u32 v[32:33], s[24:25], v24, s45, 0
	v_mul_hi_u32 v34, v24, v30
	v_add_co_u32_e32 v36, vcc, v34, v32
	v_addc_co_u32_e32 v37, vcc, 0, v33, vcc
	v_mad_u64_u32 v[34:35], s[24:25], v25, v30, 0
	v_add_co_u32_e32 v30, vcc, v36, v34
	v_mad_u64_u32 v[32:33], s[24:25], v25, s45, 0
	v_addc_co_u32_e32 v30, vcc, v37, v35, vcc
	v_addc_co_u32_e32 v33, vcc, 0, v33, vcc
	v_add_co_u32_e32 v30, vcc, v30, v32
	v_addc_co_u32_e32 v34, vcc, 0, v33, vcc
	v_mad_u64_u32 v[32:33], s[24:25], v30, s38, 0
	v_mov_b32_e32 v30, v33
	v_mad_u64_u32 v[34:35], s[24:25], v34, s38, v[30:31]
	v_sub_co_u32_e32 v24, vcc, v24, v32
	v_subb_co_u32_e32 v25, vcc, v25, v34, vcc
	v_subrev_co_u32_e32 v30, vcc, s38, v24
	v_subbrev_co_u32_e32 v32, vcc, 0, v25, vcc
	v_subrev_co_u32_e32 v33, vcc, s38, v30
	v_subbrev_co_u32_e32 v34, vcc, 0, v32, vcc
	v_cmp_lt_u32_e32 vcc, s39, v30
	v_cndmask_b32_e64 v35, 0, -1, vcc
	v_cmp_eq_u32_e32 vcc, 0, v32
	v_cndmask_b32_e32 v35, -1, v35, vcc
	v_cmp_ne_u32_e32 vcc, 0, v35
	v_cmp_lt_u32_e64 s[24:25], s39, v24
	v_cndmask_b32_e32 v32, v32, v34, vcc
	v_cndmask_b32_e64 v34, 0, -1, s[24:25]
	v_cmp_eq_u32_e64 s[24:25], 0, v25
	v_cndmask_b32_e64 v34, -1, v34, s[24:25]
	v_cmp_ne_u32_e64 s[24:25], 0, v34
	v_cndmask_b32_e32 v30, v30, v33, vcc
	v_cndmask_b32_e64 v25, v25, v32, s[24:25]
	v_cndmask_b32_e64 v24, v24, v30, s[24:25]
	s_branch .LBB29_914
.LBB29_917:
	s_or_b64 exec, exec, s[28:29]
	s_movk_i32 s22, 0x401
	s_add_u32 s22, 0x402, s22
	v_mov_b32_e32 v4, 0xfffff800
	s_addc_u32 s23, 0, 0
	v_add_co_u32_e32 v4, vcc, s22, v4
	s_cmp_lg_u64 vcc, 0
	v_readfirstlane_b32 s28, v4
	s_addc_u32 s22, s23, 1
	s_mul_hi_u32 s29, s28, 0x80000001
	s_mul_i32 s23, s22, 0x80000001
	s_sub_i32 s29, s29, s28
	s_add_i32 s29, s29, s23
	s_mul_i32 vcc_hi, s28, 0x80000001
	s_mul_hi_u32 s23, s28, s29
	s_mul_i32 vcc_lo, s28, s29
	s_mul_hi_u32 s28, s28, vcc_hi
	s_add_u32 s28, s28, vcc_lo
	s_addc_u32 s23, 0, s23
	s_mul_hi_u32 s30, s22, vcc_hi
	s_mul_i32 vcc_hi, s22, vcc_hi
	s_add_u32 s28, s28, vcc_hi
	s_mul_hi_u32 vcc_lo, s22, s29
	s_addc_u32 s23, s23, s30
	s_addc_u32 s28, vcc_lo, 0
	s_mul_i32 s29, s22, s29
	s_add_u32 s23, s23, s29
	s_addc_u32 s28, 0, s28
	v_add_co_u32_e32 v20, vcc, s23, v4
	s_cmp_lg_u64 vcc, 0
	s_addc_u32 s28, s22, s28
	v_mad_u64_u32 v[4:5], s[22:23], v6, s28, 0
	v_mul_hi_u32 v21, v6, v20
	v_add_co_u32_e32 v22, vcc, v21, v4
	v_addc_co_u32_e32 v23, vcc, 0, v5, vcc
	v_mad_u64_u32 v[20:21], s[22:23], v7, v20, 0
	v_add_co_u32_e32 v20, vcc, v22, v20
	v_mad_u64_u32 v[4:5], s[22:23], v7, s28, 0
	v_addc_co_u32_e32 v20, vcc, v23, v21, vcc
	v_addc_co_u32_e32 v5, vcc, 0, v5, vcc
	v_add_co_u32_e32 v4, vcc, v20, v4
	s_brev_b32 s28, -2
	v_addc_co_u32_e32 v21, vcc, 0, v5, vcc
	v_mad_u64_u32 v[4:5], s[22:23], v4, s28, 0
	v_mov_b32_e32 v20, v5
	v_mad_u64_u32 v[20:21], s[22:23], v21, s28, v[20:21]
	v_sub_co_u32_e32 v4, vcc, v6, v4
	v_subb_co_u32_e32 v5, vcc, v7, v20, vcc
	v_subrev_co_u32_e32 v6, vcc, 0x7fffffff, v4
	v_subbrev_co_u32_e32 v7, vcc, 0, v5, vcc
	s_mov_b32 s22, 0x7ffffffe
	v_cmp_lt_u32_e32 vcc, s22, v6
	v_cndmask_b32_e64 v20, 0, -1, vcc
	v_cmp_eq_u32_e32 vcc, 0, v7
	v_cndmask_b32_e32 v7, -1, v20, vcc
	v_add_u32_e32 v20, 0x80000001, v6
	v_cmp_ne_u32_e32 vcc, 0, v7
	v_cndmask_b32_e32 v6, v6, v20, vcc
	v_cmp_lt_u32_e32 vcc, s22, v4
	v_cndmask_b32_e64 v7, 0, -1, vcc
	v_cmp_eq_u32_e32 vcc, 0, v5
	v_cndmask_b32_e32 v5, -1, v7, vcc
	v_cmp_ne_u32_e32 vcc, 0, v5
	v_cndmask_b32_e32 v6, v4, v6, vcc
.LBB29_918:
	s_or_b64 exec, exec, s[26:27]
	s_movk_i32 s26, 0x1388
	v_mov_b32_e32 v5, 0
	s_mov_b32 s27, 0xbc8f1391
	s_mov_b32 s28, 0xbc8f
	s_brev_b32 s29, 12
	s_mov_b32 s30, 0xf800000
	v_mov_b32_e32 v4, 0x260
.LBB29_919:                             ; =>This Inner Loop Header: Depth=1
	v_mul_hi_u32 v7, v6, s27
	v_lshrrev_b32_e32 v7, 15, v7
	v_mul_u32_u24_e32 v21, 0xadc8, v7
	v_sub_u32_e32 v6, v6, v21
	v_mul_u32_u24_e32 v7, 0xd47, v7
	v_mul_lo_u32 v6, v6, s28
	v_xor_b32_e32 v21, 0x7fffffff, v7
	v_sub_u32_e32 v22, 0, v7
	v_cmp_lt_u32_e32 vcc, v6, v7
	v_cndmask_b32_e32 v7, v22, v21, vcc
	v_add_u32_e32 v6, v7, v6
	v_mul_hi_u32 v21, v6, s27
	v_lshrrev_b32_e32 v21, 15, v21
	v_mul_u32_u24_e32 v22, 0xadc8, v21
	v_add_u32_e32 v7, -1, v6
	v_sub_u32_e32 v6, v6, v22
	v_mul_u32_u24_e32 v21, 0xd47, v21
	v_mul_lo_u32 v6, v6, s28
	v_xor_b32_e32 v22, 0x7fffffff, v21
	v_sub_u32_e32 v23, 0, v21
	v_cmp_lt_u32_e32 vcc, v6, v21
	v_cndmask_b32_e32 v21, v23, v22, vcc
	v_add_u32_e32 v6, v21, v6
	v_mul_hi_u32 v22, v6, s27
	v_add_u32_e32 v21, -1, v6
	v_lshrrev_b32_e32 v22, 15, v22
	v_cvt_f32_u32_e32 v21, v21
	v_mul_u32_u24_e32 v23, 0xadc8, v22
	v_cvt_f32_u32_e32 v7, v7
	v_sub_u32_e32 v6, v6, v23
	v_mul_u32_u24_e32 v22, 0xd47, v22
	v_mul_lo_u32 v6, v6, s28
	v_xor_b32_e32 v23, 0x7fffffff, v22
	v_sub_u32_e32 v24, 0, v22
	v_cmp_lt_u32_e32 vcc, v6, v22
	v_fma_f32 v21, v21, s29, 0
	v_cndmask_b32_e32 v22, v24, v23, vcc
	v_fma_f32 v7, v7, s29, 0
	v_mul_f32_e32 v21, v21, v21
	v_add_u32_e32 v6, v22, v6
	v_fmac_f32_e32 v21, v7, v7
	v_mul_hi_u32 v22, v6, s27
	v_mul_f32_e32 v23, 0x4f800000, v21
	v_lshrrev_b32_e32 v22, 15, v22
	v_cmp_gt_f32_e32 vcc, s30, v21
	v_cndmask_b32_e32 v21, v21, v23, vcc
	v_mul_u32_u24_e32 v23, 0xadc8, v22
	v_add_u32_e32 v7, -1, v6
	v_sqrt_f32_e32 v24, v21
	v_sub_u32_e32 v6, v6, v23
	v_mul_u32_u24_e32 v22, 0xd47, v22
	v_mul_lo_u32 v6, v6, s28
	v_xor_b32_e32 v23, 0x7fffffff, v22
	v_sub_u32_e32 v25, 0, v22
	v_cmp_lt_u32_e64 s[22:23], v6, v22
	v_cndmask_b32_e64 v22, v25, v23, s[22:23]
	v_add_u32_e32 v6, v22, v6
	v_add_u32_e32 v22, -1, v24
	v_add_u32_e32 v23, 1, v24
	v_add_u32_e32 v25, -1, v6
	v_fma_f32 v26, -v22, v24, v21
	v_fma_f32 v27, -v23, v24, v21
	v_cvt_f32_u32_e32 v25, v25
	v_cmp_ge_f32_e64 s[22:23], 0, v26
	v_cvt_f32_u32_e32 v7, v7
	v_cndmask_b32_e64 v22, v24, v22, s[22:23]
	v_cmp_lt_f32_e64 s[22:23], 0, v27
	v_cndmask_b32_e64 v22, v22, v23, s[22:23]
	v_mul_f32_e32 v23, 0x37800000, v22
	v_cndmask_b32_e32 v22, v22, v23, vcc
	v_fma_f32 v23, v25, s29, 0
	v_cmp_class_f32_e32 vcc, v21, v4
	v_fma_f32 v7, v7, s29, 0
	v_cndmask_b32_e32 v21, v22, v21, vcc
	v_mul_f32_e32 v22, v23, v23
	v_add_f32_e32 v20, 1.0, v5
	v_cmp_nge_f32_e32 vcc, 1.0, v21
	v_fmac_f32_e32 v22, v7, v7
	v_cndmask_b32_e32 v5, v20, v5, vcc
	v_mul_f32_e32 v7, 0x4f800000, v22
	v_cmp_gt_f32_e32 vcc, s30, v22
	v_cndmask_b32_e32 v7, v22, v7, vcc
	v_sqrt_f32_e32 v21, v7
	s_add_i32 s26, s26, -2
	v_add_f32_e32 v20, 1.0, v5
	s_cmp_lg_u32 s26, 0
	v_add_u32_e32 v22, -1, v21
	v_add_u32_e32 v23, 1, v21
	v_fma_f32 v24, -v22, v21, v7
	v_fma_f32 v25, -v23, v21, v7
	v_cmp_ge_f32_e64 s[22:23], 0, v24
	v_cndmask_b32_e64 v21, v21, v22, s[22:23]
	v_cmp_lt_f32_e64 s[22:23], 0, v25
	v_cndmask_b32_e64 v21, v21, v23, s[22:23]
	v_mul_f32_e32 v22, 0x37800000, v21
	v_cndmask_b32_e32 v21, v21, v22, vcc
	v_cmp_class_f32_e32 vcc, v7, v4
	v_cndmask_b32_e32 v7, v21, v7, vcc
	v_cmp_nge_f32_e32 vcc, 1.0, v7
	v_cndmask_b32_e32 v5, v20, v5, vcc
	s_cbranch_scc1 .LBB29_919
; %bb.920:
	v_mul_f32_e32 v4, 4.0, v5
	s_mov_b32 s26, 0x459c4000
	v_div_scale_f32 v5, s[22:23], s26, s26, v4
	v_rcp_f32_e32 v6, v5
	v_fma_f32 v7, -v5, v6, 1.0
	v_fmac_f32_e32 v6, v7, v6
	v_div_scale_f32 v7, vcc, v4, s26, v4
	v_mul_f32_e32 v20, v7, v6
	v_fma_f32 v21, -v5, v20, v7
	v_fmac_f32_e32 v20, v21, v6
	v_fma_f32 v5, -v5, v20, v7
	v_div_fmas_f32 v5, v5, v6, v20
	v_div_fixup_f32 v20, v5, s26, v4
.LBB29_921:
	s_or_b64 exec, exec, s[24:25]
	v_add_u32_e32 v4, 0x480, v11
	v_cmp_lt_u32_e64 s[22:23], v4, v8
                                        ; implicit-def: $vgpr21
	s_and_saveexec_b64 s[26:27], s[22:23]
	s_cbranch_execz .LBB29_941
; %bb.922:
	v_add_u32_e32 v4, v9, v4
	s_movk_i32 s24, 0x1388
	v_mul_lo_u32 v4, v4, s24
	v_cmp_ne_u32_e32 vcc, 0, v4
	v_mov_b32_e32 v6, 1
	s_and_saveexec_b64 s[28:29], vcc
	s_cbranch_execz .LBB29_938
; %bb.923:
	v_mov_b32_e32 v6, 1
	v_mov_b32_e32 v5, 0
	s_mov_b64 s[34:35], 0xbc8f
	s_mov_b64 s[30:31], 0
	v_mov_b32_e32 v7, 0
	s_brev_b32 s38, -2
	s_mov_b32 s39, 0x7ffffffe
	v_mov_b32_e32 v21, 0xfffff800
	s_movk_i32 s40, 0x401
	s_branch .LBB29_925
.LBB29_924:                             ;   in Loop: Header=BB29_925 Depth=1
	s_or_b64 exec, exec, s[36:37]
	s_mul_i32 s24, s34, s35
	s_mul_hi_u32 s25, s34, s34
	s_add_i32 s25, s25, s24
	s_add_i32 s24, s25, s24
	s_add_u32 vcc_lo, 0x402, s40
	s_mul_i32 s25, s34, s34
	s_addc_u32 s34, 0, 0
	v_add_co_u32_e32 v24, vcc, vcc_lo, v21
	s_cmp_lg_u64 vcc, 0
	v_readfirstlane_b32 vcc_hi, v24
	s_addc_u32 s34, s34, 1
	s_mul_hi_u32 s35, vcc_hi, 0x80000001
	s_mul_i32 vcc_lo, s34, 0x80000001
	s_sub_i32 s35, s35, vcc_hi
	s_add_i32 s35, s35, vcc_lo
	s_mul_i32 s37, vcc_hi, 0x80000001
	s_mul_hi_u32 vcc_lo, vcc_hi, s35
	s_mul_i32 s36, vcc_hi, s35
	s_mul_hi_u32 vcc_hi, vcc_hi, s37
	s_add_u32 vcc_hi, vcc_hi, s36
	s_addc_u32 vcc_lo, 0, vcc_lo
	s_mul_hi_u32 s41, s34, s37
	s_mul_i32 s37, s34, s37
	s_add_u32 vcc_hi, vcc_hi, s37
	s_mul_hi_u32 s36, s34, s35
	s_addc_u32 vcc_lo, vcc_lo, s41
	s_addc_u32 vcc_hi, s36, 0
	s_mul_i32 s35, s34, s35
	s_add_u32 vcc_lo, vcc_lo, s35
	s_addc_u32 s35, 0, vcc_hi
	v_add_co_u32_e32 v24, vcc, vcc_lo, v24
	s_cmp_lg_u64 vcc, 0
	s_addc_u32 vcc_lo, s34, s35
	v_readfirstlane_b32 s35, v24
	s_mul_i32 s34, s25, vcc_lo
	s_mul_hi_u32 s36, s25, s35
	s_mul_hi_u32 vcc_hi, s25, vcc_lo
	s_add_u32 s34, s36, s34
	s_addc_u32 vcc_hi, 0, vcc_hi
	s_mul_hi_u32 s37, s24, s35
	s_mul_i32 s35, s24, s35
	s_add_u32 s34, s34, s35
	s_mul_hi_u32 s36, s24, vcc_lo
	s_addc_u32 vcc_hi, vcc_hi, s37
	s_addc_u32 s34, s36, 0
	s_mul_i32 vcc_lo, s24, vcc_lo
	s_add_u32 vcc_lo, vcc_hi, vcc_lo
	s_addc_u32 vcc_hi, 0, s34
	s_mul_hi_u32 s34, vcc_lo, 0x7fffffff
	s_mul_i32 vcc_lo, vcc_lo, 0x7fffffff
	s_mul_i32 vcc_hi, vcc_hi, 0x7fffffff
	v_mov_b32_e32 v24, vcc_lo
	s_add_i32 s34, s34, vcc_hi
	v_sub_co_u32_e32 v24, vcc, s25, v24
	s_cmp_lg_u64 vcc, 0
	s_subb_u32 s24, s24, s34
	v_subrev_co_u32_e32 v25, vcc, s38, v24
	s_cmp_lg_u64 vcc, 0
	s_subb_u32 s25, s24, 0
	v_subrev_co_u32_e32 v26, vcc, s38, v25
	s_cmp_lg_u64 vcc, 0
	s_subb_u32 vcc_lo, s25, 0
	v_readfirstlane_b32 vcc_hi, v25
	s_cmp_gt_u32 vcc_hi, 0x7ffffffe
	s_cselect_b32 s34, -1, 0
	s_cmp_eq_u32 s25, 0
	s_cselect_b32 s34, s34, -1
	s_cmp_lg_u32 s34, 0
	s_cselect_b32 s25, vcc_lo, s25
	v_readfirstlane_b32 vcc_lo, v26
	s_cselect_b32 vcc_lo, vcc_lo, vcc_hi
	v_readfirstlane_b32 vcc_hi, v24
	s_cmp_gt_u32 vcc_hi, 0x7ffffffe
	s_cselect_b32 s34, -1, 0
	s_cmp_eq_u32 s24, 0
	s_cselect_b32 s34, s34, -1
	s_cmp_lg_u32 s34, 0
	v_lshrrev_b64 v[22:23], 1, v[4:5]
	s_cselect_b32 s34, vcc_lo, vcc_hi
	v_cmp_gt_u64_e32 vcc, 2, v[4:5]
	s_cselect_b32 s35, s25, s24
	s_or_b64 s[30:31], vcc, s[30:31]
	v_pk_mov_b32 v[4:5], v[22:23], v[22:23] op_sel:[0,1]
	s_andn2_b64 exec, exec, s[30:31]
	s_cbranch_execz .LBB29_937
.LBB29_925:                             ; =>This Inner Loop Header: Depth=1
	v_and_b32_e32 v22, 1, v4
	v_cmp_eq_u32_e32 vcc, 1, v22
	s_and_saveexec_b64 s[36:37], vcc
	s_cbranch_execz .LBB29_924
; %bb.926:                              ;   in Loop: Header=BB29_925 Depth=1
	v_mul_lo_u32 v22, s35, v6
	v_mul_lo_u32 v23, s34, v7
	v_mad_u64_u32 v[6:7], s[24:25], s34, v6, 0
	s_add_u32 s24, 0x402, s40
	v_add3_u32 v7, v7, v23, v22
	s_addc_u32 s25, 0, 0
	v_add_co_u32_e32 v22, vcc, s24, v21
	s_cmp_lg_u64 vcc, 0
	v_readfirstlane_b32 vcc_lo, v22
	s_addc_u32 s24, s25, 1
	s_mul_hi_u32 vcc_hi, vcc_lo, 0x80000001
	s_mul_i32 s25, s24, 0x80000001
	s_sub_i32 vcc_hi, vcc_hi, vcc_lo
	s_add_i32 vcc_hi, vcc_hi, s25
	s_mul_i32 s42, vcc_lo, 0x80000001
	s_mul_hi_u32 s25, vcc_lo, vcc_hi
	s_mul_i32 s41, vcc_lo, vcc_hi
	s_mul_hi_u32 vcc_lo, vcc_lo, s42
	s_add_u32 vcc_lo, vcc_lo, s41
	s_addc_u32 s25, 0, s25
	s_mul_hi_u32 s43, s24, s42
	s_mul_i32 s42, s24, s42
	s_add_u32 vcc_lo, vcc_lo, s42
	s_mul_hi_u32 s41, s24, vcc_hi
	s_addc_u32 s25, s25, s43
	s_addc_u32 vcc_lo, s41, 0
	s_mul_i32 vcc_hi, s24, vcc_hi
	s_add_u32 s25, s25, vcc_hi
	s_addc_u32 s41, 0, vcc_lo
	v_add_co_u32_e32 v24, vcc, s25, v22
	s_cmp_lg_u64 vcc, 0
	s_addc_u32 s41, s24, s41
	v_mad_u64_u32 v[22:23], s[24:25], v6, s41, 0
	v_mul_hi_u32 v25, v6, v24
	v_add_co_u32_e32 v26, vcc, v25, v22
	v_addc_co_u32_e32 v27, vcc, 0, v23, vcc
	v_mad_u64_u32 v[24:25], s[24:25], v7, v24, 0
	v_add_co_u32_e32 v24, vcc, v26, v24
	v_mad_u64_u32 v[22:23], s[24:25], v7, s41, 0
	v_addc_co_u32_e32 v24, vcc, v27, v25, vcc
	v_addc_co_u32_e32 v23, vcc, 0, v23, vcc
	v_add_co_u32_e32 v22, vcc, v24, v22
	v_addc_co_u32_e32 v25, vcc, 0, v23, vcc
	v_mad_u64_u32 v[22:23], s[24:25], v22, s38, 0
	v_mov_b32_e32 v24, v23
	v_mad_u64_u32 v[24:25], s[24:25], v25, s38, v[24:25]
	v_sub_co_u32_e32 v6, vcc, v6, v22
	v_subb_co_u32_e32 v7, vcc, v7, v24, vcc
	v_subrev_co_u32_e32 v22, vcc, s38, v6
	v_subbrev_co_u32_e32 v23, vcc, 0, v7, vcc
	v_subrev_co_u32_e32 v24, vcc, s38, v22
	v_subbrev_co_u32_e32 v25, vcc, 0, v23, vcc
	v_cmp_lt_u32_e32 vcc, s39, v22
	v_cndmask_b32_e64 v26, 0, -1, vcc
	v_cmp_eq_u32_e32 vcc, 0, v23
	v_cndmask_b32_e32 v26, -1, v26, vcc
	v_cmp_ne_u32_e32 vcc, 0, v26
	v_cmp_lt_u32_e64 s[24:25], s39, v6
	v_cndmask_b32_e32 v23, v23, v25, vcc
	v_cndmask_b32_e64 v25, 0, -1, s[24:25]
	v_cmp_eq_u32_e64 s[24:25], 0, v7
	v_cndmask_b32_e64 v25, -1, v25, s[24:25]
	v_cmp_ne_u32_e64 s[24:25], 0, v25
	v_cndmask_b32_e32 v22, v22, v24, vcc
	v_cndmask_b32_e64 v7, v7, v23, s[24:25]
	v_cndmask_b32_e64 v6, v6, v22, s[24:25]
	s_branch .LBB29_924
.LBB29_927:
	s_or_b64 exec, exec, s[30:31]
	s_movk_i32 s24, 0x401
	s_add_u32 s24, 0x402, s24
	v_mov_b32_e32 v11, 0xfffff800
	s_addc_u32 s25, 0, 0
	v_add_co_u32_e32 v11, vcc, s24, v11
	s_cmp_lg_u64 vcc, 0
	v_readfirstlane_b32 vcc_lo, v11
	s_addc_u32 s24, s25, 1
	s_mul_hi_u32 vcc_hi, vcc_lo, 0x80000001
	s_mul_i32 s25, s24, 0x80000001
	s_sub_i32 vcc_hi, vcc_hi, vcc_lo
	s_add_i32 vcc_hi, vcc_hi, s25
	s_mul_i32 s31, vcc_lo, 0x80000001
	s_mul_hi_u32 s25, vcc_lo, vcc_hi
	s_mul_i32 s30, vcc_lo, vcc_hi
	s_mul_hi_u32 vcc_lo, vcc_lo, s31
	s_add_u32 vcc_lo, vcc_lo, s30
	s_addc_u32 s25, 0, s25
	s_mul_hi_u32 s34, s24, s31
	s_mul_i32 s31, s24, s31
	s_add_u32 vcc_lo, vcc_lo, s31
	s_mul_hi_u32 s30, s24, vcc_hi
	s_addc_u32 s25, s25, s34
	s_addc_u32 vcc_lo, s30, 0
	s_mul_i32 vcc_hi, s24, vcc_hi
	s_add_u32 s25, s25, vcc_hi
	s_addc_u32 s30, 0, vcc_lo
	v_add_co_u32_e32 v11, vcc, s25, v11
	s_cmp_lg_u64 vcc, 0
	s_addc_u32 s30, s24, s30
	v_mad_u64_u32 v[22:23], s[24:25], v24, s30, 0
	v_mul_hi_u32 v30, v24, v11
	v_add_co_u32_e32 v30, vcc, v30, v22
	v_addc_co_u32_e32 v34, vcc, 0, v23, vcc
	v_mad_u64_u32 v[32:33], s[24:25], v25, v11, 0
	v_add_co_u32_e32 v11, vcc, v30, v32
	v_mad_u64_u32 v[22:23], s[24:25], v25, s30, 0
	v_addc_co_u32_e32 v11, vcc, v34, v33, vcc
	v_addc_co_u32_e32 v23, vcc, 0, v23, vcc
	v_add_co_u32_e32 v11, vcc, v11, v22
	v_addc_co_u32_e32 v32, vcc, 0, v23, vcc
	s_brev_b32 vcc_lo, -2
	v_mad_u64_u32 v[22:23], s[24:25], v11, vcc_lo, 0
	v_mov_b32_e32 v30, v23
	v_mad_u64_u32 v[32:33], s[24:25], v32, vcc_lo, v[30:31]
	v_sub_co_u32_e32 v11, vcc, v24, v22
	v_subb_co_u32_e32 v22, vcc, v25, v32, vcc
	v_subrev_co_u32_e32 v23, vcc, 0x7fffffff, v11
	v_subbrev_co_u32_e32 v24, vcc, 0, v22, vcc
	s_mov_b32 s24, 0x7ffffffe
	v_cmp_lt_u32_e32 vcc, s24, v23
	v_cndmask_b32_e64 v25, 0, -1, vcc
	v_cmp_eq_u32_e32 vcc, 0, v24
	v_cndmask_b32_e32 v24, -1, v25, vcc
	v_add_u32_e32 v25, 0x80000001, v23
	v_cmp_ne_u32_e32 vcc, 0, v24
	v_cndmask_b32_e32 v23, v23, v25, vcc
	v_cmp_lt_u32_e32 vcc, s24, v11
	v_cndmask_b32_e64 v24, 0, -1, vcc
	v_cmp_eq_u32_e32 vcc, 0, v22
	v_cndmask_b32_e32 v22, -1, v24, vcc
	v_cmp_ne_u32_e32 vcc, 0, v22
	v_cndmask_b32_e32 v23, v11, v23, vcc
.LBB29_928:
	s_or_b64 exec, exec, s[28:29]
	s_movk_i32 s28, 0x1388
	v_mov_b32_e32 v22, 0
	s_mov_b32 s29, 0xbc8f1391
	s_mov_b32 s30, 0xbc8f
	s_brev_b32 s31, 12
	s_mov_b32 s34, 0xf800000
	v_mov_b32_e32 v11, 0x260
.LBB29_929:                             ; =>This Inner Loop Header: Depth=1
	v_mul_hi_u32 v24, v23, s29
	v_lshrrev_b32_e32 v24, 15, v24
	v_mul_u32_u24_e32 v30, 0xadc8, v24
	v_sub_u32_e32 v23, v23, v30
	v_mul_u32_u24_e32 v24, 0xd47, v24
	v_mul_lo_u32 v23, v23, s30
	v_xor_b32_e32 v30, 0x7fffffff, v24
	v_sub_u32_e32 v32, 0, v24
	v_cmp_lt_u32_e32 vcc, v23, v24
	v_cndmask_b32_e32 v24, v32, v30, vcc
	v_add_u32_e32 v23, v24, v23
	v_mul_hi_u32 v30, v23, s29
	v_lshrrev_b32_e32 v30, 15, v30
	v_mul_u32_u24_e32 v32, 0xadc8, v30
	v_add_u32_e32 v24, -1, v23
	v_sub_u32_e32 v23, v23, v32
	v_mul_u32_u24_e32 v30, 0xd47, v30
	v_mul_lo_u32 v23, v23, s30
	v_xor_b32_e32 v32, 0x7fffffff, v30
	v_sub_u32_e32 v33, 0, v30
	v_cmp_lt_u32_e32 vcc, v23, v30
	v_cndmask_b32_e32 v30, v33, v32, vcc
	v_add_u32_e32 v23, v30, v23
	v_mul_hi_u32 v32, v23, s29
	v_add_u32_e32 v30, -1, v23
	v_lshrrev_b32_e32 v32, 15, v32
	v_cvt_f32_u32_e32 v30, v30
	v_mul_u32_u24_e32 v33, 0xadc8, v32
	v_cvt_f32_u32_e32 v24, v24
	v_sub_u32_e32 v23, v23, v33
	v_mul_u32_u24_e32 v32, 0xd47, v32
	v_mul_lo_u32 v23, v23, s30
	v_xor_b32_e32 v33, 0x7fffffff, v32
	v_sub_u32_e32 v34, 0, v32
	v_cmp_lt_u32_e32 vcc, v23, v32
	v_fma_f32 v30, v30, s31, 0
	v_cndmask_b32_e32 v32, v34, v33, vcc
	v_fma_f32 v24, v24, s31, 0
	v_mul_f32_e32 v30, v30, v30
	v_add_u32_e32 v23, v32, v23
	v_fmac_f32_e32 v30, v24, v24
	v_mul_hi_u32 v32, v23, s29
	v_mul_f32_e32 v33, 0x4f800000, v30
	v_lshrrev_b32_e32 v32, 15, v32
	v_cmp_gt_f32_e32 vcc, s34, v30
	v_cndmask_b32_e32 v30, v30, v33, vcc
	v_mul_u32_u24_e32 v33, 0xadc8, v32
	v_add_u32_e32 v24, -1, v23
	v_sqrt_f32_e32 v34, v30
	v_sub_u32_e32 v23, v23, v33
	v_mul_u32_u24_e32 v32, 0xd47, v32
	v_mul_lo_u32 v23, v23, s30
	v_xor_b32_e32 v33, 0x7fffffff, v32
	v_sub_u32_e32 v35, 0, v32
	v_cmp_lt_u32_e64 s[24:25], v23, v32
	v_cndmask_b32_e64 v32, v35, v33, s[24:25]
	v_add_u32_e32 v23, v32, v23
	v_add_u32_e32 v32, -1, v34
	v_add_u32_e32 v33, 1, v34
	v_add_u32_e32 v35, -1, v23
	v_fma_f32 v36, -v32, v34, v30
	v_fma_f32 v37, -v33, v34, v30
	v_cvt_f32_u32_e32 v35, v35
	v_cmp_ge_f32_e64 s[24:25], 0, v36
	v_cvt_f32_u32_e32 v24, v24
	v_cndmask_b32_e64 v32, v34, v32, s[24:25]
	v_cmp_lt_f32_e64 s[24:25], 0, v37
	v_cndmask_b32_e64 v32, v32, v33, s[24:25]
	v_mul_f32_e32 v33, 0x37800000, v32
	v_cndmask_b32_e32 v32, v32, v33, vcc
	v_fma_f32 v33, v35, s31, 0
	v_cmp_class_f32_e32 vcc, v30, v11
	v_fma_f32 v24, v24, s31, 0
	v_cndmask_b32_e32 v30, v32, v30, vcc
	v_mul_f32_e32 v32, v33, v33
	v_add_f32_e32 v25, 1.0, v22
	v_cmp_nge_f32_e32 vcc, 1.0, v30
	v_fmac_f32_e32 v32, v24, v24
	v_cndmask_b32_e32 v22, v25, v22, vcc
	v_mul_f32_e32 v24, 0x4f800000, v32
	v_cmp_gt_f32_e32 vcc, s34, v32
	v_cndmask_b32_e32 v24, v32, v24, vcc
	v_sqrt_f32_e32 v30, v24
	s_add_i32 s28, s28, -2
	v_add_f32_e32 v25, 1.0, v22
	s_cmp_lg_u32 s28, 0
	v_add_u32_e32 v32, -1, v30
	v_add_u32_e32 v33, 1, v30
	v_fma_f32 v34, -v32, v30, v24
	v_fma_f32 v35, -v33, v30, v24
	v_cmp_ge_f32_e64 s[24:25], 0, v34
	v_cndmask_b32_e64 v30, v30, v32, s[24:25]
	v_cmp_lt_f32_e64 s[24:25], 0, v35
	v_cndmask_b32_e64 v30, v30, v33, s[24:25]
	v_mul_f32_e32 v32, 0x37800000, v30
	v_cndmask_b32_e32 v30, v30, v32, vcc
	v_cmp_class_f32_e32 vcc, v24, v11
	v_cndmask_b32_e32 v24, v30, v24, vcc
	v_cmp_nge_f32_e32 vcc, 1.0, v24
	v_cndmask_b32_e32 v22, v25, v22, vcc
	s_cbranch_scc1 .LBB29_929
; %bb.930:
	v_mul_f32_e32 v11, 4.0, v22
	s_mov_b32 s28, 0x459c4000
	v_div_scale_f32 v22, s[24:25], s28, s28, v11
	v_rcp_f32_e32 v23, v22
	v_fma_f32 v24, -v22, v23, 1.0
	v_fmac_f32_e32 v23, v24, v23
	v_div_scale_f32 v24, vcc, v11, s28, v11
	v_mul_f32_e32 v25, v24, v23
	v_fma_f32 v30, -v22, v25, v24
	v_fmac_f32_e32 v25, v30, v23
	v_fma_f32 v22, -v22, v25, v24
	v_div_fmas_f32 v22, v22, v23, v25
	v_div_fixup_f32 v11, v22, s28, v11
.LBB29_931:
	s_or_b64 exec, exec, s[26:27]
	v_add_u32_e32 v22, 0x500, v27
	v_cmp_lt_u32_e64 s[24:25], v22, v28
	s_and_saveexec_b64 s[28:29], s[24:25]
	s_cbranch_execz .LBB29_951
; %bb.932:
	v_add_u32_e32 v12, v29, v22
	s_movk_i32 s26, 0x1388
	v_mul_lo_u32 v22, v12, s26
	v_cmp_ne_u32_e32 vcc, 0, v22
	v_mov_b32_e32 v23, 1
	s_and_saveexec_b64 s[30:31], vcc
	s_cbranch_execz .LBB29_948
; %bb.933:
	v_mov_b32_e32 v24, 1
	v_mov_b32_e32 v23, 0
	s_mov_b64 s[36:37], 0xbc8f
	s_mov_b64 s[34:35], 0
	v_mov_b32_e32 v25, 0
	s_brev_b32 s44, -2
	s_mov_b32 s45, 0x7ffffffe
	v_mov_b32_e32 v12, 0xfffff800
	s_movk_i32 s46, 0x401
	s_branch .LBB29_935
.LBB29_934:                             ;   in Loop: Header=BB29_935 Depth=1
	s_or_b64 exec, exec, s[38:39]
	s_mul_i32 s26, s36, s37
	s_mul_hi_u32 s27, s36, s36
	s_add_i32 s27, s27, s26
	s_add_i32 s26, s27, s26
	s_add_u32 vcc_lo, 0x402, s46
	s_mul_i32 s27, s36, s36
	s_addc_u32 s36, 0, 0
	v_add_co_u32_e32 v30, vcc, vcc_lo, v12
	s_cmp_lg_u64 vcc, 0
	v_readfirstlane_b32 vcc_hi, v30
	s_addc_u32 s36, s36, 1
	s_mul_hi_u32 s37, vcc_hi, 0x80000001
	s_mul_i32 vcc_lo, s36, 0x80000001
	s_sub_i32 s37, s37, vcc_hi
	s_add_i32 s37, s37, vcc_lo
	s_mul_i32 s39, vcc_hi, 0x80000001
	s_mul_hi_u32 vcc_lo, vcc_hi, s37
	s_mul_i32 s38, vcc_hi, s37
	s_mul_hi_u32 vcc_hi, vcc_hi, s39
	s_add_u32 vcc_hi, vcc_hi, s38
	s_addc_u32 vcc_lo, 0, vcc_lo
	s_mul_hi_u32 s47, s36, s39
	s_mul_i32 s39, s36, s39
	s_add_u32 vcc_hi, vcc_hi, s39
	s_mul_hi_u32 s38, s36, s37
	s_addc_u32 vcc_lo, vcc_lo, s47
	s_addc_u32 vcc_hi, s38, 0
	s_mul_i32 s37, s36, s37
	s_add_u32 vcc_lo, vcc_lo, s37
	s_addc_u32 s37, 0, vcc_hi
	v_add_co_u32_e32 v30, vcc, vcc_lo, v30
	s_cmp_lg_u64 vcc, 0
	s_addc_u32 vcc_lo, s36, s37
	v_readfirstlane_b32 s37, v30
	s_mul_i32 s36, s27, vcc_lo
	s_mul_hi_u32 s38, s27, s37
	s_mul_hi_u32 vcc_hi, s27, vcc_lo
	s_add_u32 s36, s38, s36
	s_addc_u32 vcc_hi, 0, vcc_hi
	s_mul_hi_u32 s39, s26, s37
	s_mul_i32 s37, s26, s37
	s_add_u32 s36, s36, s37
	s_mul_hi_u32 s38, s26, vcc_lo
	s_addc_u32 vcc_hi, vcc_hi, s39
	s_addc_u32 s36, s38, 0
	s_mul_i32 vcc_lo, s26, vcc_lo
	s_add_u32 vcc_lo, vcc_hi, vcc_lo
	s_addc_u32 vcc_hi, 0, s36
	s_mul_hi_u32 s36, vcc_lo, 0x7fffffff
	s_mul_i32 vcc_lo, vcc_lo, 0x7fffffff
	s_mul_i32 vcc_hi, vcc_hi, 0x7fffffff
	v_mov_b32_e32 v30, vcc_lo
	s_add_i32 s36, s36, vcc_hi
	v_sub_co_u32_e32 v30, vcc, s27, v30
	s_cmp_lg_u64 vcc, 0
	s_subb_u32 s26, s26, s36
	v_subrev_co_u32_e32 v34, vcc, s44, v30
	s_cmp_lg_u64 vcc, 0
	s_subb_u32 s27, s26, 0
	v_subrev_co_u32_e32 v35, vcc, s44, v34
	s_cmp_lg_u64 vcc, 0
	s_subb_u32 vcc_lo, s27, 0
	v_readfirstlane_b32 vcc_hi, v34
	s_cmp_gt_u32 vcc_hi, 0x7ffffffe
	s_cselect_b32 s36, -1, 0
	s_cmp_eq_u32 s27, 0
	s_cselect_b32 s36, s36, -1
	s_cmp_lg_u32 s36, 0
	s_cselect_b32 s27, vcc_lo, s27
	v_readfirstlane_b32 vcc_lo, v35
	s_cselect_b32 vcc_lo, vcc_lo, vcc_hi
	v_readfirstlane_b32 vcc_hi, v30
	s_cmp_gt_u32 vcc_hi, 0x7ffffffe
	s_cselect_b32 s36, -1, 0
	s_cmp_eq_u32 s26, 0
	s_cselect_b32 s36, s36, -1
	s_cmp_lg_u32 s36, 0
	v_lshrrev_b64 v[32:33], 1, v[22:23]
	s_cselect_b32 s36, vcc_lo, vcc_hi
	v_cmp_gt_u64_e32 vcc, 2, v[22:23]
	s_cselect_b32 s37, s27, s26
	s_or_b64 s[34:35], vcc, s[34:35]
	v_pk_mov_b32 v[22:23], v[32:33], v[32:33] op_sel:[0,1]
	s_andn2_b64 exec, exec, s[34:35]
	s_cbranch_execz .LBB29_947
.LBB29_935:                             ; =>This Inner Loop Header: Depth=1
	v_and_b32_e32 v30, 1, v22
	v_cmp_eq_u32_e32 vcc, 1, v30
	s_and_saveexec_b64 s[38:39], vcc
	s_cbranch_execz .LBB29_934
; %bb.936:                              ;   in Loop: Header=BB29_935 Depth=1
	v_mul_lo_u32 v30, s37, v24
	v_mul_lo_u32 v32, s36, v25
	v_mad_u64_u32 v[24:25], s[26:27], s36, v24, 0
	s_add_u32 s26, 0x402, s46
	v_add3_u32 v25, v25, v32, v30
	s_addc_u32 s27, 0, 0
	v_add_co_u32_e32 v30, vcc, s26, v12
	s_cmp_lg_u64 vcc, 0
	v_readfirstlane_b32 vcc_lo, v30
	s_addc_u32 s26, s27, 1
	s_mul_hi_u32 vcc_hi, vcc_lo, 0x80000001
	s_mul_i32 s27, s26, 0x80000001
	s_sub_i32 vcc_hi, vcc_hi, vcc_lo
	s_add_i32 vcc_hi, vcc_hi, s27
	s_mul_i32 s48, vcc_lo, 0x80000001
	s_mul_hi_u32 s27, vcc_lo, vcc_hi
	s_mul_i32 s47, vcc_lo, vcc_hi
	s_mul_hi_u32 vcc_lo, vcc_lo, s48
	s_add_u32 vcc_lo, vcc_lo, s47
	s_addc_u32 s27, 0, s27
	s_mul_hi_u32 s49, s26, s48
	s_mul_i32 s48, s26, s48
	s_add_u32 vcc_lo, vcc_lo, s48
	s_mul_hi_u32 s47, s26, vcc_hi
	s_addc_u32 s27, s27, s49
	s_addc_u32 vcc_lo, s47, 0
	s_mul_i32 vcc_hi, s26, vcc_hi
	s_add_u32 s27, s27, vcc_hi
	s_addc_u32 s47, 0, vcc_lo
	v_add_co_u32_e32 v30, vcc, s27, v30
	s_cmp_lg_u64 vcc, 0
	s_addc_u32 s47, s26, s47
	v_mad_u64_u32 v[32:33], s[26:27], v24, s47, 0
	v_mul_hi_u32 v34, v24, v30
	v_add_co_u32_e32 v36, vcc, v34, v32
	v_addc_co_u32_e32 v37, vcc, 0, v33, vcc
	v_mad_u64_u32 v[34:35], s[26:27], v25, v30, 0
	v_add_co_u32_e32 v30, vcc, v36, v34
	v_mad_u64_u32 v[32:33], s[26:27], v25, s47, 0
	v_addc_co_u32_e32 v30, vcc, v37, v35, vcc
	v_addc_co_u32_e32 v33, vcc, 0, v33, vcc
	v_add_co_u32_e32 v30, vcc, v30, v32
	v_addc_co_u32_e32 v34, vcc, 0, v33, vcc
	v_mad_u64_u32 v[32:33], s[26:27], v30, s44, 0
	v_mov_b32_e32 v30, v33
	v_mad_u64_u32 v[34:35], s[26:27], v34, s44, v[30:31]
	v_sub_co_u32_e32 v24, vcc, v24, v32
	v_subb_co_u32_e32 v25, vcc, v25, v34, vcc
	v_subrev_co_u32_e32 v30, vcc, s44, v24
	v_subbrev_co_u32_e32 v32, vcc, 0, v25, vcc
	v_subrev_co_u32_e32 v33, vcc, s44, v30
	v_subbrev_co_u32_e32 v34, vcc, 0, v32, vcc
	v_cmp_lt_u32_e32 vcc, s45, v30
	v_cndmask_b32_e64 v35, 0, -1, vcc
	v_cmp_eq_u32_e32 vcc, 0, v32
	v_cndmask_b32_e32 v35, -1, v35, vcc
	v_cmp_ne_u32_e32 vcc, 0, v35
	v_cmp_lt_u32_e64 s[26:27], s45, v24
	v_cndmask_b32_e32 v32, v32, v34, vcc
	v_cndmask_b32_e64 v34, 0, -1, s[26:27]
	v_cmp_eq_u32_e64 s[26:27], 0, v25
	v_cndmask_b32_e64 v34, -1, v34, s[26:27]
	v_cmp_ne_u32_e64 s[26:27], 0, v34
	v_cndmask_b32_e32 v30, v30, v33, vcc
	v_cndmask_b32_e64 v25, v25, v32, s[26:27]
	v_cndmask_b32_e64 v24, v24, v30, s[26:27]
	s_branch .LBB29_934
.LBB29_937:
	s_or_b64 exec, exec, s[30:31]
	s_movk_i32 s24, 0x401
	s_add_u32 s24, 0x402, s24
	v_mov_b32_e32 v4, 0xfffff800
	s_addc_u32 s25, 0, 0
	v_add_co_u32_e32 v4, vcc, s24, v4
	s_cmp_lg_u64 vcc, 0
	v_readfirstlane_b32 vcc_lo, v4
	s_addc_u32 s24, s25, 1
	s_mul_hi_u32 vcc_hi, vcc_lo, 0x80000001
	s_mul_i32 s25, s24, 0x80000001
	s_sub_i32 vcc_hi, vcc_hi, vcc_lo
	s_add_i32 vcc_hi, vcc_hi, s25
	s_mul_i32 s31, vcc_lo, 0x80000001
	s_mul_hi_u32 s25, vcc_lo, vcc_hi
	s_mul_i32 s30, vcc_lo, vcc_hi
	s_mul_hi_u32 vcc_lo, vcc_lo, s31
	s_add_u32 vcc_lo, vcc_lo, s30
	s_addc_u32 s25, 0, s25
	s_mul_hi_u32 s34, s24, s31
	s_mul_i32 s31, s24, s31
	s_add_u32 vcc_lo, vcc_lo, s31
	s_mul_hi_u32 s30, s24, vcc_hi
	s_addc_u32 s25, s25, s34
	s_addc_u32 vcc_lo, s30, 0
	s_mul_i32 vcc_hi, s24, vcc_hi
	s_add_u32 s25, s25, vcc_hi
	s_addc_u32 s30, 0, vcc_lo
	v_add_co_u32_e32 v21, vcc, s25, v4
	s_cmp_lg_u64 vcc, 0
	s_addc_u32 s30, s24, s30
	v_mad_u64_u32 v[4:5], s[24:25], v6, s30, 0
	v_mul_hi_u32 v22, v6, v21
	v_add_co_u32_e32 v24, vcc, v22, v4
	v_addc_co_u32_e32 v25, vcc, 0, v5, vcc
	v_mad_u64_u32 v[22:23], s[24:25], v7, v21, 0
	v_add_co_u32_e32 v21, vcc, v24, v22
	v_mad_u64_u32 v[4:5], s[24:25], v7, s30, 0
	v_addc_co_u32_e32 v21, vcc, v25, v23, vcc
	v_addc_co_u32_e32 v5, vcc, 0, v5, vcc
	v_add_co_u32_e32 v4, vcc, v21, v4
	v_addc_co_u32_e32 v21, vcc, 0, v5, vcc
	s_brev_b32 vcc_lo, -2
	v_mad_u64_u32 v[4:5], s[24:25], v4, vcc_lo, 0
	v_mov_b32_e32 v22, v5
	v_mad_u64_u32 v[22:23], s[24:25], v21, vcc_lo, v[22:23]
	v_sub_co_u32_e32 v4, vcc, v6, v4
	v_subb_co_u32_e32 v5, vcc, v7, v22, vcc
	v_subrev_co_u32_e32 v6, vcc, 0x7fffffff, v4
	v_subbrev_co_u32_e32 v7, vcc, 0, v5, vcc
	s_mov_b32 s24, 0x7ffffffe
	v_cmp_lt_u32_e32 vcc, s24, v6
	v_cndmask_b32_e64 v21, 0, -1, vcc
	v_cmp_eq_u32_e32 vcc, 0, v7
	v_cndmask_b32_e32 v7, -1, v21, vcc
	v_add_u32_e32 v21, 0x80000001, v6
	v_cmp_ne_u32_e32 vcc, 0, v7
	v_cndmask_b32_e32 v6, v6, v21, vcc
	v_cmp_lt_u32_e32 vcc, s24, v4
	v_cndmask_b32_e64 v7, 0, -1, vcc
	v_cmp_eq_u32_e32 vcc, 0, v5
	v_cndmask_b32_e32 v5, -1, v7, vcc
	v_cmp_ne_u32_e32 vcc, 0, v5
	v_cndmask_b32_e32 v6, v4, v6, vcc
.LBB29_938:
	s_or_b64 exec, exec, s[28:29]
	s_movk_i32 s28, 0x1388
	v_mov_b32_e32 v5, 0
	s_mov_b32 s29, 0xbc8f1391
	s_mov_b32 s30, 0xbc8f
	s_brev_b32 s31, 12
	s_mov_b32 s34, 0xf800000
	v_mov_b32_e32 v4, 0x260
.LBB29_939:                             ; =>This Inner Loop Header: Depth=1
	v_mul_hi_u32 v7, v6, s29
	v_lshrrev_b32_e32 v7, 15, v7
	v_mul_u32_u24_e32 v22, 0xadc8, v7
	v_sub_u32_e32 v6, v6, v22
	v_mul_u32_u24_e32 v7, 0xd47, v7
	v_mul_lo_u32 v6, v6, s30
	v_xor_b32_e32 v22, 0x7fffffff, v7
	v_sub_u32_e32 v23, 0, v7
	v_cmp_lt_u32_e32 vcc, v6, v7
	v_cndmask_b32_e32 v7, v23, v22, vcc
	v_add_u32_e32 v6, v7, v6
	v_mul_hi_u32 v22, v6, s29
	v_lshrrev_b32_e32 v22, 15, v22
	v_mul_u32_u24_e32 v23, 0xadc8, v22
	v_add_u32_e32 v7, -1, v6
	v_sub_u32_e32 v6, v6, v23
	v_mul_u32_u24_e32 v22, 0xd47, v22
	v_mul_lo_u32 v6, v6, s30
	v_xor_b32_e32 v23, 0x7fffffff, v22
	v_sub_u32_e32 v24, 0, v22
	v_cmp_lt_u32_e32 vcc, v6, v22
	v_cndmask_b32_e32 v22, v24, v23, vcc
	v_add_u32_e32 v6, v22, v6
	v_mul_hi_u32 v23, v6, s29
	v_add_u32_e32 v22, -1, v6
	v_lshrrev_b32_e32 v23, 15, v23
	v_cvt_f32_u32_e32 v22, v22
	v_mul_u32_u24_e32 v24, 0xadc8, v23
	v_cvt_f32_u32_e32 v7, v7
	v_sub_u32_e32 v6, v6, v24
	v_mul_u32_u24_e32 v23, 0xd47, v23
	v_mul_lo_u32 v6, v6, s30
	v_xor_b32_e32 v24, 0x7fffffff, v23
	v_sub_u32_e32 v25, 0, v23
	v_cmp_lt_u32_e32 vcc, v6, v23
	v_fma_f32 v22, v22, s31, 0
	v_cndmask_b32_e32 v23, v25, v24, vcc
	v_fma_f32 v7, v7, s31, 0
	v_mul_f32_e32 v22, v22, v22
	v_add_u32_e32 v6, v23, v6
	v_fmac_f32_e32 v22, v7, v7
	v_mul_hi_u32 v23, v6, s29
	v_mul_f32_e32 v24, 0x4f800000, v22
	v_lshrrev_b32_e32 v23, 15, v23
	v_cmp_gt_f32_e32 vcc, s34, v22
	v_cndmask_b32_e32 v22, v22, v24, vcc
	v_mul_u32_u24_e32 v24, 0xadc8, v23
	v_add_u32_e32 v7, -1, v6
	v_sqrt_f32_e32 v25, v22
	v_sub_u32_e32 v6, v6, v24
	v_mul_u32_u24_e32 v23, 0xd47, v23
	v_mul_lo_u32 v6, v6, s30
	v_xor_b32_e32 v24, 0x7fffffff, v23
	v_sub_u32_e32 v26, 0, v23
	v_cmp_lt_u32_e64 s[24:25], v6, v23
	v_cndmask_b32_e64 v23, v26, v24, s[24:25]
	v_add_u32_e32 v6, v23, v6
	v_add_u32_e32 v23, -1, v25
	v_add_u32_e32 v24, 1, v25
	v_add_u32_e32 v26, -1, v6
	v_fma_f32 v27, -v23, v25, v22
	v_fma_f32 v28, -v24, v25, v22
	v_cvt_f32_u32_e32 v26, v26
	v_cmp_ge_f32_e64 s[24:25], 0, v27
	v_cvt_f32_u32_e32 v7, v7
	v_cndmask_b32_e64 v23, v25, v23, s[24:25]
	v_cmp_lt_f32_e64 s[24:25], 0, v28
	v_cndmask_b32_e64 v23, v23, v24, s[24:25]
	v_mul_f32_e32 v24, 0x37800000, v23
	v_cndmask_b32_e32 v23, v23, v24, vcc
	v_fma_f32 v24, v26, s31, 0
	v_cmp_class_f32_e32 vcc, v22, v4
	v_fma_f32 v7, v7, s31, 0
	v_cndmask_b32_e32 v22, v23, v22, vcc
	v_mul_f32_e32 v23, v24, v24
	v_add_f32_e32 v21, 1.0, v5
	v_cmp_nge_f32_e32 vcc, 1.0, v22
	v_fmac_f32_e32 v23, v7, v7
	v_cndmask_b32_e32 v5, v21, v5, vcc
	v_mul_f32_e32 v7, 0x4f800000, v23
	v_cmp_gt_f32_e32 vcc, s34, v23
	v_cndmask_b32_e32 v7, v23, v7, vcc
	v_sqrt_f32_e32 v22, v7
	s_add_i32 s28, s28, -2
	v_add_f32_e32 v21, 1.0, v5
	s_cmp_lg_u32 s28, 0
	v_add_u32_e32 v23, -1, v22
	v_add_u32_e32 v24, 1, v22
	v_fma_f32 v25, -v23, v22, v7
	v_fma_f32 v26, -v24, v22, v7
	v_cmp_ge_f32_e64 s[24:25], 0, v25
	v_cndmask_b32_e64 v22, v22, v23, s[24:25]
	v_cmp_lt_f32_e64 s[24:25], 0, v26
	v_cndmask_b32_e64 v22, v22, v24, s[24:25]
	v_mul_f32_e32 v23, 0x37800000, v22
	v_cndmask_b32_e32 v22, v22, v23, vcc
	v_cmp_class_f32_e32 vcc, v7, v4
	v_cndmask_b32_e32 v7, v22, v7, vcc
	v_cmp_nge_f32_e32 vcc, 1.0, v7
	v_cndmask_b32_e32 v5, v21, v5, vcc
	s_cbranch_scc1 .LBB29_939
; %bb.940:
	v_mul_f32_e32 v4, 4.0, v5
	s_mov_b32 s28, 0x459c4000
	v_div_scale_f32 v5, s[24:25], s28, s28, v4
	v_rcp_f32_e32 v6, v5
	v_fma_f32 v7, -v5, v6, 1.0
	v_fmac_f32_e32 v6, v7, v6
	v_div_scale_f32 v7, vcc, v4, s28, v4
	v_mul_f32_e32 v21, v7, v6
	v_fma_f32 v22, -v5, v21, v7
	v_fmac_f32_e32 v21, v22, v6
	v_fma_f32 v5, -v5, v21, v7
	v_div_fmas_f32 v5, v5, v6, v21
	v_div_fixup_f32 v21, v5, s28, v4
.LBB29_941:
	s_or_b64 exec, exec, s[26:27]
	v_add_u32_e32 v4, 0x500, v11
	v_cmp_lt_u32_e64 s[24:25], v4, v8
                                        ; implicit-def: $vgpr22
	s_and_saveexec_b64 s[28:29], s[24:25]
	s_cbranch_execz .LBB29_961
; %bb.942:
	v_add_u32_e32 v4, v9, v4
	s_movk_i32 s26, 0x1388
	v_mul_lo_u32 v4, v4, s26
	v_cmp_ne_u32_e32 vcc, 0, v4
	v_mov_b32_e32 v6, 1
	s_and_saveexec_b64 s[30:31], vcc
	s_cbranch_execz .LBB29_958
; %bb.943:
	v_mov_b32_e32 v6, 1
	v_mov_b32_e32 v5, 0
	s_mov_b64 s[36:37], 0xbc8f
	s_mov_b64 s[34:35], 0
	v_mov_b32_e32 v7, 0
	s_brev_b32 s40, -2
	s_mov_b32 s41, 0x7ffffffe
	v_mov_b32_e32 v22, 0xfffff800
	s_movk_i32 s42, 0x401
	s_branch .LBB29_945
.LBB29_944:                             ;   in Loop: Header=BB29_945 Depth=1
	s_or_b64 exec, exec, s[38:39]
	s_mul_i32 s26, s36, s37
	s_mul_hi_u32 s27, s36, s36
	s_add_i32 s27, s27, s26
	s_add_i32 s26, s27, s26
	s_add_u32 vcc_lo, 0x402, s42
	s_mul_i32 s27, s36, s36
	s_addc_u32 s36, 0, 0
	v_add_co_u32_e32 v23, vcc, vcc_lo, v22
	s_cmp_lg_u64 vcc, 0
	v_readfirstlane_b32 vcc_hi, v23
	s_addc_u32 s36, s36, 1
	s_mul_hi_u32 s37, vcc_hi, 0x80000001
	s_mul_i32 vcc_lo, s36, 0x80000001
	s_sub_i32 s37, s37, vcc_hi
	s_add_i32 s37, s37, vcc_lo
	s_mul_i32 s39, vcc_hi, 0x80000001
	s_mul_hi_u32 vcc_lo, vcc_hi, s37
	s_mul_i32 s38, vcc_hi, s37
	s_mul_hi_u32 vcc_hi, vcc_hi, s39
	s_add_u32 vcc_hi, vcc_hi, s38
	s_addc_u32 vcc_lo, 0, vcc_lo
	s_mul_hi_u32 s43, s36, s39
	s_mul_i32 s39, s36, s39
	s_add_u32 vcc_hi, vcc_hi, s39
	s_mul_hi_u32 s38, s36, s37
	s_addc_u32 vcc_lo, vcc_lo, s43
	s_addc_u32 vcc_hi, s38, 0
	s_mul_i32 s37, s36, s37
	s_add_u32 vcc_lo, vcc_lo, s37
	s_addc_u32 s37, 0, vcc_hi
	v_add_co_u32_e32 v23, vcc, vcc_lo, v23
	s_cmp_lg_u64 vcc, 0
	s_addc_u32 vcc_lo, s36, s37
	v_readfirstlane_b32 s37, v23
	s_mul_i32 s36, s27, vcc_lo
	s_mul_hi_u32 s38, s27, s37
	s_mul_hi_u32 vcc_hi, s27, vcc_lo
	s_add_u32 s36, s38, s36
	s_addc_u32 vcc_hi, 0, vcc_hi
	s_mul_hi_u32 s39, s26, s37
	s_mul_i32 s37, s26, s37
	s_add_u32 s36, s36, s37
	s_mul_hi_u32 s38, s26, vcc_lo
	s_addc_u32 vcc_hi, vcc_hi, s39
	s_addc_u32 s36, s38, 0
	s_mul_i32 vcc_lo, s26, vcc_lo
	s_add_u32 vcc_lo, vcc_hi, vcc_lo
	s_addc_u32 vcc_hi, 0, s36
	s_mul_hi_u32 s36, vcc_lo, 0x7fffffff
	s_mul_i32 vcc_lo, vcc_lo, 0x7fffffff
	s_mul_i32 vcc_hi, vcc_hi, 0x7fffffff
	v_mov_b32_e32 v23, vcc_lo
	s_add_i32 s36, s36, vcc_hi
	v_sub_co_u32_e32 v23, vcc, s27, v23
	s_cmp_lg_u64 vcc, 0
	s_subb_u32 s26, s26, s36
	v_subrev_co_u32_e32 v26, vcc, s40, v23
	s_cmp_lg_u64 vcc, 0
	s_subb_u32 s27, s26, 0
	v_subrev_co_u32_e32 v27, vcc, s40, v26
	s_cmp_lg_u64 vcc, 0
	s_subb_u32 vcc_lo, s27, 0
	v_readfirstlane_b32 vcc_hi, v26
	s_cmp_gt_u32 vcc_hi, 0x7ffffffe
	s_cselect_b32 s36, -1, 0
	s_cmp_eq_u32 s27, 0
	s_cselect_b32 s36, s36, -1
	s_cmp_lg_u32 s36, 0
	s_cselect_b32 s27, vcc_lo, s27
	v_readfirstlane_b32 vcc_lo, v27
	s_cselect_b32 vcc_lo, vcc_lo, vcc_hi
	v_readfirstlane_b32 vcc_hi, v23
	s_cmp_gt_u32 vcc_hi, 0x7ffffffe
	s_cselect_b32 s36, -1, 0
	s_cmp_eq_u32 s26, 0
	s_cselect_b32 s36, s36, -1
	s_cmp_lg_u32 s36, 0
	v_lshrrev_b64 v[24:25], 1, v[4:5]
	s_cselect_b32 s36, vcc_lo, vcc_hi
	v_cmp_gt_u64_e32 vcc, 2, v[4:5]
	s_cselect_b32 s37, s27, s26
	s_or_b64 s[34:35], vcc, s[34:35]
	v_pk_mov_b32 v[4:5], v[24:25], v[24:25] op_sel:[0,1]
	s_andn2_b64 exec, exec, s[34:35]
	s_cbranch_execz .LBB29_957
.LBB29_945:                             ; =>This Inner Loop Header: Depth=1
	v_and_b32_e32 v23, 1, v4
	v_cmp_eq_u32_e32 vcc, 1, v23
	s_and_saveexec_b64 s[38:39], vcc
	s_cbranch_execz .LBB29_944
; %bb.946:                              ;   in Loop: Header=BB29_945 Depth=1
	v_mul_lo_u32 v23, s37, v6
	v_mul_lo_u32 v24, s36, v7
	v_mad_u64_u32 v[6:7], s[26:27], s36, v6, 0
	s_add_u32 s26, 0x402, s42
	v_add3_u32 v7, v7, v24, v23
	s_addc_u32 s27, 0, 0
	v_add_co_u32_e32 v23, vcc, s26, v22
	s_cmp_lg_u64 vcc, 0
	v_readfirstlane_b32 vcc_lo, v23
	s_addc_u32 s26, s27, 1
	s_mul_hi_u32 vcc_hi, vcc_lo, 0x80000001
	s_mul_i32 s27, s26, 0x80000001
	s_sub_i32 vcc_hi, vcc_hi, vcc_lo
	s_add_i32 vcc_hi, vcc_hi, s27
	s_mul_i32 s44, vcc_lo, 0x80000001
	s_mul_hi_u32 s27, vcc_lo, vcc_hi
	s_mul_i32 s43, vcc_lo, vcc_hi
	s_mul_hi_u32 vcc_lo, vcc_lo, s44
	s_add_u32 vcc_lo, vcc_lo, s43
	s_addc_u32 s27, 0, s27
	s_mul_hi_u32 s45, s26, s44
	s_mul_i32 s44, s26, s44
	s_add_u32 vcc_lo, vcc_lo, s44
	s_mul_hi_u32 s43, s26, vcc_hi
	s_addc_u32 s27, s27, s45
	s_addc_u32 vcc_lo, s43, 0
	s_mul_i32 vcc_hi, s26, vcc_hi
	s_add_u32 s27, s27, vcc_hi
	s_addc_u32 s43, 0, vcc_lo
	v_add_co_u32_e32 v23, vcc, s27, v23
	s_cmp_lg_u64 vcc, 0
	s_addc_u32 s43, s26, s43
	v_mad_u64_u32 v[24:25], s[26:27], v6, s43, 0
	v_mul_hi_u32 v26, v6, v23
	v_add_co_u32_e32 v28, vcc, v26, v24
	v_addc_co_u32_e32 v29, vcc, 0, v25, vcc
	v_mad_u64_u32 v[26:27], s[26:27], v7, v23, 0
	v_add_co_u32_e32 v23, vcc, v28, v26
	v_mad_u64_u32 v[24:25], s[26:27], v7, s43, 0
	v_addc_co_u32_e32 v23, vcc, v29, v27, vcc
	v_addc_co_u32_e32 v25, vcc, 0, v25, vcc
	v_add_co_u32_e32 v23, vcc, v23, v24
	v_addc_co_u32_e32 v27, vcc, 0, v25, vcc
	v_mad_u64_u32 v[24:25], s[26:27], v23, s40, 0
	v_mov_b32_e32 v26, v25
	v_mad_u64_u32 v[26:27], s[26:27], v27, s40, v[26:27]
	v_sub_co_u32_e32 v6, vcc, v6, v24
	v_subb_co_u32_e32 v7, vcc, v7, v26, vcc
	v_subrev_co_u32_e32 v23, vcc, s40, v6
	v_subbrev_co_u32_e32 v24, vcc, 0, v7, vcc
	v_subrev_co_u32_e32 v25, vcc, s40, v23
	v_subbrev_co_u32_e32 v26, vcc, 0, v24, vcc
	v_cmp_lt_u32_e32 vcc, s41, v23
	v_cndmask_b32_e64 v27, 0, -1, vcc
	v_cmp_eq_u32_e32 vcc, 0, v24
	v_cndmask_b32_e32 v27, -1, v27, vcc
	v_cmp_ne_u32_e32 vcc, 0, v27
	v_cmp_lt_u32_e64 s[26:27], s41, v6
	v_cndmask_b32_e32 v24, v24, v26, vcc
	v_cndmask_b32_e64 v26, 0, -1, s[26:27]
	v_cmp_eq_u32_e64 s[26:27], 0, v7
	v_cndmask_b32_e64 v26, -1, v26, s[26:27]
	v_cmp_ne_u32_e64 s[26:27], 0, v26
	v_cndmask_b32_e32 v23, v23, v25, vcc
	v_cndmask_b32_e64 v7, v7, v24, s[26:27]
	v_cndmask_b32_e64 v6, v6, v23, s[26:27]
	s_branch .LBB29_944
.LBB29_947:
	s_or_b64 exec, exec, s[34:35]
	s_movk_i32 s26, 0x401
	s_add_u32 s26, 0x402, s26
	v_mov_b32_e32 v12, 0xfffff800
	s_addc_u32 s27, 0, 0
	v_add_co_u32_e32 v12, vcc, s26, v12
	s_cmp_lg_u64 vcc, 0
	v_readfirstlane_b32 vcc_lo, v12
	s_addc_u32 s26, s27, 1
	s_mul_hi_u32 vcc_hi, vcc_lo, 0x80000001
	s_mul_i32 s27, s26, 0x80000001
	s_sub_i32 vcc_hi, vcc_hi, vcc_lo
	s_add_i32 vcc_hi, vcc_hi, s27
	s_mul_i32 s35, vcc_lo, 0x80000001
	s_mul_hi_u32 s27, vcc_lo, vcc_hi
	s_mul_i32 s34, vcc_lo, vcc_hi
	s_mul_hi_u32 vcc_lo, vcc_lo, s35
	s_add_u32 vcc_lo, vcc_lo, s34
	s_addc_u32 s27, 0, s27
	s_mul_hi_u32 s36, s26, s35
	s_mul_i32 s35, s26, s35
	s_add_u32 vcc_lo, vcc_lo, s35
	s_mul_hi_u32 s34, s26, vcc_hi
	s_addc_u32 s27, s27, s36
	s_addc_u32 vcc_lo, s34, 0
	s_mul_i32 vcc_hi, s26, vcc_hi
	s_add_u32 s27, s27, vcc_hi
	s_addc_u32 s34, 0, vcc_lo
	v_add_co_u32_e32 v12, vcc, s27, v12
	s_cmp_lg_u64 vcc, 0
	s_addc_u32 s34, s26, s34
	v_mad_u64_u32 v[22:23], s[26:27], v24, s34, 0
	v_mul_hi_u32 v30, v24, v12
	v_add_co_u32_e32 v30, vcc, v30, v22
	v_addc_co_u32_e32 v34, vcc, 0, v23, vcc
	v_mad_u64_u32 v[32:33], s[26:27], v25, v12, 0
	v_add_co_u32_e32 v12, vcc, v30, v32
	v_mad_u64_u32 v[22:23], s[26:27], v25, s34, 0
	v_addc_co_u32_e32 v12, vcc, v34, v33, vcc
	v_addc_co_u32_e32 v23, vcc, 0, v23, vcc
	v_add_co_u32_e32 v12, vcc, v12, v22
	v_addc_co_u32_e32 v30, vcc, 0, v23, vcc
	s_brev_b32 vcc_lo, -2
	v_mad_u64_u32 v[22:23], s[26:27], v12, vcc_lo, 0
	v_mov_b32_e32 v12, v23
	v_mad_u64_u32 v[32:33], s[26:27], v30, vcc_lo, v[12:13]
	v_sub_co_u32_e32 v12, vcc, v24, v22
	v_subb_co_u32_e32 v22, vcc, v25, v32, vcc
	v_subrev_co_u32_e32 v23, vcc, 0x7fffffff, v12
	v_subbrev_co_u32_e32 v24, vcc, 0, v22, vcc
	s_mov_b32 s26, 0x7ffffffe
	v_cmp_lt_u32_e32 vcc, s26, v23
	v_cndmask_b32_e64 v25, 0, -1, vcc
	v_cmp_eq_u32_e32 vcc, 0, v24
	v_cndmask_b32_e32 v24, -1, v25, vcc
	v_add_u32_e32 v25, 0x80000001, v23
	v_cmp_ne_u32_e32 vcc, 0, v24
	v_cndmask_b32_e32 v23, v23, v25, vcc
	v_cmp_lt_u32_e32 vcc, s26, v12
	v_cndmask_b32_e64 v24, 0, -1, vcc
	v_cmp_eq_u32_e32 vcc, 0, v22
	v_cndmask_b32_e32 v22, -1, v24, vcc
	v_cmp_ne_u32_e32 vcc, 0, v22
	v_cndmask_b32_e32 v23, v12, v23, vcc
.LBB29_948:
	s_or_b64 exec, exec, s[30:31]
	s_movk_i32 s30, 0x1388
	v_mov_b32_e32 v22, 0
	s_mov_b32 s31, 0xbc8f1391
	s_mov_b32 s34, 0xbc8f
	s_brev_b32 s35, 12
	s_mov_b32 s36, 0xf800000
	v_mov_b32_e32 v12, 0x260
.LBB29_949:                             ; =>This Inner Loop Header: Depth=1
	v_mul_hi_u32 v24, v23, s31
	v_lshrrev_b32_e32 v24, 15, v24
	v_mul_u32_u24_e32 v30, 0xadc8, v24
	v_sub_u32_e32 v23, v23, v30
	v_mul_u32_u24_e32 v24, 0xd47, v24
	v_mul_lo_u32 v23, v23, s34
	v_xor_b32_e32 v30, 0x7fffffff, v24
	v_sub_u32_e32 v32, 0, v24
	v_cmp_lt_u32_e32 vcc, v23, v24
	v_cndmask_b32_e32 v24, v32, v30, vcc
	v_add_u32_e32 v23, v24, v23
	v_mul_hi_u32 v30, v23, s31
	v_lshrrev_b32_e32 v30, 15, v30
	v_mul_u32_u24_e32 v32, 0xadc8, v30
	v_add_u32_e32 v24, -1, v23
	v_sub_u32_e32 v23, v23, v32
	v_mul_u32_u24_e32 v30, 0xd47, v30
	v_mul_lo_u32 v23, v23, s34
	v_xor_b32_e32 v32, 0x7fffffff, v30
	v_sub_u32_e32 v33, 0, v30
	v_cmp_lt_u32_e32 vcc, v23, v30
	v_cndmask_b32_e32 v30, v33, v32, vcc
	v_add_u32_e32 v23, v30, v23
	v_mul_hi_u32 v32, v23, s31
	v_add_u32_e32 v30, -1, v23
	v_lshrrev_b32_e32 v32, 15, v32
	v_cvt_f32_u32_e32 v30, v30
	v_mul_u32_u24_e32 v33, 0xadc8, v32
	v_cvt_f32_u32_e32 v24, v24
	v_sub_u32_e32 v23, v23, v33
	v_mul_u32_u24_e32 v32, 0xd47, v32
	v_mul_lo_u32 v23, v23, s34
	v_xor_b32_e32 v33, 0x7fffffff, v32
	v_sub_u32_e32 v34, 0, v32
	v_cmp_lt_u32_e32 vcc, v23, v32
	v_fma_f32 v30, v30, s35, 0
	v_cndmask_b32_e32 v32, v34, v33, vcc
	v_fma_f32 v24, v24, s35, 0
	v_mul_f32_e32 v30, v30, v30
	v_add_u32_e32 v23, v32, v23
	v_fmac_f32_e32 v30, v24, v24
	v_mul_hi_u32 v32, v23, s31
	v_mul_f32_e32 v33, 0x4f800000, v30
	v_lshrrev_b32_e32 v32, 15, v32
	v_cmp_gt_f32_e32 vcc, s36, v30
	v_cndmask_b32_e32 v30, v30, v33, vcc
	v_mul_u32_u24_e32 v33, 0xadc8, v32
	v_add_u32_e32 v24, -1, v23
	v_sqrt_f32_e32 v34, v30
	v_sub_u32_e32 v23, v23, v33
	v_mul_u32_u24_e32 v32, 0xd47, v32
	v_mul_lo_u32 v23, v23, s34
	v_xor_b32_e32 v33, 0x7fffffff, v32
	v_sub_u32_e32 v35, 0, v32
	v_cmp_lt_u32_e64 s[26:27], v23, v32
	v_cndmask_b32_e64 v32, v35, v33, s[26:27]
	v_add_u32_e32 v23, v32, v23
	v_add_u32_e32 v32, -1, v34
	v_add_u32_e32 v33, 1, v34
	v_add_u32_e32 v35, -1, v23
	v_fma_f32 v36, -v32, v34, v30
	v_fma_f32 v37, -v33, v34, v30
	v_cvt_f32_u32_e32 v35, v35
	v_cmp_ge_f32_e64 s[26:27], 0, v36
	v_cvt_f32_u32_e32 v24, v24
	v_cndmask_b32_e64 v32, v34, v32, s[26:27]
	v_cmp_lt_f32_e64 s[26:27], 0, v37
	v_cndmask_b32_e64 v32, v32, v33, s[26:27]
	v_mul_f32_e32 v33, 0x37800000, v32
	v_cndmask_b32_e32 v32, v32, v33, vcc
	v_fma_f32 v33, v35, s35, 0
	v_cmp_class_f32_e32 vcc, v30, v12
	v_fma_f32 v24, v24, s35, 0
	v_cndmask_b32_e32 v30, v32, v30, vcc
	v_mul_f32_e32 v32, v33, v33
	v_add_f32_e32 v25, 1.0, v22
	v_cmp_nge_f32_e32 vcc, 1.0, v30
	v_fmac_f32_e32 v32, v24, v24
	v_cndmask_b32_e32 v22, v25, v22, vcc
	v_mul_f32_e32 v24, 0x4f800000, v32
	v_cmp_gt_f32_e32 vcc, s36, v32
	v_cndmask_b32_e32 v24, v32, v24, vcc
	v_sqrt_f32_e32 v30, v24
	s_add_i32 s30, s30, -2
	v_add_f32_e32 v25, 1.0, v22
	s_cmp_lg_u32 s30, 0
	v_add_u32_e32 v32, -1, v30
	v_add_u32_e32 v33, 1, v30
	v_fma_f32 v34, -v32, v30, v24
	v_fma_f32 v35, -v33, v30, v24
	v_cmp_ge_f32_e64 s[26:27], 0, v34
	v_cndmask_b32_e64 v30, v30, v32, s[26:27]
	v_cmp_lt_f32_e64 s[26:27], 0, v35
	v_cndmask_b32_e64 v30, v30, v33, s[26:27]
	v_mul_f32_e32 v32, 0x37800000, v30
	v_cndmask_b32_e32 v30, v30, v32, vcc
	v_cmp_class_f32_e32 vcc, v24, v12
	v_cndmask_b32_e32 v24, v30, v24, vcc
	v_cmp_nge_f32_e32 vcc, 1.0, v24
	v_cndmask_b32_e32 v22, v25, v22, vcc
	s_cbranch_scc1 .LBB29_949
; %bb.950:
	v_mul_f32_e32 v12, 4.0, v22
	s_mov_b32 s30, 0x459c4000
	v_div_scale_f32 v22, s[26:27], s30, s30, v12
	v_rcp_f32_e32 v23, v22
	v_fma_f32 v24, -v22, v23, 1.0
	v_fmac_f32_e32 v23, v24, v23
	v_div_scale_f32 v24, vcc, v12, s30, v12
	v_mul_f32_e32 v25, v24, v23
	v_fma_f32 v30, -v22, v25, v24
	v_fmac_f32_e32 v25, v30, v23
	v_fma_f32 v22, -v22, v25, v24
	v_div_fmas_f32 v22, v22, v23, v25
	v_div_fixup_f32 v12, v22, s30, v12
.LBB29_951:
	s_or_b64 exec, exec, s[28:29]
	v_add_u32_e32 v22, 0x580, v27
	v_cmp_lt_u32_e64 s[26:27], v22, v28
	s_and_saveexec_b64 s[30:31], s[26:27]
	s_cbranch_execz .LBB29_971
; %bb.952:
	v_add_u32_e32 v13, v29, v22
	s_movk_i32 s28, 0x1388
	v_mul_lo_u32 v22, v13, s28
	v_cmp_ne_u32_e32 vcc, 0, v22
	v_mov_b32_e32 v23, 1
	s_and_saveexec_b64 s[34:35], vcc
	s_cbranch_execz .LBB29_968
; %bb.953:
	v_mov_b32_e32 v24, 1
	v_mov_b32_e32 v23, 0
	s_mov_b64 s[38:39], 0xbc8f
	s_mov_b64 s[36:37], 0
	v_mov_b32_e32 v25, 0
	s_brev_b32 s46, -2
	s_mov_b32 s47, 0x7ffffffe
	v_mov_b32_e32 v13, 0xfffff800
	s_movk_i32 s48, 0x401
	s_branch .LBB29_955
.LBB29_954:                             ;   in Loop: Header=BB29_955 Depth=1
	s_or_b64 exec, exec, s[44:45]
	s_mul_i32 s28, s38, s39
	s_mul_hi_u32 s29, s38, s38
	s_add_i32 s29, s29, s28
	s_add_i32 s28, s29, s28
	s_add_u32 vcc_lo, 0x402, s48
	s_mul_i32 s29, s38, s38
	s_addc_u32 s38, 0, 0
	v_add_co_u32_e32 v30, vcc, vcc_lo, v13
	s_cmp_lg_u64 vcc, 0
	v_readfirstlane_b32 vcc_hi, v30
	s_addc_u32 s38, s38, 1
	s_mul_hi_u32 s39, vcc_hi, 0x80000001
	s_mul_i32 vcc_lo, s38, 0x80000001
	s_sub_i32 s39, s39, vcc_hi
	s_add_i32 s39, s39, vcc_lo
	s_mul_i32 s45, vcc_hi, 0x80000001
	s_mul_hi_u32 vcc_lo, vcc_hi, s39
	s_mul_i32 s44, vcc_hi, s39
	s_mul_hi_u32 vcc_hi, vcc_hi, s45
	s_add_u32 vcc_hi, vcc_hi, s44
	s_addc_u32 vcc_lo, 0, vcc_lo
	s_mul_hi_u32 s49, s38, s45
	s_mul_i32 s45, s38, s45
	s_add_u32 vcc_hi, vcc_hi, s45
	s_mul_hi_u32 s44, s38, s39
	s_addc_u32 vcc_lo, vcc_lo, s49
	s_addc_u32 vcc_hi, s44, 0
	s_mul_i32 s39, s38, s39
	s_add_u32 vcc_lo, vcc_lo, s39
	s_addc_u32 s39, 0, vcc_hi
	v_add_co_u32_e32 v30, vcc, vcc_lo, v30
	s_cmp_lg_u64 vcc, 0
	s_addc_u32 vcc_lo, s38, s39
	v_readfirstlane_b32 s39, v30
	s_mul_i32 s38, s29, vcc_lo
	s_mul_hi_u32 s44, s29, s39
	s_mul_hi_u32 vcc_hi, s29, vcc_lo
	s_add_u32 s38, s44, s38
	s_addc_u32 vcc_hi, 0, vcc_hi
	s_mul_hi_u32 s45, s28, s39
	s_mul_i32 s39, s28, s39
	s_add_u32 s38, s38, s39
	s_mul_hi_u32 s44, s28, vcc_lo
	s_addc_u32 vcc_hi, vcc_hi, s45
	s_addc_u32 s38, s44, 0
	s_mul_i32 vcc_lo, s28, vcc_lo
	s_add_u32 vcc_lo, vcc_hi, vcc_lo
	s_addc_u32 vcc_hi, 0, s38
	s_mul_hi_u32 s38, vcc_lo, 0x7fffffff
	s_mul_i32 vcc_lo, vcc_lo, 0x7fffffff
	s_mul_i32 vcc_hi, vcc_hi, 0x7fffffff
	v_mov_b32_e32 v30, vcc_lo
	s_add_i32 s38, s38, vcc_hi
	v_sub_co_u32_e32 v30, vcc, s29, v30
	s_cmp_lg_u64 vcc, 0
	s_subb_u32 s28, s28, s38
	v_subrev_co_u32_e32 v34, vcc, s46, v30
	s_cmp_lg_u64 vcc, 0
	s_subb_u32 s29, s28, 0
	v_subrev_co_u32_e32 v35, vcc, s46, v34
	s_cmp_lg_u64 vcc, 0
	s_subb_u32 vcc_lo, s29, 0
	v_readfirstlane_b32 vcc_hi, v34
	s_cmp_gt_u32 vcc_hi, 0x7ffffffe
	s_cselect_b32 s38, -1, 0
	s_cmp_eq_u32 s29, 0
	s_cselect_b32 s38, s38, -1
	s_cmp_lg_u32 s38, 0
	s_cselect_b32 s29, vcc_lo, s29
	v_readfirstlane_b32 vcc_lo, v35
	s_cselect_b32 vcc_lo, vcc_lo, vcc_hi
	v_readfirstlane_b32 vcc_hi, v30
	s_cmp_gt_u32 vcc_hi, 0x7ffffffe
	s_cselect_b32 s38, -1, 0
	s_cmp_eq_u32 s28, 0
	s_cselect_b32 s38, s38, -1
	s_cmp_lg_u32 s38, 0
	v_lshrrev_b64 v[32:33], 1, v[22:23]
	s_cselect_b32 s38, vcc_lo, vcc_hi
	v_cmp_gt_u64_e32 vcc, 2, v[22:23]
	s_cselect_b32 s39, s29, s28
	s_or_b64 s[36:37], vcc, s[36:37]
	v_pk_mov_b32 v[22:23], v[32:33], v[32:33] op_sel:[0,1]
	s_andn2_b64 exec, exec, s[36:37]
	s_cbranch_execz .LBB29_967
.LBB29_955:                             ; =>This Inner Loop Header: Depth=1
	v_and_b32_e32 v30, 1, v22
	v_cmp_eq_u32_e32 vcc, 1, v30
	s_and_saveexec_b64 s[44:45], vcc
	s_cbranch_execz .LBB29_954
; %bb.956:                              ;   in Loop: Header=BB29_955 Depth=1
	v_mul_lo_u32 v30, s39, v24
	v_mul_lo_u32 v32, s38, v25
	v_mad_u64_u32 v[24:25], s[28:29], s38, v24, 0
	s_add_u32 s28, 0x402, s48
	v_add3_u32 v25, v25, v32, v30
	s_addc_u32 s29, 0, 0
	v_add_co_u32_e32 v30, vcc, s28, v13
	s_cmp_lg_u64 vcc, 0
	v_readfirstlane_b32 vcc_lo, v30
	s_addc_u32 s28, s29, 1
	s_mul_hi_u32 vcc_hi, vcc_lo, 0x80000001
	s_mul_i32 s29, s28, 0x80000001
	s_sub_i32 vcc_hi, vcc_hi, vcc_lo
	s_add_i32 vcc_hi, vcc_hi, s29
	s_mul_i32 s50, vcc_lo, 0x80000001
	s_mul_hi_u32 s29, vcc_lo, vcc_hi
	s_mul_i32 s49, vcc_lo, vcc_hi
	s_mul_hi_u32 vcc_lo, vcc_lo, s50
	s_add_u32 vcc_lo, vcc_lo, s49
	s_addc_u32 s29, 0, s29
	s_mul_hi_u32 s51, s28, s50
	s_mul_i32 s50, s28, s50
	s_add_u32 vcc_lo, vcc_lo, s50
	s_mul_hi_u32 s49, s28, vcc_hi
	s_addc_u32 s29, s29, s51
	s_addc_u32 vcc_lo, s49, 0
	s_mul_i32 vcc_hi, s28, vcc_hi
	s_add_u32 s29, s29, vcc_hi
	s_addc_u32 s49, 0, vcc_lo
	v_add_co_u32_e32 v30, vcc, s29, v30
	s_cmp_lg_u64 vcc, 0
	s_addc_u32 s49, s28, s49
	v_mad_u64_u32 v[32:33], s[28:29], v24, s49, 0
	v_mul_hi_u32 v34, v24, v30
	v_add_co_u32_e32 v36, vcc, v34, v32
	v_addc_co_u32_e32 v37, vcc, 0, v33, vcc
	v_mad_u64_u32 v[34:35], s[28:29], v25, v30, 0
	v_add_co_u32_e32 v30, vcc, v36, v34
	v_mad_u64_u32 v[32:33], s[28:29], v25, s49, 0
	v_addc_co_u32_e32 v30, vcc, v37, v35, vcc
	v_addc_co_u32_e32 v33, vcc, 0, v33, vcc
	v_add_co_u32_e32 v30, vcc, v30, v32
	v_addc_co_u32_e32 v34, vcc, 0, v33, vcc
	v_mad_u64_u32 v[32:33], s[28:29], v30, s46, 0
	v_mov_b32_e32 v30, v33
	v_mad_u64_u32 v[34:35], s[28:29], v34, s46, v[30:31]
	v_sub_co_u32_e32 v24, vcc, v24, v32
	v_subb_co_u32_e32 v25, vcc, v25, v34, vcc
	v_subrev_co_u32_e32 v30, vcc, s46, v24
	v_subbrev_co_u32_e32 v32, vcc, 0, v25, vcc
	v_subrev_co_u32_e32 v33, vcc, s46, v30
	v_subbrev_co_u32_e32 v34, vcc, 0, v32, vcc
	v_cmp_lt_u32_e32 vcc, s47, v30
	v_cndmask_b32_e64 v35, 0, -1, vcc
	v_cmp_eq_u32_e32 vcc, 0, v32
	v_cndmask_b32_e32 v35, -1, v35, vcc
	v_cmp_ne_u32_e32 vcc, 0, v35
	v_cmp_lt_u32_e64 s[28:29], s47, v24
	v_cndmask_b32_e32 v32, v32, v34, vcc
	v_cndmask_b32_e64 v34, 0, -1, s[28:29]
	v_cmp_eq_u32_e64 s[28:29], 0, v25
	v_cndmask_b32_e64 v34, -1, v34, s[28:29]
	v_cmp_ne_u32_e64 s[28:29], 0, v34
	v_cndmask_b32_e32 v30, v30, v33, vcc
	v_cndmask_b32_e64 v25, v25, v32, s[28:29]
	v_cndmask_b32_e64 v24, v24, v30, s[28:29]
	s_branch .LBB29_954
.LBB29_957:
	s_or_b64 exec, exec, s[34:35]
	s_movk_i32 s26, 0x401
	s_add_u32 s26, 0x402, s26
	v_mov_b32_e32 v4, 0xfffff800
	s_addc_u32 s27, 0, 0
	v_add_co_u32_e32 v4, vcc, s26, v4
	s_cmp_lg_u64 vcc, 0
	v_readfirstlane_b32 vcc_lo, v4
	s_addc_u32 s26, s27, 1
	s_mul_hi_u32 vcc_hi, vcc_lo, 0x80000001
	s_mul_i32 s27, s26, 0x80000001
	s_sub_i32 vcc_hi, vcc_hi, vcc_lo
	s_add_i32 vcc_hi, vcc_hi, s27
	s_mul_i32 s35, vcc_lo, 0x80000001
	s_mul_hi_u32 s27, vcc_lo, vcc_hi
	s_mul_i32 s34, vcc_lo, vcc_hi
	s_mul_hi_u32 vcc_lo, vcc_lo, s35
	s_add_u32 vcc_lo, vcc_lo, s34
	s_addc_u32 s27, 0, s27
	s_mul_hi_u32 s36, s26, s35
	s_mul_i32 s35, s26, s35
	s_add_u32 vcc_lo, vcc_lo, s35
	s_mul_hi_u32 s34, s26, vcc_hi
	s_addc_u32 s27, s27, s36
	s_addc_u32 vcc_lo, s34, 0
	s_mul_i32 vcc_hi, s26, vcc_hi
	s_add_u32 s27, s27, vcc_hi
	s_addc_u32 s34, 0, vcc_lo
	v_add_co_u32_e32 v22, vcc, s27, v4
	s_cmp_lg_u64 vcc, 0
	s_addc_u32 s34, s26, s34
	v_mad_u64_u32 v[4:5], s[26:27], v6, s34, 0
	v_mul_hi_u32 v23, v6, v22
	v_add_co_u32_e32 v24, vcc, v23, v4
	v_addc_co_u32_e32 v25, vcc, 0, v5, vcc
	v_mad_u64_u32 v[22:23], s[26:27], v7, v22, 0
	v_add_co_u32_e32 v22, vcc, v24, v22
	v_mad_u64_u32 v[4:5], s[26:27], v7, s34, 0
	v_addc_co_u32_e32 v22, vcc, v25, v23, vcc
	v_addc_co_u32_e32 v5, vcc, 0, v5, vcc
	v_add_co_u32_e32 v4, vcc, v22, v4
	v_addc_co_u32_e32 v23, vcc, 0, v5, vcc
	s_brev_b32 vcc_lo, -2
	v_mad_u64_u32 v[4:5], s[26:27], v4, vcc_lo, 0
	v_mov_b32_e32 v22, v5
	v_mad_u64_u32 v[22:23], s[26:27], v23, vcc_lo, v[22:23]
	v_sub_co_u32_e32 v4, vcc, v6, v4
	v_subb_co_u32_e32 v5, vcc, v7, v22, vcc
	v_subrev_co_u32_e32 v6, vcc, 0x7fffffff, v4
	v_subbrev_co_u32_e32 v7, vcc, 0, v5, vcc
	s_mov_b32 s26, 0x7ffffffe
	v_cmp_lt_u32_e32 vcc, s26, v6
	v_cndmask_b32_e64 v22, 0, -1, vcc
	v_cmp_eq_u32_e32 vcc, 0, v7
	v_cndmask_b32_e32 v7, -1, v22, vcc
	v_add_u32_e32 v22, 0x80000001, v6
	v_cmp_ne_u32_e32 vcc, 0, v7
	v_cndmask_b32_e32 v6, v6, v22, vcc
	v_cmp_lt_u32_e32 vcc, s26, v4
	v_cndmask_b32_e64 v7, 0, -1, vcc
	v_cmp_eq_u32_e32 vcc, 0, v5
	v_cndmask_b32_e32 v5, -1, v7, vcc
	v_cmp_ne_u32_e32 vcc, 0, v5
	v_cndmask_b32_e32 v6, v4, v6, vcc
.LBB29_958:
	s_or_b64 exec, exec, s[30:31]
	s_movk_i32 s30, 0x1388
	v_mov_b32_e32 v5, 0
	s_mov_b32 s31, 0xbc8f1391
	s_mov_b32 s34, 0xbc8f
	s_brev_b32 s35, 12
	s_mov_b32 s36, 0xf800000
	v_mov_b32_e32 v4, 0x260
.LBB29_959:                             ; =>This Inner Loop Header: Depth=1
	v_mul_hi_u32 v7, v6, s31
	v_lshrrev_b32_e32 v7, 15, v7
	v_mul_u32_u24_e32 v23, 0xadc8, v7
	v_sub_u32_e32 v6, v6, v23
	v_mul_u32_u24_e32 v7, 0xd47, v7
	v_mul_lo_u32 v6, v6, s34
	v_xor_b32_e32 v23, 0x7fffffff, v7
	v_sub_u32_e32 v24, 0, v7
	v_cmp_lt_u32_e32 vcc, v6, v7
	v_cndmask_b32_e32 v7, v24, v23, vcc
	v_add_u32_e32 v6, v7, v6
	v_mul_hi_u32 v23, v6, s31
	v_lshrrev_b32_e32 v23, 15, v23
	v_mul_u32_u24_e32 v24, 0xadc8, v23
	v_add_u32_e32 v7, -1, v6
	v_sub_u32_e32 v6, v6, v24
	v_mul_u32_u24_e32 v23, 0xd47, v23
	v_mul_lo_u32 v6, v6, s34
	v_xor_b32_e32 v24, 0x7fffffff, v23
	v_sub_u32_e32 v25, 0, v23
	v_cmp_lt_u32_e32 vcc, v6, v23
	v_cndmask_b32_e32 v23, v25, v24, vcc
	v_add_u32_e32 v6, v23, v6
	v_mul_hi_u32 v24, v6, s31
	v_add_u32_e32 v23, -1, v6
	v_lshrrev_b32_e32 v24, 15, v24
	v_cvt_f32_u32_e32 v23, v23
	v_mul_u32_u24_e32 v25, 0xadc8, v24
	v_cvt_f32_u32_e32 v7, v7
	v_sub_u32_e32 v6, v6, v25
	v_mul_u32_u24_e32 v24, 0xd47, v24
	v_mul_lo_u32 v6, v6, s34
	v_xor_b32_e32 v25, 0x7fffffff, v24
	v_sub_u32_e32 v26, 0, v24
	v_cmp_lt_u32_e32 vcc, v6, v24
	v_fma_f32 v23, v23, s35, 0
	v_cndmask_b32_e32 v24, v26, v25, vcc
	v_fma_f32 v7, v7, s35, 0
	v_mul_f32_e32 v23, v23, v23
	v_add_u32_e32 v6, v24, v6
	v_fmac_f32_e32 v23, v7, v7
	v_mul_hi_u32 v24, v6, s31
	v_mul_f32_e32 v25, 0x4f800000, v23
	v_lshrrev_b32_e32 v24, 15, v24
	v_cmp_gt_f32_e32 vcc, s36, v23
	v_cndmask_b32_e32 v23, v23, v25, vcc
	v_mul_u32_u24_e32 v25, 0xadc8, v24
	v_add_u32_e32 v7, -1, v6
	v_sqrt_f32_e32 v26, v23
	v_sub_u32_e32 v6, v6, v25
	v_mul_u32_u24_e32 v24, 0xd47, v24
	v_mul_lo_u32 v6, v6, s34
	v_xor_b32_e32 v25, 0x7fffffff, v24
	v_sub_u32_e32 v27, 0, v24
	v_cmp_lt_u32_e64 s[26:27], v6, v24
	v_cndmask_b32_e64 v24, v27, v25, s[26:27]
	v_add_u32_e32 v6, v24, v6
	v_add_u32_e32 v24, -1, v26
	v_add_u32_e32 v25, 1, v26
	v_add_u32_e32 v27, -1, v6
	v_fma_f32 v28, -v24, v26, v23
	v_fma_f32 v29, -v25, v26, v23
	v_cvt_f32_u32_e32 v27, v27
	v_cmp_ge_f32_e64 s[26:27], 0, v28
	v_cvt_f32_u32_e32 v7, v7
	v_cndmask_b32_e64 v24, v26, v24, s[26:27]
	v_cmp_lt_f32_e64 s[26:27], 0, v29
	v_cndmask_b32_e64 v24, v24, v25, s[26:27]
	v_mul_f32_e32 v25, 0x37800000, v24
	v_cndmask_b32_e32 v24, v24, v25, vcc
	v_fma_f32 v25, v27, s35, 0
	v_cmp_class_f32_e32 vcc, v23, v4
	v_fma_f32 v7, v7, s35, 0
	v_cndmask_b32_e32 v23, v24, v23, vcc
	v_mul_f32_e32 v24, v25, v25
	v_add_f32_e32 v22, 1.0, v5
	v_cmp_nge_f32_e32 vcc, 1.0, v23
	v_fmac_f32_e32 v24, v7, v7
	v_cndmask_b32_e32 v5, v22, v5, vcc
	v_mul_f32_e32 v7, 0x4f800000, v24
	v_cmp_gt_f32_e32 vcc, s36, v24
	v_cndmask_b32_e32 v7, v24, v7, vcc
	v_sqrt_f32_e32 v23, v7
	s_add_i32 s30, s30, -2
	v_add_f32_e32 v22, 1.0, v5
	s_cmp_lg_u32 s30, 0
	v_add_u32_e32 v24, -1, v23
	v_add_u32_e32 v25, 1, v23
	v_fma_f32 v26, -v24, v23, v7
	v_fma_f32 v27, -v25, v23, v7
	v_cmp_ge_f32_e64 s[26:27], 0, v26
	v_cndmask_b32_e64 v23, v23, v24, s[26:27]
	v_cmp_lt_f32_e64 s[26:27], 0, v27
	v_cndmask_b32_e64 v23, v23, v25, s[26:27]
	v_mul_f32_e32 v24, 0x37800000, v23
	v_cndmask_b32_e32 v23, v23, v24, vcc
	v_cmp_class_f32_e32 vcc, v7, v4
	v_cndmask_b32_e32 v7, v23, v7, vcc
	v_cmp_nge_f32_e32 vcc, 1.0, v7
	v_cndmask_b32_e32 v5, v22, v5, vcc
	s_cbranch_scc1 .LBB29_959
; %bb.960:
	v_mul_f32_e32 v4, 4.0, v5
	s_mov_b32 s30, 0x459c4000
	v_div_scale_f32 v5, s[26:27], s30, s30, v4
	v_rcp_f32_e32 v6, v5
	v_fma_f32 v7, -v5, v6, 1.0
	v_fmac_f32_e32 v6, v7, v6
	v_div_scale_f32 v7, vcc, v4, s30, v4
	v_mul_f32_e32 v22, v7, v6
	v_fma_f32 v23, -v5, v22, v7
	v_fmac_f32_e32 v22, v23, v6
	v_fma_f32 v5, -v5, v22, v7
	v_div_fmas_f32 v5, v5, v6, v22
	v_div_fixup_f32 v22, v5, s30, v4
.LBB29_961:
	s_or_b64 exec, exec, s[28:29]
	v_add_u32_e32 v4, 0x580, v11
	v_cmp_lt_u32_e64 s[26:27], v4, v8
                                        ; implicit-def: $vgpr23
	s_and_saveexec_b64 s[30:31], s[26:27]
	s_cbranch_execz .LBB29_981
; %bb.962:
	v_add_u32_e32 v4, v9, v4
	s_movk_i32 s28, 0x1388
	v_mul_lo_u32 v4, v4, s28
	v_cmp_ne_u32_e32 vcc, 0, v4
	v_mov_b32_e32 v6, 1
	s_and_saveexec_b64 s[34:35], vcc
	s_cbranch_execz .LBB29_978
; %bb.963:
	v_mov_b32_e32 v6, 1
	v_mov_b32_e32 v5, 0
	s_mov_b64 s[38:39], 0xbc8f
	s_mov_b64 s[36:37], 0
	v_mov_b32_e32 v7, 0
	s_brev_b32 s42, -2
	s_mov_b32 s43, 0x7ffffffe
	v_mov_b32_e32 v23, 0xfffff800
	s_movk_i32 s44, 0x401
	s_branch .LBB29_965
.LBB29_964:                             ;   in Loop: Header=BB29_965 Depth=1
	s_or_b64 exec, exec, s[40:41]
	s_mul_i32 s28, s38, s39
	s_mul_hi_u32 s29, s38, s38
	s_add_i32 s29, s29, s28
	s_add_i32 s28, s29, s28
	s_add_u32 vcc_lo, 0x402, s44
	s_mul_i32 s29, s38, s38
	s_addc_u32 s38, 0, 0
	v_add_co_u32_e32 v26, vcc, vcc_lo, v23
	s_cmp_lg_u64 vcc, 0
	v_readfirstlane_b32 vcc_hi, v26
	s_addc_u32 s38, s38, 1
	s_mul_hi_u32 s39, vcc_hi, 0x80000001
	s_mul_i32 vcc_lo, s38, 0x80000001
	s_sub_i32 s39, s39, vcc_hi
	s_add_i32 s39, s39, vcc_lo
	s_mul_i32 s41, vcc_hi, 0x80000001
	s_mul_hi_u32 vcc_lo, vcc_hi, s39
	s_mul_i32 s40, vcc_hi, s39
	s_mul_hi_u32 vcc_hi, vcc_hi, s41
	s_add_u32 vcc_hi, vcc_hi, s40
	s_addc_u32 vcc_lo, 0, vcc_lo
	s_mul_hi_u32 s45, s38, s41
	s_mul_i32 s41, s38, s41
	s_add_u32 vcc_hi, vcc_hi, s41
	s_mul_hi_u32 s40, s38, s39
	s_addc_u32 vcc_lo, vcc_lo, s45
	s_addc_u32 vcc_hi, s40, 0
	s_mul_i32 s39, s38, s39
	s_add_u32 vcc_lo, vcc_lo, s39
	s_addc_u32 s39, 0, vcc_hi
	v_add_co_u32_e32 v26, vcc, vcc_lo, v26
	s_cmp_lg_u64 vcc, 0
	s_addc_u32 vcc_lo, s38, s39
	v_readfirstlane_b32 s39, v26
	s_mul_i32 s38, s29, vcc_lo
	s_mul_hi_u32 s40, s29, s39
	s_mul_hi_u32 vcc_hi, s29, vcc_lo
	s_add_u32 s38, s40, s38
	s_addc_u32 vcc_hi, 0, vcc_hi
	s_mul_hi_u32 s41, s28, s39
	s_mul_i32 s39, s28, s39
	s_add_u32 s38, s38, s39
	s_mul_hi_u32 s40, s28, vcc_lo
	s_addc_u32 vcc_hi, vcc_hi, s41
	s_addc_u32 s38, s40, 0
	s_mul_i32 vcc_lo, s28, vcc_lo
	s_add_u32 vcc_lo, vcc_hi, vcc_lo
	s_addc_u32 vcc_hi, 0, s38
	s_mul_hi_u32 s38, vcc_lo, 0x7fffffff
	s_mul_i32 vcc_lo, vcc_lo, 0x7fffffff
	s_mul_i32 vcc_hi, vcc_hi, 0x7fffffff
	v_mov_b32_e32 v26, vcc_lo
	s_add_i32 s38, s38, vcc_hi
	v_sub_co_u32_e32 v26, vcc, s29, v26
	s_cmp_lg_u64 vcc, 0
	s_subb_u32 s28, s28, s38
	v_subrev_co_u32_e32 v27, vcc, s42, v26
	s_cmp_lg_u64 vcc, 0
	s_subb_u32 s29, s28, 0
	v_subrev_co_u32_e32 v28, vcc, s42, v27
	s_cmp_lg_u64 vcc, 0
	s_subb_u32 vcc_lo, s29, 0
	v_readfirstlane_b32 vcc_hi, v27
	s_cmp_gt_u32 vcc_hi, 0x7ffffffe
	s_cselect_b32 s38, -1, 0
	s_cmp_eq_u32 s29, 0
	s_cselect_b32 s38, s38, -1
	s_cmp_lg_u32 s38, 0
	s_cselect_b32 s29, vcc_lo, s29
	v_readfirstlane_b32 vcc_lo, v28
	s_cselect_b32 vcc_lo, vcc_lo, vcc_hi
	v_readfirstlane_b32 vcc_hi, v26
	s_cmp_gt_u32 vcc_hi, 0x7ffffffe
	s_cselect_b32 s38, -1, 0
	s_cmp_eq_u32 s28, 0
	s_cselect_b32 s38, s38, -1
	s_cmp_lg_u32 s38, 0
	v_lshrrev_b64 v[24:25], 1, v[4:5]
	s_cselect_b32 s38, vcc_lo, vcc_hi
	v_cmp_gt_u64_e32 vcc, 2, v[4:5]
	s_cselect_b32 s39, s29, s28
	s_or_b64 s[36:37], vcc, s[36:37]
	v_pk_mov_b32 v[4:5], v[24:25], v[24:25] op_sel:[0,1]
	s_andn2_b64 exec, exec, s[36:37]
	s_cbranch_execz .LBB29_977
.LBB29_965:                             ; =>This Inner Loop Header: Depth=1
	v_and_b32_e32 v24, 1, v4
	v_cmp_eq_u32_e32 vcc, 1, v24
	s_and_saveexec_b64 s[40:41], vcc
	s_cbranch_execz .LBB29_964
; %bb.966:                              ;   in Loop: Header=BB29_965 Depth=1
	v_mul_lo_u32 v24, s39, v6
	v_mul_lo_u32 v25, s38, v7
	v_mad_u64_u32 v[6:7], s[28:29], s38, v6, 0
	s_add_u32 s28, 0x402, s44
	v_add3_u32 v7, v7, v25, v24
	s_addc_u32 s29, 0, 0
	v_add_co_u32_e32 v24, vcc, s28, v23
	s_cmp_lg_u64 vcc, 0
	v_readfirstlane_b32 vcc_lo, v24
	s_addc_u32 s28, s29, 1
	s_mul_hi_u32 vcc_hi, vcc_lo, 0x80000001
	s_mul_i32 s29, s28, 0x80000001
	s_sub_i32 vcc_hi, vcc_hi, vcc_lo
	s_add_i32 vcc_hi, vcc_hi, s29
	s_mul_i32 s46, vcc_lo, 0x80000001
	s_mul_hi_u32 s29, vcc_lo, vcc_hi
	s_mul_i32 s45, vcc_lo, vcc_hi
	s_mul_hi_u32 vcc_lo, vcc_lo, s46
	s_add_u32 vcc_lo, vcc_lo, s45
	s_addc_u32 s29, 0, s29
	s_mul_hi_u32 s47, s28, s46
	s_mul_i32 s46, s28, s46
	s_add_u32 vcc_lo, vcc_lo, s46
	s_mul_hi_u32 s45, s28, vcc_hi
	s_addc_u32 s29, s29, s47
	s_addc_u32 vcc_lo, s45, 0
	s_mul_i32 vcc_hi, s28, vcc_hi
	s_add_u32 s29, s29, vcc_hi
	s_addc_u32 s45, 0, vcc_lo
	v_add_co_u32_e32 v26, vcc, s29, v24
	s_cmp_lg_u64 vcc, 0
	s_addc_u32 s45, s28, s45
	v_mad_u64_u32 v[24:25], s[28:29], v6, s45, 0
	v_mul_hi_u32 v27, v6, v26
	v_add_co_u32_e32 v28, vcc, v27, v24
	v_addc_co_u32_e32 v29, vcc, 0, v25, vcc
	v_mad_u64_u32 v[26:27], s[28:29], v7, v26, 0
	v_add_co_u32_e32 v26, vcc, v28, v26
	v_mad_u64_u32 v[24:25], s[28:29], v7, s45, 0
	v_addc_co_u32_e32 v26, vcc, v29, v27, vcc
	v_addc_co_u32_e32 v25, vcc, 0, v25, vcc
	v_add_co_u32_e32 v24, vcc, v26, v24
	v_addc_co_u32_e32 v27, vcc, 0, v25, vcc
	v_mad_u64_u32 v[24:25], s[28:29], v24, s42, 0
	v_mov_b32_e32 v26, v25
	v_mad_u64_u32 v[26:27], s[28:29], v27, s42, v[26:27]
	v_sub_co_u32_e32 v6, vcc, v6, v24
	v_subb_co_u32_e32 v7, vcc, v7, v26, vcc
	v_subrev_co_u32_e32 v24, vcc, s42, v6
	v_subbrev_co_u32_e32 v25, vcc, 0, v7, vcc
	v_subrev_co_u32_e32 v26, vcc, s42, v24
	v_subbrev_co_u32_e32 v27, vcc, 0, v25, vcc
	v_cmp_lt_u32_e32 vcc, s43, v24
	v_cndmask_b32_e64 v28, 0, -1, vcc
	v_cmp_eq_u32_e32 vcc, 0, v25
	v_cndmask_b32_e32 v28, -1, v28, vcc
	v_cmp_ne_u32_e32 vcc, 0, v28
	v_cmp_lt_u32_e64 s[28:29], s43, v6
	v_cndmask_b32_e32 v25, v25, v27, vcc
	v_cndmask_b32_e64 v27, 0, -1, s[28:29]
	v_cmp_eq_u32_e64 s[28:29], 0, v7
	v_cndmask_b32_e64 v27, -1, v27, s[28:29]
	v_cmp_ne_u32_e64 s[28:29], 0, v27
	v_cndmask_b32_e32 v24, v24, v26, vcc
	v_cndmask_b32_e64 v7, v7, v25, s[28:29]
	v_cndmask_b32_e64 v6, v6, v24, s[28:29]
	s_branch .LBB29_964
.LBB29_967:
	s_or_b64 exec, exec, s[36:37]
	s_movk_i32 s28, 0x401
	s_add_u32 s28, 0x402, s28
	v_mov_b32_e32 v13, 0xfffff800
	s_addc_u32 s29, 0, 0
	v_add_co_u32_e32 v13, vcc, s28, v13
	s_cmp_lg_u64 vcc, 0
	v_readfirstlane_b32 vcc_lo, v13
	s_addc_u32 s28, s29, 1
	s_mul_hi_u32 vcc_hi, vcc_lo, 0x80000001
	s_mul_i32 s29, s28, 0x80000001
	s_sub_i32 vcc_hi, vcc_hi, vcc_lo
	s_add_i32 vcc_hi, vcc_hi, s29
	s_mul_i32 s37, vcc_lo, 0x80000001
	s_mul_hi_u32 s29, vcc_lo, vcc_hi
	s_mul_i32 s36, vcc_lo, vcc_hi
	s_mul_hi_u32 vcc_lo, vcc_lo, s37
	s_add_u32 vcc_lo, vcc_lo, s36
	s_addc_u32 s29, 0, s29
	s_mul_hi_u32 s38, s28, s37
	s_mul_i32 s37, s28, s37
	s_add_u32 vcc_lo, vcc_lo, s37
	s_mul_hi_u32 s36, s28, vcc_hi
	s_addc_u32 s29, s29, s38
	s_addc_u32 vcc_lo, s36, 0
	s_mul_i32 vcc_hi, s28, vcc_hi
	s_add_u32 s29, s29, vcc_hi
	s_addc_u32 s36, 0, vcc_lo
	v_add_co_u32_e32 v13, vcc, s29, v13
	s_cmp_lg_u64 vcc, 0
	s_addc_u32 s36, s28, s36
	v_mad_u64_u32 v[22:23], s[28:29], v24, s36, 0
	v_mul_hi_u32 v30, v24, v13
	v_add_co_u32_e32 v30, vcc, v30, v22
	v_addc_co_u32_e32 v34, vcc, 0, v23, vcc
	v_mad_u64_u32 v[32:33], s[28:29], v25, v13, 0
	v_add_co_u32_e32 v13, vcc, v30, v32
	v_mad_u64_u32 v[22:23], s[28:29], v25, s36, 0
	v_addc_co_u32_e32 v13, vcc, v34, v33, vcc
	v_addc_co_u32_e32 v23, vcc, 0, v23, vcc
	v_add_co_u32_e32 v13, vcc, v13, v22
	v_addc_co_u32_e32 v32, vcc, 0, v23, vcc
	s_brev_b32 vcc_lo, -2
	v_mad_u64_u32 v[22:23], s[28:29], v13, vcc_lo, 0
	v_mov_b32_e32 v30, v23
	v_mad_u64_u32 v[32:33], s[28:29], v32, vcc_lo, v[30:31]
	v_sub_co_u32_e32 v13, vcc, v24, v22
	v_subb_co_u32_e32 v22, vcc, v25, v32, vcc
	v_subrev_co_u32_e32 v23, vcc, 0x7fffffff, v13
	v_subbrev_co_u32_e32 v24, vcc, 0, v22, vcc
	s_mov_b32 s28, 0x7ffffffe
	v_cmp_lt_u32_e32 vcc, s28, v23
	v_cndmask_b32_e64 v25, 0, -1, vcc
	v_cmp_eq_u32_e32 vcc, 0, v24
	v_cndmask_b32_e32 v24, -1, v25, vcc
	v_add_u32_e32 v25, 0x80000001, v23
	v_cmp_ne_u32_e32 vcc, 0, v24
	v_cndmask_b32_e32 v23, v23, v25, vcc
	v_cmp_lt_u32_e32 vcc, s28, v13
	v_cndmask_b32_e64 v24, 0, -1, vcc
	v_cmp_eq_u32_e32 vcc, 0, v22
	v_cndmask_b32_e32 v22, -1, v24, vcc
	v_cmp_ne_u32_e32 vcc, 0, v22
	v_cndmask_b32_e32 v23, v13, v23, vcc
.LBB29_968:
	s_or_b64 exec, exec, s[34:35]
	s_movk_i32 s34, 0x1388
	v_mov_b32_e32 v22, 0
	s_mov_b32 s35, 0xbc8f1391
	s_mov_b32 s36, 0xbc8f
	s_brev_b32 s37, 12
	s_mov_b32 s38, 0xf800000
	v_mov_b32_e32 v13, 0x260
.LBB29_969:                             ; =>This Inner Loop Header: Depth=1
	v_mul_hi_u32 v24, v23, s35
	v_lshrrev_b32_e32 v24, 15, v24
	v_mul_u32_u24_e32 v30, 0xadc8, v24
	v_sub_u32_e32 v23, v23, v30
	v_mul_u32_u24_e32 v24, 0xd47, v24
	v_mul_lo_u32 v23, v23, s36
	v_xor_b32_e32 v30, 0x7fffffff, v24
	v_sub_u32_e32 v32, 0, v24
	v_cmp_lt_u32_e32 vcc, v23, v24
	v_cndmask_b32_e32 v24, v32, v30, vcc
	v_add_u32_e32 v23, v24, v23
	v_mul_hi_u32 v30, v23, s35
	v_lshrrev_b32_e32 v30, 15, v30
	v_mul_u32_u24_e32 v32, 0xadc8, v30
	v_add_u32_e32 v24, -1, v23
	v_sub_u32_e32 v23, v23, v32
	v_mul_u32_u24_e32 v30, 0xd47, v30
	v_mul_lo_u32 v23, v23, s36
	v_xor_b32_e32 v32, 0x7fffffff, v30
	v_sub_u32_e32 v33, 0, v30
	v_cmp_lt_u32_e32 vcc, v23, v30
	v_cndmask_b32_e32 v30, v33, v32, vcc
	v_add_u32_e32 v23, v30, v23
	v_mul_hi_u32 v32, v23, s35
	v_add_u32_e32 v30, -1, v23
	v_lshrrev_b32_e32 v32, 15, v32
	v_cvt_f32_u32_e32 v30, v30
	v_mul_u32_u24_e32 v33, 0xadc8, v32
	v_cvt_f32_u32_e32 v24, v24
	v_sub_u32_e32 v23, v23, v33
	v_mul_u32_u24_e32 v32, 0xd47, v32
	v_mul_lo_u32 v23, v23, s36
	v_xor_b32_e32 v33, 0x7fffffff, v32
	v_sub_u32_e32 v34, 0, v32
	v_cmp_lt_u32_e32 vcc, v23, v32
	v_fma_f32 v30, v30, s37, 0
	v_cndmask_b32_e32 v32, v34, v33, vcc
	v_fma_f32 v24, v24, s37, 0
	v_mul_f32_e32 v30, v30, v30
	v_add_u32_e32 v23, v32, v23
	v_fmac_f32_e32 v30, v24, v24
	v_mul_hi_u32 v32, v23, s35
	v_mul_f32_e32 v33, 0x4f800000, v30
	v_lshrrev_b32_e32 v32, 15, v32
	v_cmp_gt_f32_e32 vcc, s38, v30
	v_cndmask_b32_e32 v30, v30, v33, vcc
	v_mul_u32_u24_e32 v33, 0xadc8, v32
	v_add_u32_e32 v24, -1, v23
	v_sqrt_f32_e32 v34, v30
	v_sub_u32_e32 v23, v23, v33
	v_mul_u32_u24_e32 v32, 0xd47, v32
	v_mul_lo_u32 v23, v23, s36
	v_xor_b32_e32 v33, 0x7fffffff, v32
	v_sub_u32_e32 v35, 0, v32
	v_cmp_lt_u32_e64 s[28:29], v23, v32
	v_cndmask_b32_e64 v32, v35, v33, s[28:29]
	v_add_u32_e32 v23, v32, v23
	v_add_u32_e32 v32, -1, v34
	v_add_u32_e32 v33, 1, v34
	v_add_u32_e32 v35, -1, v23
	v_fma_f32 v36, -v32, v34, v30
	v_fma_f32 v37, -v33, v34, v30
	v_cvt_f32_u32_e32 v35, v35
	v_cmp_ge_f32_e64 s[28:29], 0, v36
	v_cvt_f32_u32_e32 v24, v24
	v_cndmask_b32_e64 v32, v34, v32, s[28:29]
	v_cmp_lt_f32_e64 s[28:29], 0, v37
	v_cndmask_b32_e64 v32, v32, v33, s[28:29]
	v_mul_f32_e32 v33, 0x37800000, v32
	v_cndmask_b32_e32 v32, v32, v33, vcc
	v_fma_f32 v33, v35, s37, 0
	v_cmp_class_f32_e32 vcc, v30, v13
	v_fma_f32 v24, v24, s37, 0
	v_cndmask_b32_e32 v30, v32, v30, vcc
	v_mul_f32_e32 v32, v33, v33
	v_add_f32_e32 v25, 1.0, v22
	v_cmp_nge_f32_e32 vcc, 1.0, v30
	v_fmac_f32_e32 v32, v24, v24
	v_cndmask_b32_e32 v22, v25, v22, vcc
	v_mul_f32_e32 v24, 0x4f800000, v32
	v_cmp_gt_f32_e32 vcc, s38, v32
	v_cndmask_b32_e32 v24, v32, v24, vcc
	v_sqrt_f32_e32 v30, v24
	s_add_i32 s34, s34, -2
	v_add_f32_e32 v25, 1.0, v22
	s_cmp_lg_u32 s34, 0
	v_add_u32_e32 v32, -1, v30
	v_add_u32_e32 v33, 1, v30
	v_fma_f32 v34, -v32, v30, v24
	v_fma_f32 v35, -v33, v30, v24
	v_cmp_ge_f32_e64 s[28:29], 0, v34
	v_cndmask_b32_e64 v30, v30, v32, s[28:29]
	v_cmp_lt_f32_e64 s[28:29], 0, v35
	v_cndmask_b32_e64 v30, v30, v33, s[28:29]
	v_mul_f32_e32 v32, 0x37800000, v30
	v_cndmask_b32_e32 v30, v30, v32, vcc
	v_cmp_class_f32_e32 vcc, v24, v13
	v_cndmask_b32_e32 v24, v30, v24, vcc
	v_cmp_nge_f32_e32 vcc, 1.0, v24
	v_cndmask_b32_e32 v22, v25, v22, vcc
	s_cbranch_scc1 .LBB29_969
; %bb.970:
	v_mul_f32_e32 v13, 4.0, v22
	s_mov_b32 s34, 0x459c4000
	v_div_scale_f32 v22, s[28:29], s34, s34, v13
	v_rcp_f32_e32 v23, v22
	v_fma_f32 v24, -v22, v23, 1.0
	v_fmac_f32_e32 v23, v24, v23
	v_div_scale_f32 v24, vcc, v13, s34, v13
	v_mul_f32_e32 v25, v24, v23
	v_fma_f32 v30, -v22, v25, v24
	v_fmac_f32_e32 v25, v30, v23
	v_fma_f32 v22, -v22, v25, v24
	v_div_fmas_f32 v22, v22, v23, v25
	v_div_fixup_f32 v13, v22, s34, v13
.LBB29_971:
	s_or_b64 exec, exec, s[30:31]
	v_add_u32_e32 v22, 0x600, v27
	v_cmp_lt_u32_e64 s[28:29], v22, v28
	s_and_saveexec_b64 s[34:35], s[28:29]
	s_cbranch_execz .LBB29_991
; %bb.972:
	v_add_u32_e32 v14, v29, v22
	s_movk_i32 vcc_lo, 0x1388
	v_mul_lo_u32 v22, v14, vcc_lo
	v_cmp_ne_u32_e32 vcc, 0, v22
	v_mov_b32_e32 v23, 1
	s_and_saveexec_b64 s[36:37], vcc
	s_cbranch_execz .LBB29_988
; %bb.973:
	v_mov_b32_e32 v24, 1
	v_mov_b32_e32 v23, 0
	s_mov_b64 s[44:45], 0xbc8f
	s_mov_b64 s[38:39], 0
	v_mov_b32_e32 v25, 0
	s_brev_b32 s48, -2
	s_mov_b32 s49, 0x7ffffffe
	v_mov_b32_e32 v14, 0xfffff800
	s_movk_i32 s50, 0x401
	s_branch .LBB29_975
.LBB29_974:                             ;   in Loop: Header=BB29_975 Depth=1
	s_or_b64 exec, exec, s[46:47]
	s_mul_i32 vcc_lo, s44, s45
	s_mul_hi_u32 vcc_hi, s44, s44
	s_add_i32 vcc_hi, vcc_hi, vcc_lo
	s_add_i32 s30, vcc_hi, vcc_lo
	s_add_u32 vcc_lo, 0x402, s50
	s_mul_i32 s31, s44, s44
	s_addc_u32 s44, 0, 0
	v_add_co_u32_e32 v30, vcc, vcc_lo, v14
	s_cmp_lg_u64 vcc, 0
	v_readfirstlane_b32 vcc_hi, v30
	s_addc_u32 s44, s44, 1
	s_mul_hi_u32 s45, vcc_hi, 0x80000001
	s_mul_i32 vcc_lo, s44, 0x80000001
	s_sub_i32 s45, s45, vcc_hi
	s_add_i32 s45, s45, vcc_lo
	s_mul_i32 s47, vcc_hi, 0x80000001
	s_mul_hi_u32 vcc_lo, vcc_hi, s45
	s_mul_i32 s46, vcc_hi, s45
	s_mul_hi_u32 vcc_hi, vcc_hi, s47
	s_add_u32 vcc_hi, vcc_hi, s46
	s_addc_u32 vcc_lo, 0, vcc_lo
	s_mul_hi_u32 s51, s44, s47
	s_mul_i32 s47, s44, s47
	s_add_u32 vcc_hi, vcc_hi, s47
	s_mul_hi_u32 s46, s44, s45
	s_addc_u32 vcc_lo, vcc_lo, s51
	s_addc_u32 vcc_hi, s46, 0
	s_mul_i32 s45, s44, s45
	s_add_u32 vcc_lo, vcc_lo, s45
	s_addc_u32 s45, 0, vcc_hi
	v_add_co_u32_e32 v30, vcc, vcc_lo, v30
	s_cmp_lg_u64 vcc, 0
	s_addc_u32 vcc_lo, s44, s45
	v_readfirstlane_b32 s45, v30
	s_mul_i32 s44, s31, vcc_lo
	s_mul_hi_u32 s46, s31, s45
	s_mul_hi_u32 vcc_hi, s31, vcc_lo
	s_add_u32 s44, s46, s44
	s_addc_u32 vcc_hi, 0, vcc_hi
	s_mul_hi_u32 s47, s30, s45
	s_mul_i32 s45, s30, s45
	s_add_u32 s44, s44, s45
	s_mul_hi_u32 s46, s30, vcc_lo
	s_addc_u32 vcc_hi, vcc_hi, s47
	s_addc_u32 s44, s46, 0
	s_mul_i32 vcc_lo, s30, vcc_lo
	s_add_u32 vcc_lo, vcc_hi, vcc_lo
	s_addc_u32 vcc_hi, 0, s44
	s_mul_hi_u32 s44, vcc_lo, 0x7fffffff
	s_mul_i32 vcc_lo, vcc_lo, 0x7fffffff
	s_mul_i32 vcc_hi, vcc_hi, 0x7fffffff
	v_mov_b32_e32 v30, vcc_lo
	s_add_i32 s44, s44, vcc_hi
	v_sub_co_u32_e32 v30, vcc, s31, v30
	s_cmp_lg_u64 vcc, 0
	s_subb_u32 s30, s30, s44
	v_subrev_co_u32_e32 v34, vcc, s48, v30
	s_cmp_lg_u64 vcc, 0
	s_subb_u32 s31, s30, 0
	v_subrev_co_u32_e32 v35, vcc, s48, v34
	s_cmp_lg_u64 vcc, 0
	s_subb_u32 vcc_lo, s31, 0
	v_readfirstlane_b32 vcc_hi, v34
	s_cmp_gt_u32 vcc_hi, 0x7ffffffe
	s_cselect_b32 s44, -1, 0
	s_cmp_eq_u32 s31, 0
	s_cselect_b32 s44, s44, -1
	s_cmp_lg_u32 s44, 0
	s_cselect_b32 vcc_lo, vcc_lo, s31
	v_readfirstlane_b32 s31, v35
	s_cselect_b32 vcc_hi, s31, vcc_hi
	v_readfirstlane_b32 s31, v30
	s_cmp_gt_u32 s31, 0x7ffffffe
	s_cselect_b32 s44, -1, 0
	s_cmp_eq_u32 s30, 0
	s_cselect_b32 s44, s44, -1
	s_cmp_lg_u32 s44, 0
	v_lshrrev_b64 v[32:33], 1, v[22:23]
	s_cselect_b32 s45, vcc_lo, s30
	s_cselect_b32 s44, vcc_hi, s31
	v_cmp_gt_u64_e32 vcc, 2, v[22:23]
	s_or_b64 s[38:39], vcc, s[38:39]
	v_pk_mov_b32 v[22:23], v[32:33], v[32:33] op_sel:[0,1]
	s_andn2_b64 exec, exec, s[38:39]
	s_cbranch_execz .LBB29_987
.LBB29_975:                             ; =>This Inner Loop Header: Depth=1
	v_and_b32_e32 v30, 1, v22
	v_cmp_eq_u32_e32 vcc, 1, v30
	s_and_saveexec_b64 s[46:47], vcc
	s_cbranch_execz .LBB29_974
; %bb.976:                              ;   in Loop: Header=BB29_975 Depth=1
	v_mul_lo_u32 v30, s45, v24
	v_mul_lo_u32 v32, s44, v25
	v_mad_u64_u32 v[24:25], vcc, s44, v24, 0
	s_add_u32 vcc_lo, 0x402, s50
	v_add3_u32 v25, v25, v32, v30
	s_addc_u32 s30, 0, 0
	v_add_co_u32_e32 v30, vcc, vcc_lo, v14
	s_cmp_lg_u64 vcc, 0
	v_readfirstlane_b32 vcc_hi, v30
	s_addc_u32 s30, s30, 1
	s_mul_hi_u32 s31, vcc_hi, 0x80000001
	s_mul_i32 vcc_lo, s30, 0x80000001
	s_sub_i32 s31, s31, vcc_hi
	s_add_i32 s31, s31, vcc_lo
	s_mul_i32 s52, vcc_hi, 0x80000001
	s_mul_hi_u32 vcc_lo, vcc_hi, s31
	s_mul_i32 s51, vcc_hi, s31
	s_mul_hi_u32 vcc_hi, vcc_hi, s52
	s_add_u32 vcc_hi, vcc_hi, s51
	s_addc_u32 vcc_lo, 0, vcc_lo
	s_mul_hi_u32 s53, s30, s52
	s_mul_i32 s52, s30, s52
	s_add_u32 vcc_hi, vcc_hi, s52
	s_mul_hi_u32 s51, s30, s31
	s_addc_u32 vcc_lo, vcc_lo, s53
	s_addc_u32 vcc_hi, s51, 0
	s_mul_i32 s31, s30, s31
	s_add_u32 vcc_lo, vcc_lo, s31
	s_addc_u32 s31, 0, vcc_hi
	v_add_co_u32_e32 v30, vcc, vcc_lo, v30
	s_cmp_lg_u64 vcc, 0
	s_addc_u32 s30, s30, s31
	v_mad_u64_u32 v[32:33], vcc, v24, s30, 0
	v_mul_hi_u32 v34, v24, v30
	v_add_co_u32_e32 v36, vcc, v34, v32
	v_addc_co_u32_e32 v37, vcc, 0, v33, vcc
	v_mad_u64_u32 v[32:33], vcc, v25, s30, 0
	v_mad_u64_u32 v[34:35], vcc, v25, v30, 0
	v_add_co_u32_e32 v30, vcc, v36, v34
	v_addc_co_u32_e32 v30, vcc, v37, v35, vcc
	v_addc_co_u32_e32 v33, vcc, 0, v33, vcc
	v_add_co_u32_e32 v30, vcc, v30, v32
	v_addc_co_u32_e32 v34, vcc, 0, v33, vcc
	v_mad_u64_u32 v[32:33], vcc, v30, s48, 0
	v_mov_b32_e32 v30, v33
	v_mad_u64_u32 v[34:35], vcc, v34, s48, v[30:31]
	v_sub_co_u32_e32 v24, vcc, v24, v32
	v_subb_co_u32_e32 v25, vcc, v25, v34, vcc
	v_subrev_co_u32_e32 v30, vcc, s48, v24
	v_subbrev_co_u32_e32 v32, vcc, 0, v25, vcc
	v_subrev_co_u32_e32 v33, vcc, s48, v30
	v_subbrev_co_u32_e32 v34, vcc, 0, v32, vcc
	v_cmp_lt_u32_e32 vcc, s49, v30
	v_cndmask_b32_e64 v35, 0, -1, vcc
	v_cmp_eq_u32_e32 vcc, 0, v32
	v_cndmask_b32_e32 v35, -1, v35, vcc
	v_cmp_ne_u32_e32 vcc, 0, v35
	v_cmp_lt_u32_e64 s[30:31], s49, v24
	v_cndmask_b32_e32 v32, v32, v34, vcc
	v_cndmask_b32_e64 v34, 0, -1, s[30:31]
	v_cmp_eq_u32_e64 s[30:31], 0, v25
	v_cndmask_b32_e64 v34, -1, v34, s[30:31]
	v_cmp_ne_u32_e64 s[30:31], 0, v34
	v_cndmask_b32_e32 v30, v30, v33, vcc
	v_cndmask_b32_e64 v25, v25, v32, s[30:31]
	v_cndmask_b32_e64 v24, v24, v30, s[30:31]
	s_branch .LBB29_974
.LBB29_977:
	s_or_b64 exec, exec, s[36:37]
	s_movk_i32 s28, 0x401
	s_add_u32 s28, 0x402, s28
	v_mov_b32_e32 v4, 0xfffff800
	s_addc_u32 s29, 0, 0
	v_add_co_u32_e32 v4, vcc, s28, v4
	s_cmp_lg_u64 vcc, 0
	v_readfirstlane_b32 vcc_lo, v4
	s_addc_u32 s28, s29, 1
	s_mul_hi_u32 vcc_hi, vcc_lo, 0x80000001
	s_mul_i32 s29, s28, 0x80000001
	s_sub_i32 vcc_hi, vcc_hi, vcc_lo
	s_add_i32 vcc_hi, vcc_hi, s29
	s_mul_i32 s37, vcc_lo, 0x80000001
	s_mul_hi_u32 s29, vcc_lo, vcc_hi
	s_mul_i32 s36, vcc_lo, vcc_hi
	s_mul_hi_u32 vcc_lo, vcc_lo, s37
	s_add_u32 vcc_lo, vcc_lo, s36
	s_addc_u32 s29, 0, s29
	s_mul_hi_u32 s38, s28, s37
	s_mul_i32 s37, s28, s37
	s_add_u32 vcc_lo, vcc_lo, s37
	s_mul_hi_u32 s36, s28, vcc_hi
	s_addc_u32 s29, s29, s38
	s_addc_u32 vcc_lo, s36, 0
	s_mul_i32 vcc_hi, s28, vcc_hi
	s_add_u32 s29, s29, vcc_hi
	s_addc_u32 s36, 0, vcc_lo
	v_add_co_u32_e32 v23, vcc, s29, v4
	s_cmp_lg_u64 vcc, 0
	s_addc_u32 s36, s28, s36
	v_mad_u64_u32 v[4:5], s[28:29], v6, s36, 0
	v_mul_hi_u32 v24, v6, v23
	v_add_co_u32_e32 v26, vcc, v24, v4
	v_addc_co_u32_e32 v27, vcc, 0, v5, vcc
	v_mad_u64_u32 v[24:25], s[28:29], v7, v23, 0
	v_add_co_u32_e32 v23, vcc, v26, v24
	v_mad_u64_u32 v[4:5], s[28:29], v7, s36, 0
	v_addc_co_u32_e32 v23, vcc, v27, v25, vcc
	v_addc_co_u32_e32 v5, vcc, 0, v5, vcc
	v_add_co_u32_e32 v4, vcc, v23, v4
	v_addc_co_u32_e32 v23, vcc, 0, v5, vcc
	s_brev_b32 vcc_lo, -2
	v_mad_u64_u32 v[4:5], s[28:29], v4, vcc_lo, 0
	v_mov_b32_e32 v24, v5
	v_mad_u64_u32 v[24:25], s[28:29], v23, vcc_lo, v[24:25]
	v_sub_co_u32_e32 v4, vcc, v6, v4
	v_subb_co_u32_e32 v5, vcc, v7, v24, vcc
	v_subrev_co_u32_e32 v6, vcc, 0x7fffffff, v4
	v_subbrev_co_u32_e32 v7, vcc, 0, v5, vcc
	s_mov_b32 s28, 0x7ffffffe
	v_cmp_lt_u32_e32 vcc, s28, v6
	v_cndmask_b32_e64 v23, 0, -1, vcc
	v_cmp_eq_u32_e32 vcc, 0, v7
	v_cndmask_b32_e32 v7, -1, v23, vcc
	v_add_u32_e32 v23, 0x80000001, v6
	v_cmp_ne_u32_e32 vcc, 0, v7
	v_cndmask_b32_e32 v6, v6, v23, vcc
	v_cmp_lt_u32_e32 vcc, s28, v4
	v_cndmask_b32_e64 v7, 0, -1, vcc
	v_cmp_eq_u32_e32 vcc, 0, v5
	v_cndmask_b32_e32 v5, -1, v7, vcc
	v_cmp_ne_u32_e32 vcc, 0, v5
	v_cndmask_b32_e32 v6, v4, v6, vcc
.LBB29_978:
	s_or_b64 exec, exec, s[34:35]
	s_movk_i32 s34, 0x1388
	v_mov_b32_e32 v5, 0
	s_mov_b32 s35, 0xbc8f1391
	s_mov_b32 s36, 0xbc8f
	s_brev_b32 s37, 12
	s_mov_b32 s38, 0xf800000
	v_mov_b32_e32 v4, 0x260
.LBB29_979:                             ; =>This Inner Loop Header: Depth=1
	v_mul_hi_u32 v7, v6, s35
	v_lshrrev_b32_e32 v7, 15, v7
	v_mul_u32_u24_e32 v24, 0xadc8, v7
	v_sub_u32_e32 v6, v6, v24
	v_mul_u32_u24_e32 v7, 0xd47, v7
	v_mul_lo_u32 v6, v6, s36
	v_xor_b32_e32 v24, 0x7fffffff, v7
	v_sub_u32_e32 v25, 0, v7
	v_cmp_lt_u32_e32 vcc, v6, v7
	v_cndmask_b32_e32 v7, v25, v24, vcc
	v_add_u32_e32 v6, v7, v6
	v_mul_hi_u32 v24, v6, s35
	v_lshrrev_b32_e32 v24, 15, v24
	v_mul_u32_u24_e32 v25, 0xadc8, v24
	v_add_u32_e32 v7, -1, v6
	v_sub_u32_e32 v6, v6, v25
	v_mul_u32_u24_e32 v24, 0xd47, v24
	v_mul_lo_u32 v6, v6, s36
	v_xor_b32_e32 v25, 0x7fffffff, v24
	v_sub_u32_e32 v26, 0, v24
	v_cmp_lt_u32_e32 vcc, v6, v24
	v_cndmask_b32_e32 v24, v26, v25, vcc
	v_add_u32_e32 v6, v24, v6
	v_mul_hi_u32 v25, v6, s35
	v_add_u32_e32 v24, -1, v6
	v_lshrrev_b32_e32 v25, 15, v25
	v_cvt_f32_u32_e32 v24, v24
	v_mul_u32_u24_e32 v26, 0xadc8, v25
	v_cvt_f32_u32_e32 v7, v7
	v_sub_u32_e32 v6, v6, v26
	v_mul_u32_u24_e32 v25, 0xd47, v25
	v_mul_lo_u32 v6, v6, s36
	v_xor_b32_e32 v26, 0x7fffffff, v25
	v_sub_u32_e32 v27, 0, v25
	v_cmp_lt_u32_e32 vcc, v6, v25
	v_fma_f32 v24, v24, s37, 0
	v_cndmask_b32_e32 v25, v27, v26, vcc
	v_fma_f32 v7, v7, s37, 0
	v_mul_f32_e32 v24, v24, v24
	v_add_u32_e32 v6, v25, v6
	v_fmac_f32_e32 v24, v7, v7
	v_mul_hi_u32 v25, v6, s35
	v_mul_f32_e32 v26, 0x4f800000, v24
	v_lshrrev_b32_e32 v25, 15, v25
	v_cmp_gt_f32_e32 vcc, s38, v24
	v_cndmask_b32_e32 v24, v24, v26, vcc
	v_mul_u32_u24_e32 v26, 0xadc8, v25
	v_add_u32_e32 v7, -1, v6
	v_sqrt_f32_e32 v27, v24
	v_sub_u32_e32 v6, v6, v26
	v_mul_u32_u24_e32 v25, 0xd47, v25
	v_mul_lo_u32 v6, v6, s36
	v_xor_b32_e32 v26, 0x7fffffff, v25
	v_sub_u32_e32 v28, 0, v25
	v_cmp_lt_u32_e64 s[28:29], v6, v25
	v_cndmask_b32_e64 v25, v28, v26, s[28:29]
	v_add_u32_e32 v6, v25, v6
	v_add_u32_e32 v25, -1, v27
	v_add_u32_e32 v26, 1, v27
	v_add_u32_e32 v28, -1, v6
	v_fma_f32 v29, -v25, v27, v24
	v_fma_f32 v30, -v26, v27, v24
	v_cvt_f32_u32_e32 v28, v28
	v_cmp_ge_f32_e64 s[28:29], 0, v29
	v_cvt_f32_u32_e32 v7, v7
	v_cndmask_b32_e64 v25, v27, v25, s[28:29]
	v_cmp_lt_f32_e64 s[28:29], 0, v30
	v_cndmask_b32_e64 v25, v25, v26, s[28:29]
	v_mul_f32_e32 v26, 0x37800000, v25
	v_cndmask_b32_e32 v25, v25, v26, vcc
	v_fma_f32 v26, v28, s37, 0
	v_cmp_class_f32_e32 vcc, v24, v4
	v_fma_f32 v7, v7, s37, 0
	v_cndmask_b32_e32 v24, v25, v24, vcc
	v_mul_f32_e32 v25, v26, v26
	v_add_f32_e32 v23, 1.0, v5
	v_cmp_nge_f32_e32 vcc, 1.0, v24
	v_fmac_f32_e32 v25, v7, v7
	v_cndmask_b32_e32 v5, v23, v5, vcc
	v_mul_f32_e32 v7, 0x4f800000, v25
	v_cmp_gt_f32_e32 vcc, s38, v25
	v_cndmask_b32_e32 v7, v25, v7, vcc
	v_sqrt_f32_e32 v24, v7
	s_add_i32 s34, s34, -2
	v_add_f32_e32 v23, 1.0, v5
	s_cmp_lg_u32 s34, 0
	v_add_u32_e32 v25, -1, v24
	v_add_u32_e32 v26, 1, v24
	v_fma_f32 v27, -v25, v24, v7
	v_fma_f32 v28, -v26, v24, v7
	v_cmp_ge_f32_e64 s[28:29], 0, v27
	v_cndmask_b32_e64 v24, v24, v25, s[28:29]
	v_cmp_lt_f32_e64 s[28:29], 0, v28
	v_cndmask_b32_e64 v24, v24, v26, s[28:29]
	v_mul_f32_e32 v25, 0x37800000, v24
	v_cndmask_b32_e32 v24, v24, v25, vcc
	v_cmp_class_f32_e32 vcc, v7, v4
	v_cndmask_b32_e32 v7, v24, v7, vcc
	v_cmp_nge_f32_e32 vcc, 1.0, v7
	v_cndmask_b32_e32 v5, v23, v5, vcc
	s_cbranch_scc1 .LBB29_979
; %bb.980:
	v_mul_f32_e32 v4, 4.0, v5
	s_mov_b32 s34, 0x459c4000
	v_div_scale_f32 v5, s[28:29], s34, s34, v4
	v_rcp_f32_e32 v6, v5
	v_fma_f32 v7, -v5, v6, 1.0
	v_fmac_f32_e32 v6, v7, v6
	v_div_scale_f32 v7, vcc, v4, s34, v4
	v_mul_f32_e32 v23, v7, v6
	v_fma_f32 v24, -v5, v23, v7
	v_fmac_f32_e32 v23, v24, v6
	v_fma_f32 v5, -v5, v23, v7
	v_div_fmas_f32 v5, v5, v6, v23
	v_div_fixup_f32 v23, v5, s34, v4
.LBB29_981:
	s_or_b64 exec, exec, s[30:31]
	v_add_u32_e32 v4, 0x600, v11
	v_cmp_lt_u32_e64 s[28:29], v4, v8
                                        ; implicit-def: $vgpr24
	s_and_saveexec_b64 s[34:35], s[28:29]
	s_cbranch_execz .LBB29_1001
; %bb.982:
	v_add_u32_e32 v4, v9, v4
	s_movk_i32 vcc_lo, 0x1388
	v_mul_lo_u32 v4, v4, vcc_lo
	v_cmp_ne_u32_e32 vcc, 0, v4
	v_mov_b32_e32 v6, 1
	s_and_saveexec_b64 s[36:37], vcc
	s_cbranch_execz .LBB29_998
; %bb.983:
	v_mov_b32_e32 v6, 1
	v_mov_b32_e32 v5, 0
	s_mov_b64 s[40:41], 0xbc8f
	s_mov_b64 s[38:39], 0
	v_mov_b32_e32 v7, 0
	s_brev_b32 s44, -2
	s_mov_b32 s45, 0x7ffffffe
	v_mov_b32_e32 v24, 0xfffff800
	s_movk_i32 s46, 0x401
	s_branch .LBB29_985
.LBB29_984:                             ;   in Loop: Header=BB29_985 Depth=1
	s_or_b64 exec, exec, s[42:43]
	s_mul_i32 vcc_lo, s40, s41
	s_mul_hi_u32 vcc_hi, s40, s40
	s_add_i32 vcc_hi, vcc_hi, vcc_lo
	s_add_i32 s30, vcc_hi, vcc_lo
	s_add_u32 vcc_lo, 0x402, s46
	s_mul_i32 s31, s40, s40
	s_addc_u32 s40, 0, 0
	v_add_co_u32_e32 v25, vcc, vcc_lo, v24
	s_cmp_lg_u64 vcc, 0
	v_readfirstlane_b32 vcc_hi, v25
	s_addc_u32 s40, s40, 1
	s_mul_hi_u32 s41, vcc_hi, 0x80000001
	s_mul_i32 vcc_lo, s40, 0x80000001
	s_sub_i32 s41, s41, vcc_hi
	s_add_i32 s41, s41, vcc_lo
	s_mul_i32 s43, vcc_hi, 0x80000001
	s_mul_hi_u32 vcc_lo, vcc_hi, s41
	s_mul_i32 s42, vcc_hi, s41
	s_mul_hi_u32 vcc_hi, vcc_hi, s43
	s_add_u32 vcc_hi, vcc_hi, s42
	s_addc_u32 vcc_lo, 0, vcc_lo
	s_mul_hi_u32 s47, s40, s43
	s_mul_i32 s43, s40, s43
	s_add_u32 vcc_hi, vcc_hi, s43
	s_mul_hi_u32 s42, s40, s41
	s_addc_u32 vcc_lo, vcc_lo, s47
	s_addc_u32 vcc_hi, s42, 0
	s_mul_i32 s41, s40, s41
	s_add_u32 vcc_lo, vcc_lo, s41
	s_addc_u32 s41, 0, vcc_hi
	v_add_co_u32_e32 v25, vcc, vcc_lo, v25
	s_cmp_lg_u64 vcc, 0
	s_addc_u32 vcc_lo, s40, s41
	v_readfirstlane_b32 s41, v25
	s_mul_i32 s40, s31, vcc_lo
	s_mul_hi_u32 s42, s31, s41
	s_mul_hi_u32 vcc_hi, s31, vcc_lo
	s_add_u32 s40, s42, s40
	s_addc_u32 vcc_hi, 0, vcc_hi
	s_mul_hi_u32 s43, s30, s41
	s_mul_i32 s41, s30, s41
	s_add_u32 s40, s40, s41
	s_mul_hi_u32 s42, s30, vcc_lo
	s_addc_u32 vcc_hi, vcc_hi, s43
	s_addc_u32 s40, s42, 0
	s_mul_i32 vcc_lo, s30, vcc_lo
	s_add_u32 vcc_lo, vcc_hi, vcc_lo
	s_addc_u32 vcc_hi, 0, s40
	s_mul_hi_u32 s40, vcc_lo, 0x7fffffff
	s_mul_i32 vcc_lo, vcc_lo, 0x7fffffff
	s_mul_i32 vcc_hi, vcc_hi, 0x7fffffff
	v_mov_b32_e32 v25, vcc_lo
	s_add_i32 s40, s40, vcc_hi
	v_sub_co_u32_e32 v25, vcc, s31, v25
	s_cmp_lg_u64 vcc, 0
	s_subb_u32 s30, s30, s40
	v_subrev_co_u32_e32 v28, vcc, s44, v25
	s_cmp_lg_u64 vcc, 0
	s_subb_u32 s31, s30, 0
	v_subrev_co_u32_e32 v29, vcc, s44, v28
	s_cmp_lg_u64 vcc, 0
	s_subb_u32 vcc_lo, s31, 0
	v_readfirstlane_b32 vcc_hi, v28
	s_cmp_gt_u32 vcc_hi, 0x7ffffffe
	s_cselect_b32 s40, -1, 0
	s_cmp_eq_u32 s31, 0
	s_cselect_b32 s40, s40, -1
	s_cmp_lg_u32 s40, 0
	s_cselect_b32 vcc_lo, vcc_lo, s31
	v_readfirstlane_b32 s31, v29
	s_cselect_b32 vcc_hi, s31, vcc_hi
	v_readfirstlane_b32 s31, v25
	s_cmp_gt_u32 s31, 0x7ffffffe
	s_cselect_b32 s40, -1, 0
	s_cmp_eq_u32 s30, 0
	s_cselect_b32 s40, s40, -1
	s_cmp_lg_u32 s40, 0
	v_lshrrev_b64 v[26:27], 1, v[4:5]
	s_cselect_b32 s41, vcc_lo, s30
	s_cselect_b32 s40, vcc_hi, s31
	v_cmp_gt_u64_e32 vcc, 2, v[4:5]
	s_or_b64 s[38:39], vcc, s[38:39]
	v_pk_mov_b32 v[4:5], v[26:27], v[26:27] op_sel:[0,1]
	s_andn2_b64 exec, exec, s[38:39]
	s_cbranch_execz .LBB29_997
.LBB29_985:                             ; =>This Inner Loop Header: Depth=1
	v_and_b32_e32 v25, 1, v4
	v_cmp_eq_u32_e32 vcc, 1, v25
	s_and_saveexec_b64 s[42:43], vcc
	s_cbranch_execz .LBB29_984
; %bb.986:                              ;   in Loop: Header=BB29_985 Depth=1
	v_mul_lo_u32 v25, s41, v6
	v_mul_lo_u32 v26, s40, v7
	v_mad_u64_u32 v[6:7], vcc, s40, v6, 0
	s_add_u32 vcc_lo, 0x402, s46
	v_add3_u32 v7, v7, v26, v25
	s_addc_u32 s30, 0, 0
	v_add_co_u32_e32 v25, vcc, vcc_lo, v24
	s_cmp_lg_u64 vcc, 0
	v_readfirstlane_b32 vcc_hi, v25
	s_addc_u32 s30, s30, 1
	s_mul_hi_u32 s31, vcc_hi, 0x80000001
	s_mul_i32 vcc_lo, s30, 0x80000001
	s_sub_i32 s31, s31, vcc_hi
	s_add_i32 s31, s31, vcc_lo
	s_mul_i32 s48, vcc_hi, 0x80000001
	s_mul_hi_u32 vcc_lo, vcc_hi, s31
	s_mul_i32 s47, vcc_hi, s31
	s_mul_hi_u32 vcc_hi, vcc_hi, s48
	s_add_u32 vcc_hi, vcc_hi, s47
	s_addc_u32 vcc_lo, 0, vcc_lo
	s_mul_hi_u32 s49, s30, s48
	s_mul_i32 s48, s30, s48
	s_add_u32 vcc_hi, vcc_hi, s48
	s_mul_hi_u32 s47, s30, s31
	s_addc_u32 vcc_lo, vcc_lo, s49
	s_addc_u32 vcc_hi, s47, 0
	s_mul_i32 s31, s30, s31
	s_add_u32 vcc_lo, vcc_lo, s31
	s_addc_u32 s31, 0, vcc_hi
	v_add_co_u32_e32 v25, vcc, vcc_lo, v25
	s_cmp_lg_u64 vcc, 0
	s_addc_u32 s30, s30, s31
	v_mad_u64_u32 v[26:27], vcc, v6, s30, 0
	v_mul_hi_u32 v28, v6, v25
	v_add_co_u32_e32 v30, vcc, v28, v26
	v_addc_co_u32_e32 v31, vcc, 0, v27, vcc
	v_mad_u64_u32 v[26:27], vcc, v7, s30, 0
	v_mad_u64_u32 v[28:29], vcc, v7, v25, 0
	v_add_co_u32_e32 v25, vcc, v30, v28
	v_addc_co_u32_e32 v25, vcc, v31, v29, vcc
	v_addc_co_u32_e32 v27, vcc, 0, v27, vcc
	v_add_co_u32_e32 v25, vcc, v25, v26
	v_addc_co_u32_e32 v29, vcc, 0, v27, vcc
	v_mad_u64_u32 v[26:27], vcc, v25, s44, 0
	v_mov_b32_e32 v28, v27
	v_mad_u64_u32 v[28:29], vcc, v29, s44, v[28:29]
	v_sub_co_u32_e32 v6, vcc, v6, v26
	v_subb_co_u32_e32 v7, vcc, v7, v28, vcc
	v_subrev_co_u32_e32 v25, vcc, s44, v6
	v_subbrev_co_u32_e32 v26, vcc, 0, v7, vcc
	v_subrev_co_u32_e32 v27, vcc, s44, v25
	v_subbrev_co_u32_e32 v28, vcc, 0, v26, vcc
	v_cmp_lt_u32_e32 vcc, s45, v25
	v_cndmask_b32_e64 v29, 0, -1, vcc
	v_cmp_eq_u32_e32 vcc, 0, v26
	v_cndmask_b32_e32 v29, -1, v29, vcc
	v_cmp_ne_u32_e32 vcc, 0, v29
	v_cmp_lt_u32_e64 s[30:31], s45, v6
	v_cndmask_b32_e32 v26, v26, v28, vcc
	v_cndmask_b32_e64 v28, 0, -1, s[30:31]
	v_cmp_eq_u32_e64 s[30:31], 0, v7
	v_cndmask_b32_e64 v28, -1, v28, s[30:31]
	v_cmp_ne_u32_e64 s[30:31], 0, v28
	v_cndmask_b32_e32 v25, v25, v27, vcc
	v_cndmask_b32_e64 v7, v7, v26, s[30:31]
	v_cndmask_b32_e64 v6, v6, v25, s[30:31]
	s_branch .LBB29_984
.LBB29_987:
	s_or_b64 exec, exec, s[38:39]
	s_movk_i32 vcc_lo, 0x401
	s_add_u32 vcc_lo, 0x402, vcc_lo
	v_mov_b32_e32 v14, 0xfffff800
	s_addc_u32 s30, 0, 0
	v_add_co_u32_e32 v14, vcc, vcc_lo, v14
	s_cmp_lg_u64 vcc, 0
	v_readfirstlane_b32 vcc_hi, v14
	s_addc_u32 s30, s30, 1
	s_mul_hi_u32 s31, vcc_hi, 0x80000001
	s_mul_i32 vcc_lo, s30, 0x80000001
	s_sub_i32 s31, s31, vcc_hi
	s_add_i32 s31, s31, vcc_lo
	s_mul_i32 s39, vcc_hi, 0x80000001
	s_mul_hi_u32 vcc_lo, vcc_hi, s31
	s_mul_i32 s38, vcc_hi, s31
	s_mul_hi_u32 vcc_hi, vcc_hi, s39
	s_add_u32 vcc_hi, vcc_hi, s38
	s_addc_u32 vcc_lo, 0, vcc_lo
	s_mul_hi_u32 s44, s30, s39
	s_mul_i32 s39, s30, s39
	s_add_u32 vcc_hi, vcc_hi, s39
	s_mul_hi_u32 s38, s30, s31
	s_addc_u32 vcc_lo, vcc_lo, s44
	s_addc_u32 vcc_hi, s38, 0
	s_mul_i32 s31, s30, s31
	s_add_u32 vcc_lo, vcc_lo, s31
	s_addc_u32 s31, 0, vcc_hi
	v_add_co_u32_e32 v14, vcc, vcc_lo, v14
	s_cmp_lg_u64 vcc, 0
	s_addc_u32 s30, s30, s31
	v_mad_u64_u32 v[22:23], vcc, v24, s30, 0
	v_mul_hi_u32 v30, v24, v14
	v_add_co_u32_e32 v30, vcc, v30, v22
	v_addc_co_u32_e32 v34, vcc, 0, v23, vcc
	v_mad_u64_u32 v[22:23], vcc, v25, s30, 0
	v_mad_u64_u32 v[32:33], vcc, v25, v14, 0
	v_add_co_u32_e32 v14, vcc, v30, v32
	v_addc_co_u32_e32 v14, vcc, v34, v33, vcc
	v_addc_co_u32_e32 v23, vcc, 0, v23, vcc
	v_add_co_u32_e32 v14, vcc, v14, v22
	s_brev_b32 s30, -2
	v_addc_co_u32_e32 v30, vcc, 0, v23, vcc
	v_mad_u64_u32 v[22:23], vcc, v14, s30, 0
	v_mov_b32_e32 v14, v23
	v_mad_u64_u32 v[32:33], vcc, v30, s30, v[14:15]
	v_sub_co_u32_e32 v14, vcc, v24, v22
	v_subb_co_u32_e32 v22, vcc, v25, v32, vcc
	v_subrev_co_u32_e32 v23, vcc, 0x7fffffff, v14
	v_subbrev_co_u32_e32 v24, vcc, 0, v22, vcc
	s_mov_b32 s30, 0x7ffffffe
	v_cmp_lt_u32_e32 vcc, s30, v23
	v_cndmask_b32_e64 v25, 0, -1, vcc
	v_cmp_eq_u32_e32 vcc, 0, v24
	v_cndmask_b32_e32 v24, -1, v25, vcc
	v_add_u32_e32 v25, 0x80000001, v23
	v_cmp_ne_u32_e32 vcc, 0, v24
	v_cndmask_b32_e32 v23, v23, v25, vcc
	v_cmp_lt_u32_e32 vcc, s30, v14
	v_cndmask_b32_e64 v24, 0, -1, vcc
	v_cmp_eq_u32_e32 vcc, 0, v22
	v_cndmask_b32_e32 v22, -1, v24, vcc
	v_cmp_ne_u32_e32 vcc, 0, v22
	v_cndmask_b32_e32 v23, v14, v23, vcc
.LBB29_988:
	s_or_b64 exec, exec, s[36:37]
	s_movk_i32 s36, 0x1388
	v_mov_b32_e32 v22, 0
	s_mov_b32 s37, 0xbc8f1391
	s_mov_b32 s38, 0xbc8f
	s_brev_b32 s39, 12
	s_mov_b32 s44, 0xf800000
	v_mov_b32_e32 v14, 0x260
.LBB29_989:                             ; =>This Inner Loop Header: Depth=1
	v_mul_hi_u32 v24, v23, s37
	v_lshrrev_b32_e32 v24, 15, v24
	v_mul_u32_u24_e32 v30, 0xadc8, v24
	v_sub_u32_e32 v23, v23, v30
	v_mul_u32_u24_e32 v24, 0xd47, v24
	v_mul_lo_u32 v23, v23, s38
	v_xor_b32_e32 v30, 0x7fffffff, v24
	v_sub_u32_e32 v32, 0, v24
	v_cmp_lt_u32_e32 vcc, v23, v24
	v_cndmask_b32_e32 v24, v32, v30, vcc
	v_add_u32_e32 v23, v24, v23
	v_mul_hi_u32 v30, v23, s37
	v_lshrrev_b32_e32 v30, 15, v30
	v_mul_u32_u24_e32 v32, 0xadc8, v30
	v_add_u32_e32 v24, -1, v23
	v_sub_u32_e32 v23, v23, v32
	v_mul_u32_u24_e32 v30, 0xd47, v30
	v_mul_lo_u32 v23, v23, s38
	v_xor_b32_e32 v32, 0x7fffffff, v30
	v_sub_u32_e32 v33, 0, v30
	v_cmp_lt_u32_e32 vcc, v23, v30
	v_cndmask_b32_e32 v30, v33, v32, vcc
	v_add_u32_e32 v23, v30, v23
	v_mul_hi_u32 v32, v23, s37
	v_add_u32_e32 v30, -1, v23
	v_lshrrev_b32_e32 v32, 15, v32
	v_cvt_f32_u32_e32 v30, v30
	v_mul_u32_u24_e32 v33, 0xadc8, v32
	v_cvt_f32_u32_e32 v24, v24
	v_sub_u32_e32 v23, v23, v33
	v_mul_u32_u24_e32 v32, 0xd47, v32
	v_mul_lo_u32 v23, v23, s38
	v_xor_b32_e32 v33, 0x7fffffff, v32
	v_sub_u32_e32 v34, 0, v32
	v_cmp_lt_u32_e32 vcc, v23, v32
	v_fma_f32 v30, v30, s39, 0
	v_cndmask_b32_e32 v32, v34, v33, vcc
	v_fma_f32 v24, v24, s39, 0
	v_mul_f32_e32 v30, v30, v30
	v_add_u32_e32 v23, v32, v23
	v_fmac_f32_e32 v30, v24, v24
	v_mul_hi_u32 v32, v23, s37
	v_mul_f32_e32 v33, 0x4f800000, v30
	v_lshrrev_b32_e32 v32, 15, v32
	v_cmp_gt_f32_e32 vcc, s44, v30
	v_cndmask_b32_e32 v30, v30, v33, vcc
	v_mul_u32_u24_e32 v33, 0xadc8, v32
	v_add_u32_e32 v24, -1, v23
	v_sqrt_f32_e32 v34, v30
	v_sub_u32_e32 v23, v23, v33
	v_mul_u32_u24_e32 v32, 0xd47, v32
	v_mul_lo_u32 v23, v23, s38
	v_xor_b32_e32 v33, 0x7fffffff, v32
	v_sub_u32_e32 v35, 0, v32
	v_cmp_lt_u32_e64 s[30:31], v23, v32
	v_cndmask_b32_e64 v32, v35, v33, s[30:31]
	v_add_u32_e32 v23, v32, v23
	v_add_u32_e32 v32, -1, v34
	v_add_u32_e32 v33, 1, v34
	v_add_u32_e32 v35, -1, v23
	v_fma_f32 v36, -v32, v34, v30
	v_fma_f32 v37, -v33, v34, v30
	v_cvt_f32_u32_e32 v35, v35
	v_cmp_ge_f32_e64 s[30:31], 0, v36
	v_cvt_f32_u32_e32 v24, v24
	v_cndmask_b32_e64 v32, v34, v32, s[30:31]
	v_cmp_lt_f32_e64 s[30:31], 0, v37
	v_cndmask_b32_e64 v32, v32, v33, s[30:31]
	v_mul_f32_e32 v33, 0x37800000, v32
	v_cndmask_b32_e32 v32, v32, v33, vcc
	v_fma_f32 v33, v35, s39, 0
	v_cmp_class_f32_e32 vcc, v30, v14
	v_fma_f32 v24, v24, s39, 0
	v_cndmask_b32_e32 v30, v32, v30, vcc
	v_mul_f32_e32 v32, v33, v33
	v_add_f32_e32 v25, 1.0, v22
	v_cmp_nge_f32_e32 vcc, 1.0, v30
	v_fmac_f32_e32 v32, v24, v24
	v_cndmask_b32_e32 v22, v25, v22, vcc
	v_mul_f32_e32 v24, 0x4f800000, v32
	v_cmp_gt_f32_e32 vcc, s44, v32
	v_cndmask_b32_e32 v24, v32, v24, vcc
	v_sqrt_f32_e32 v30, v24
	s_add_i32 s36, s36, -2
	v_add_f32_e32 v25, 1.0, v22
	s_cmp_lg_u32 s36, 0
	v_add_u32_e32 v32, -1, v30
	v_add_u32_e32 v33, 1, v30
	v_fma_f32 v34, -v32, v30, v24
	v_fma_f32 v35, -v33, v30, v24
	v_cmp_ge_f32_e64 s[30:31], 0, v34
	v_cndmask_b32_e64 v30, v30, v32, s[30:31]
	v_cmp_lt_f32_e64 s[30:31], 0, v35
	v_cndmask_b32_e64 v30, v30, v33, s[30:31]
	v_mul_f32_e32 v32, 0x37800000, v30
	v_cndmask_b32_e32 v30, v30, v32, vcc
	v_cmp_class_f32_e32 vcc, v24, v14
	v_cndmask_b32_e32 v24, v30, v24, vcc
	v_cmp_nge_f32_e32 vcc, 1.0, v24
	v_cndmask_b32_e32 v22, v25, v22, vcc
	s_cbranch_scc1 .LBB29_989
; %bb.990:
	v_mul_f32_e32 v14, 4.0, v22
	s_mov_b32 s30, 0x459c4000
	v_div_scale_f32 v22, vcc, s30, s30, v14
	v_rcp_f32_e32 v23, v22
	v_fma_f32 v24, -v22, v23, 1.0
	v_fmac_f32_e32 v23, v24, v23
	v_div_scale_f32 v24, vcc, v14, s30, v14
	v_mul_f32_e32 v25, v24, v23
	v_fma_f32 v30, -v22, v25, v24
	v_fmac_f32_e32 v25, v30, v23
	v_fma_f32 v22, -v22, v25, v24
	v_div_fmas_f32 v22, v22, v23, v25
	v_div_fixup_f32 v14, v22, s30, v14
.LBB29_991:
	s_or_b64 exec, exec, s[34:35]
	v_add_u32_e32 v22, 0x680, v27
	v_cmp_lt_u32_e64 s[30:31], v22, v28
	s_and_saveexec_b64 s[36:37], s[30:31]
	s_cbranch_execz .LBB29_1011
; %bb.992:
	v_add_u32_e32 v15, v29, v22
	s_movk_i32 vcc_lo, 0x1388
	v_mul_lo_u32 v22, v15, vcc_lo
	v_cmp_ne_u32_e32 vcc, 0, v22
	v_mov_b32_e32 v23, 1
	s_and_saveexec_b64 s[38:39], vcc
	s_cbranch_execz .LBB29_1008
; %bb.993:
	v_mov_b32_e32 v24, 1
	v_mov_b32_e32 v23, 0
	s_mov_b64 s[46:47], 0xbc8f
	s_mov_b64 s[44:45], 0
	v_mov_b32_e32 v25, 0
	s_brev_b32 s50, -2
	s_mov_b32 s51, 0x7ffffffe
	v_mov_b32_e32 v15, 0xfffff800
	s_movk_i32 s52, 0x401
	s_branch .LBB29_995
.LBB29_994:                             ;   in Loop: Header=BB29_995 Depth=1
	s_or_b64 exec, exec, s[48:49]
	s_mul_i32 vcc_lo, s46, s47
	s_mul_hi_u32 vcc_hi, s46, s46
	s_add_i32 vcc_hi, vcc_hi, vcc_lo
	s_add_i32 s34, vcc_hi, vcc_lo
	s_add_u32 vcc_lo, 0x402, s52
	s_mul_i32 s35, s46, s46
	s_addc_u32 s46, 0, 0
	v_add_co_u32_e32 v30, vcc, vcc_lo, v15
	s_cmp_lg_u64 vcc, 0
	v_readfirstlane_b32 vcc_hi, v30
	s_addc_u32 s46, s46, 1
	s_mul_hi_u32 s47, vcc_hi, 0x80000001
	s_mul_i32 vcc_lo, s46, 0x80000001
	s_sub_i32 s47, s47, vcc_hi
	s_add_i32 s47, s47, vcc_lo
	s_mul_i32 s49, vcc_hi, 0x80000001
	s_mul_hi_u32 vcc_lo, vcc_hi, s47
	s_mul_i32 s48, vcc_hi, s47
	s_mul_hi_u32 vcc_hi, vcc_hi, s49
	s_add_u32 vcc_hi, vcc_hi, s48
	s_addc_u32 vcc_lo, 0, vcc_lo
	s_mul_hi_u32 s53, s46, s49
	s_mul_i32 s49, s46, s49
	s_add_u32 vcc_hi, vcc_hi, s49
	s_mul_hi_u32 s48, s46, s47
	s_addc_u32 vcc_lo, vcc_lo, s53
	s_addc_u32 vcc_hi, s48, 0
	s_mul_i32 s47, s46, s47
	s_add_u32 vcc_lo, vcc_lo, s47
	s_addc_u32 s47, 0, vcc_hi
	v_add_co_u32_e32 v30, vcc, vcc_lo, v30
	s_cmp_lg_u64 vcc, 0
	s_addc_u32 vcc_lo, s46, s47
	v_readfirstlane_b32 s47, v30
	s_mul_i32 s46, s35, vcc_lo
	s_mul_hi_u32 s48, s35, s47
	s_mul_hi_u32 vcc_hi, s35, vcc_lo
	s_add_u32 s46, s48, s46
	s_addc_u32 vcc_hi, 0, vcc_hi
	s_mul_hi_u32 s49, s34, s47
	s_mul_i32 s47, s34, s47
	s_add_u32 s46, s46, s47
	s_mul_hi_u32 s48, s34, vcc_lo
	s_addc_u32 vcc_hi, vcc_hi, s49
	s_addc_u32 s46, s48, 0
	s_mul_i32 vcc_lo, s34, vcc_lo
	s_add_u32 vcc_lo, vcc_hi, vcc_lo
	s_addc_u32 vcc_hi, 0, s46
	s_mul_hi_u32 s46, vcc_lo, 0x7fffffff
	s_mul_i32 vcc_lo, vcc_lo, 0x7fffffff
	s_mul_i32 vcc_hi, vcc_hi, 0x7fffffff
	v_mov_b32_e32 v30, vcc_lo
	s_add_i32 s46, s46, vcc_hi
	v_sub_co_u32_e32 v30, vcc, s35, v30
	s_cmp_lg_u64 vcc, 0
	s_subb_u32 s34, s34, s46
	v_subrev_co_u32_e32 v34, vcc, s50, v30
	s_cmp_lg_u64 vcc, 0
	s_subb_u32 s35, s34, 0
	v_subrev_co_u32_e32 v35, vcc, s50, v34
	s_cmp_lg_u64 vcc, 0
	s_subb_u32 vcc_lo, s35, 0
	v_readfirstlane_b32 vcc_hi, v34
	s_cmp_gt_u32 vcc_hi, 0x7ffffffe
	s_cselect_b32 s46, -1, 0
	s_cmp_eq_u32 s35, 0
	s_cselect_b32 s46, s46, -1
	s_cmp_lg_u32 s46, 0
	s_cselect_b32 vcc_lo, vcc_lo, s35
	v_readfirstlane_b32 s35, v35
	s_cselect_b32 vcc_hi, s35, vcc_hi
	v_readfirstlane_b32 s35, v30
	s_cmp_gt_u32 s35, 0x7ffffffe
	s_cselect_b32 s46, -1, 0
	s_cmp_eq_u32 s34, 0
	s_cselect_b32 s46, s46, -1
	s_cmp_lg_u32 s46, 0
	v_lshrrev_b64 v[32:33], 1, v[22:23]
	s_cselect_b32 s47, vcc_lo, s34
	s_cselect_b32 s46, vcc_hi, s35
	v_cmp_gt_u64_e32 vcc, 2, v[22:23]
	s_or_b64 s[44:45], vcc, s[44:45]
	v_pk_mov_b32 v[22:23], v[32:33], v[32:33] op_sel:[0,1]
	s_andn2_b64 exec, exec, s[44:45]
	s_cbranch_execz .LBB29_1007
.LBB29_995:                             ; =>This Inner Loop Header: Depth=1
	v_and_b32_e32 v30, 1, v22
	v_cmp_eq_u32_e32 vcc, 1, v30
	s_and_saveexec_b64 s[48:49], vcc
	s_cbranch_execz .LBB29_994
; %bb.996:                              ;   in Loop: Header=BB29_995 Depth=1
	v_mul_lo_u32 v30, s47, v24
	v_mul_lo_u32 v32, s46, v25
	v_mad_u64_u32 v[24:25], vcc, s46, v24, 0
	s_add_u32 vcc_lo, 0x402, s52
	v_add3_u32 v25, v25, v32, v30
	s_addc_u32 s34, 0, 0
	v_add_co_u32_e32 v30, vcc, vcc_lo, v15
	s_cmp_lg_u64 vcc, 0
	v_readfirstlane_b32 vcc_hi, v30
	s_addc_u32 s34, s34, 1
	s_mul_hi_u32 s35, vcc_hi, 0x80000001
	s_mul_i32 vcc_lo, s34, 0x80000001
	s_sub_i32 s35, s35, vcc_hi
	s_add_i32 s35, s35, vcc_lo
	s_mul_i32 s54, vcc_hi, 0x80000001
	s_mul_hi_u32 vcc_lo, vcc_hi, s35
	s_mul_i32 s53, vcc_hi, s35
	s_mul_hi_u32 vcc_hi, vcc_hi, s54
	s_add_u32 vcc_hi, vcc_hi, s53
	s_addc_u32 vcc_lo, 0, vcc_lo
	s_mul_hi_u32 s55, s34, s54
	s_mul_i32 s54, s34, s54
	s_add_u32 vcc_hi, vcc_hi, s54
	s_mul_hi_u32 s53, s34, s35
	s_addc_u32 vcc_lo, vcc_lo, s55
	s_addc_u32 vcc_hi, s53, 0
	s_mul_i32 s35, s34, s35
	s_add_u32 vcc_lo, vcc_lo, s35
	s_addc_u32 s35, 0, vcc_hi
	v_add_co_u32_e32 v30, vcc, vcc_lo, v30
	s_cmp_lg_u64 vcc, 0
	s_addc_u32 s34, s34, s35
	v_mad_u64_u32 v[32:33], vcc, v24, s34, 0
	v_mul_hi_u32 v34, v24, v30
	v_add_co_u32_e32 v36, vcc, v34, v32
	v_addc_co_u32_e32 v37, vcc, 0, v33, vcc
	v_mad_u64_u32 v[32:33], vcc, v25, s34, 0
	v_mad_u64_u32 v[34:35], vcc, v25, v30, 0
	v_add_co_u32_e32 v30, vcc, v36, v34
	v_addc_co_u32_e32 v30, vcc, v37, v35, vcc
	v_addc_co_u32_e32 v33, vcc, 0, v33, vcc
	v_add_co_u32_e32 v30, vcc, v30, v32
	v_addc_co_u32_e32 v34, vcc, 0, v33, vcc
	v_mad_u64_u32 v[32:33], vcc, v30, s50, 0
	v_mov_b32_e32 v30, v33
	v_mad_u64_u32 v[34:35], vcc, v34, s50, v[30:31]
	v_sub_co_u32_e32 v24, vcc, v24, v32
	v_subb_co_u32_e32 v25, vcc, v25, v34, vcc
	v_subrev_co_u32_e32 v30, vcc, s50, v24
	v_subbrev_co_u32_e32 v32, vcc, 0, v25, vcc
	v_subrev_co_u32_e32 v33, vcc, s50, v30
	v_subbrev_co_u32_e32 v34, vcc, 0, v32, vcc
	v_cmp_lt_u32_e32 vcc, s51, v30
	v_cndmask_b32_e64 v35, 0, -1, vcc
	v_cmp_eq_u32_e32 vcc, 0, v32
	v_cndmask_b32_e32 v35, -1, v35, vcc
	v_cmp_ne_u32_e32 vcc, 0, v35
	v_cmp_lt_u32_e64 s[34:35], s51, v24
	v_cndmask_b32_e32 v32, v32, v34, vcc
	v_cndmask_b32_e64 v34, 0, -1, s[34:35]
	v_cmp_eq_u32_e64 s[34:35], 0, v25
	v_cndmask_b32_e64 v34, -1, v34, s[34:35]
	v_cmp_ne_u32_e64 s[34:35], 0, v34
	v_cndmask_b32_e32 v30, v30, v33, vcc
	v_cndmask_b32_e64 v25, v25, v32, s[34:35]
	v_cndmask_b32_e64 v24, v24, v30, s[34:35]
	s_branch .LBB29_994
.LBB29_997:
	s_or_b64 exec, exec, s[38:39]
	s_movk_i32 vcc_lo, 0x401
	s_add_u32 vcc_lo, 0x402, vcc_lo
	v_mov_b32_e32 v4, 0xfffff800
	s_addc_u32 s30, 0, 0
	v_add_co_u32_e32 v4, vcc, vcc_lo, v4
	s_cmp_lg_u64 vcc, 0
	v_readfirstlane_b32 vcc_hi, v4
	s_addc_u32 s30, s30, 1
	s_mul_hi_u32 s31, vcc_hi, 0x80000001
	s_mul_i32 vcc_lo, s30, 0x80000001
	s_sub_i32 s31, s31, vcc_hi
	s_add_i32 s31, s31, vcc_lo
	s_mul_i32 s39, vcc_hi, 0x80000001
	s_mul_hi_u32 vcc_lo, vcc_hi, s31
	s_mul_i32 s38, vcc_hi, s31
	s_mul_hi_u32 vcc_hi, vcc_hi, s39
	s_add_u32 vcc_hi, vcc_hi, s38
	s_addc_u32 vcc_lo, 0, vcc_lo
	s_mul_hi_u32 s40, s30, s39
	s_mul_i32 s39, s30, s39
	s_add_u32 vcc_hi, vcc_hi, s39
	s_mul_hi_u32 s38, s30, s31
	s_addc_u32 vcc_lo, vcc_lo, s40
	s_addc_u32 vcc_hi, s38, 0
	s_mul_i32 s31, s30, s31
	s_add_u32 vcc_lo, vcc_lo, s31
	s_addc_u32 s31, 0, vcc_hi
	v_add_co_u32_e32 v24, vcc, vcc_lo, v4
	s_cmp_lg_u64 vcc, 0
	s_addc_u32 s30, s30, s31
	v_mad_u64_u32 v[4:5], vcc, v6, s30, 0
	v_mul_hi_u32 v25, v6, v24
	v_add_co_u32_e32 v26, vcc, v25, v4
	v_addc_co_u32_e32 v27, vcc, 0, v5, vcc
	v_mad_u64_u32 v[4:5], vcc, v7, s30, 0
	v_mad_u64_u32 v[24:25], vcc, v7, v24, 0
	v_add_co_u32_e32 v24, vcc, v26, v24
	v_addc_co_u32_e32 v24, vcc, v27, v25, vcc
	v_addc_co_u32_e32 v5, vcc, 0, v5, vcc
	v_add_co_u32_e32 v4, vcc, v24, v4
	s_brev_b32 s30, -2
	v_addc_co_u32_e32 v25, vcc, 0, v5, vcc
	v_mad_u64_u32 v[4:5], vcc, v4, s30, 0
	v_mov_b32_e32 v24, v5
	v_mad_u64_u32 v[24:25], vcc, v25, s30, v[24:25]
	v_sub_co_u32_e32 v4, vcc, v6, v4
	v_subb_co_u32_e32 v5, vcc, v7, v24, vcc
	v_subrev_co_u32_e32 v6, vcc, 0x7fffffff, v4
	v_subbrev_co_u32_e32 v7, vcc, 0, v5, vcc
	s_mov_b32 s30, 0x7ffffffe
	v_cmp_lt_u32_e32 vcc, s30, v6
	v_cndmask_b32_e64 v24, 0, -1, vcc
	v_cmp_eq_u32_e32 vcc, 0, v7
	v_cndmask_b32_e32 v7, -1, v24, vcc
	v_add_u32_e32 v24, 0x80000001, v6
	v_cmp_ne_u32_e32 vcc, 0, v7
	v_cndmask_b32_e32 v6, v6, v24, vcc
	v_cmp_lt_u32_e32 vcc, s30, v4
	v_cndmask_b32_e64 v7, 0, -1, vcc
	v_cmp_eq_u32_e32 vcc, 0, v5
	v_cndmask_b32_e32 v5, -1, v7, vcc
	v_cmp_ne_u32_e32 vcc, 0, v5
	v_cndmask_b32_e32 v6, v4, v6, vcc
.LBB29_998:
	s_or_b64 exec, exec, s[36:37]
	s_movk_i32 s36, 0x1388
	v_mov_b32_e32 v5, 0
	s_mov_b32 s37, 0xbc8f1391
	s_mov_b32 s38, 0xbc8f
	s_brev_b32 s39, 12
	s_mov_b32 s40, 0xf800000
	v_mov_b32_e32 v4, 0x260
.LBB29_999:                             ; =>This Inner Loop Header: Depth=1
	v_mul_hi_u32 v7, v6, s37
	v_lshrrev_b32_e32 v7, 15, v7
	v_mul_u32_u24_e32 v25, 0xadc8, v7
	v_sub_u32_e32 v6, v6, v25
	v_mul_u32_u24_e32 v7, 0xd47, v7
	v_mul_lo_u32 v6, v6, s38
	v_xor_b32_e32 v25, 0x7fffffff, v7
	v_sub_u32_e32 v26, 0, v7
	v_cmp_lt_u32_e32 vcc, v6, v7
	v_cndmask_b32_e32 v7, v26, v25, vcc
	v_add_u32_e32 v6, v7, v6
	v_mul_hi_u32 v25, v6, s37
	v_lshrrev_b32_e32 v25, 15, v25
	v_mul_u32_u24_e32 v26, 0xadc8, v25
	v_add_u32_e32 v7, -1, v6
	v_sub_u32_e32 v6, v6, v26
	v_mul_u32_u24_e32 v25, 0xd47, v25
	v_mul_lo_u32 v6, v6, s38
	v_xor_b32_e32 v26, 0x7fffffff, v25
	v_sub_u32_e32 v27, 0, v25
	v_cmp_lt_u32_e32 vcc, v6, v25
	v_cndmask_b32_e32 v25, v27, v26, vcc
	v_add_u32_e32 v6, v25, v6
	v_mul_hi_u32 v26, v6, s37
	v_add_u32_e32 v25, -1, v6
	v_lshrrev_b32_e32 v26, 15, v26
	v_cvt_f32_u32_e32 v25, v25
	v_mul_u32_u24_e32 v27, 0xadc8, v26
	v_cvt_f32_u32_e32 v7, v7
	v_sub_u32_e32 v6, v6, v27
	v_mul_u32_u24_e32 v26, 0xd47, v26
	v_mul_lo_u32 v6, v6, s38
	v_xor_b32_e32 v27, 0x7fffffff, v26
	v_sub_u32_e32 v28, 0, v26
	v_cmp_lt_u32_e32 vcc, v6, v26
	v_fma_f32 v25, v25, s39, 0
	v_cndmask_b32_e32 v26, v28, v27, vcc
	v_fma_f32 v7, v7, s39, 0
	v_mul_f32_e32 v25, v25, v25
	v_add_u32_e32 v6, v26, v6
	v_fmac_f32_e32 v25, v7, v7
	v_mul_hi_u32 v26, v6, s37
	v_mul_f32_e32 v27, 0x4f800000, v25
	v_lshrrev_b32_e32 v26, 15, v26
	v_cmp_gt_f32_e32 vcc, s40, v25
	v_cndmask_b32_e32 v25, v25, v27, vcc
	v_mul_u32_u24_e32 v27, 0xadc8, v26
	v_add_u32_e32 v7, -1, v6
	v_sqrt_f32_e32 v28, v25
	v_sub_u32_e32 v6, v6, v27
	v_mul_u32_u24_e32 v26, 0xd47, v26
	v_mul_lo_u32 v6, v6, s38
	v_xor_b32_e32 v27, 0x7fffffff, v26
	v_sub_u32_e32 v29, 0, v26
	v_cmp_lt_u32_e64 s[30:31], v6, v26
	v_cndmask_b32_e64 v26, v29, v27, s[30:31]
	v_add_u32_e32 v6, v26, v6
	v_add_u32_e32 v26, -1, v28
	v_add_u32_e32 v27, 1, v28
	v_add_u32_e32 v29, -1, v6
	v_fma_f32 v30, -v26, v28, v25
	v_fma_f32 v31, -v27, v28, v25
	v_cvt_f32_u32_e32 v29, v29
	v_cmp_ge_f32_e64 s[30:31], 0, v30
	v_cvt_f32_u32_e32 v7, v7
	v_cndmask_b32_e64 v26, v28, v26, s[30:31]
	v_cmp_lt_f32_e64 s[30:31], 0, v31
	v_cndmask_b32_e64 v26, v26, v27, s[30:31]
	v_mul_f32_e32 v27, 0x37800000, v26
	v_cndmask_b32_e32 v26, v26, v27, vcc
	v_fma_f32 v27, v29, s39, 0
	v_cmp_class_f32_e32 vcc, v25, v4
	v_fma_f32 v7, v7, s39, 0
	v_cndmask_b32_e32 v25, v26, v25, vcc
	v_mul_f32_e32 v26, v27, v27
	v_add_f32_e32 v24, 1.0, v5
	v_cmp_nge_f32_e32 vcc, 1.0, v25
	v_fmac_f32_e32 v26, v7, v7
	v_cndmask_b32_e32 v5, v24, v5, vcc
	v_mul_f32_e32 v7, 0x4f800000, v26
	v_cmp_gt_f32_e32 vcc, s40, v26
	v_cndmask_b32_e32 v7, v26, v7, vcc
	v_sqrt_f32_e32 v25, v7
	s_add_i32 s36, s36, -2
	v_add_f32_e32 v24, 1.0, v5
	s_cmp_lg_u32 s36, 0
	v_add_u32_e32 v26, -1, v25
	v_add_u32_e32 v27, 1, v25
	v_fma_f32 v28, -v26, v25, v7
	v_fma_f32 v29, -v27, v25, v7
	v_cmp_ge_f32_e64 s[30:31], 0, v28
	v_cndmask_b32_e64 v25, v25, v26, s[30:31]
	v_cmp_lt_f32_e64 s[30:31], 0, v29
	v_cndmask_b32_e64 v25, v25, v27, s[30:31]
	v_mul_f32_e32 v26, 0x37800000, v25
	v_cndmask_b32_e32 v25, v25, v26, vcc
	v_cmp_class_f32_e32 vcc, v7, v4
	v_cndmask_b32_e32 v7, v25, v7, vcc
	v_cmp_nge_f32_e32 vcc, 1.0, v7
	v_cndmask_b32_e32 v5, v24, v5, vcc
	s_cbranch_scc1 .LBB29_999
; %bb.1000:
	v_mul_f32_e32 v4, 4.0, v5
	s_mov_b32 s30, 0x459c4000
	v_div_scale_f32 v5, vcc, s30, s30, v4
	v_rcp_f32_e32 v6, v5
	v_fma_f32 v7, -v5, v6, 1.0
	v_fmac_f32_e32 v6, v7, v6
	v_div_scale_f32 v7, vcc, v4, s30, v4
	v_mul_f32_e32 v24, v7, v6
	v_fma_f32 v25, -v5, v24, v7
	v_fmac_f32_e32 v24, v25, v6
	v_fma_f32 v5, -v5, v24, v7
	v_div_fmas_f32 v5, v5, v6, v24
	v_div_fixup_f32 v24, v5, s30, v4
.LBB29_1001:
	s_or_b64 exec, exec, s[34:35]
	v_add_u32_e32 v4, 0x680, v11
	v_cmp_lt_u32_e64 s[30:31], v4, v8
                                        ; implicit-def: $vgpr25
	s_and_saveexec_b64 s[36:37], s[30:31]
	s_cbranch_execz .LBB29_1021
; %bb.1002:
	v_add_u32_e32 v4, v9, v4
	s_movk_i32 vcc_lo, 0x1388
	v_mul_lo_u32 v4, v4, vcc_lo
	v_cmp_ne_u32_e32 vcc, 0, v4
	v_mov_b32_e32 v6, 1
	s_and_saveexec_b64 s[38:39], vcc
	s_cbranch_execz .LBB29_1018
; %bb.1003:
	v_mov_b32_e32 v6, 1
	v_mov_b32_e32 v5, 0
	s_mov_b64 s[42:43], 0xbc8f
	s_mov_b64 s[40:41], 0
	v_mov_b32_e32 v7, 0
	s_brev_b32 s46, -2
	s_mov_b32 s47, 0x7ffffffe
	v_mov_b32_e32 v25, 0xfffff800
	s_movk_i32 s48, 0x401
	s_branch .LBB29_1005
.LBB29_1004:                            ;   in Loop: Header=BB29_1005 Depth=1
	s_or_b64 exec, exec, s[44:45]
	s_mul_i32 vcc_lo, s42, s43
	s_mul_hi_u32 vcc_hi, s42, s42
	s_add_i32 vcc_hi, vcc_hi, vcc_lo
	s_add_i32 s34, vcc_hi, vcc_lo
	s_add_u32 vcc_lo, 0x402, s48
	s_mul_i32 s35, s42, s42
	s_addc_u32 s42, 0, 0
	v_add_co_u32_e32 v28, vcc, vcc_lo, v25
	s_cmp_lg_u64 vcc, 0
	v_readfirstlane_b32 vcc_hi, v28
	s_addc_u32 s42, s42, 1
	s_mul_hi_u32 s43, vcc_hi, 0x80000001
	s_mul_i32 vcc_lo, s42, 0x80000001
	s_sub_i32 s43, s43, vcc_hi
	s_add_i32 s43, s43, vcc_lo
	s_mul_i32 s45, vcc_hi, 0x80000001
	s_mul_hi_u32 vcc_lo, vcc_hi, s43
	s_mul_i32 s44, vcc_hi, s43
	s_mul_hi_u32 vcc_hi, vcc_hi, s45
	s_add_u32 vcc_hi, vcc_hi, s44
	s_addc_u32 vcc_lo, 0, vcc_lo
	s_mul_hi_u32 s49, s42, s45
	s_mul_i32 s45, s42, s45
	s_add_u32 vcc_hi, vcc_hi, s45
	s_mul_hi_u32 s44, s42, s43
	s_addc_u32 vcc_lo, vcc_lo, s49
	s_addc_u32 vcc_hi, s44, 0
	s_mul_i32 s43, s42, s43
	s_add_u32 vcc_lo, vcc_lo, s43
	s_addc_u32 s43, 0, vcc_hi
	v_add_co_u32_e32 v28, vcc, vcc_lo, v28
	s_cmp_lg_u64 vcc, 0
	s_addc_u32 vcc_lo, s42, s43
	v_readfirstlane_b32 s43, v28
	s_mul_i32 s42, s35, vcc_lo
	s_mul_hi_u32 s44, s35, s43
	s_mul_hi_u32 vcc_hi, s35, vcc_lo
	s_add_u32 s42, s44, s42
	s_addc_u32 vcc_hi, 0, vcc_hi
	s_mul_hi_u32 s45, s34, s43
	s_mul_i32 s43, s34, s43
	s_add_u32 s42, s42, s43
	s_mul_hi_u32 s44, s34, vcc_lo
	s_addc_u32 vcc_hi, vcc_hi, s45
	s_addc_u32 s42, s44, 0
	s_mul_i32 vcc_lo, s34, vcc_lo
	s_add_u32 vcc_lo, vcc_hi, vcc_lo
	s_addc_u32 vcc_hi, 0, s42
	s_mul_hi_u32 s42, vcc_lo, 0x7fffffff
	s_mul_i32 vcc_lo, vcc_lo, 0x7fffffff
	s_mul_i32 vcc_hi, vcc_hi, 0x7fffffff
	v_mov_b32_e32 v28, vcc_lo
	s_add_i32 s42, s42, vcc_hi
	v_sub_co_u32_e32 v28, vcc, s35, v28
	s_cmp_lg_u64 vcc, 0
	s_subb_u32 s34, s34, s42
	v_subrev_co_u32_e32 v29, vcc, s46, v28
	s_cmp_lg_u64 vcc, 0
	s_subb_u32 s35, s34, 0
	v_subrev_co_u32_e32 v30, vcc, s46, v29
	s_cmp_lg_u64 vcc, 0
	s_subb_u32 vcc_lo, s35, 0
	v_readfirstlane_b32 vcc_hi, v29
	s_cmp_gt_u32 vcc_hi, 0x7ffffffe
	s_cselect_b32 s42, -1, 0
	s_cmp_eq_u32 s35, 0
	s_cselect_b32 s42, s42, -1
	s_cmp_lg_u32 s42, 0
	s_cselect_b32 vcc_lo, vcc_lo, s35
	v_readfirstlane_b32 s35, v30
	s_cselect_b32 vcc_hi, s35, vcc_hi
	v_readfirstlane_b32 s35, v28
	s_cmp_gt_u32 s35, 0x7ffffffe
	s_cselect_b32 s42, -1, 0
	s_cmp_eq_u32 s34, 0
	s_cselect_b32 s42, s42, -1
	s_cmp_lg_u32 s42, 0
	v_lshrrev_b64 v[26:27], 1, v[4:5]
	s_cselect_b32 s43, vcc_lo, s34
	s_cselect_b32 s42, vcc_hi, s35
	v_cmp_gt_u64_e32 vcc, 2, v[4:5]
	s_or_b64 s[40:41], vcc, s[40:41]
	v_pk_mov_b32 v[4:5], v[26:27], v[26:27] op_sel:[0,1]
	s_andn2_b64 exec, exec, s[40:41]
	s_cbranch_execz .LBB29_1017
.LBB29_1005:                            ; =>This Inner Loop Header: Depth=1
	v_and_b32_e32 v26, 1, v4
	v_cmp_eq_u32_e32 vcc, 1, v26
	s_and_saveexec_b64 s[44:45], vcc
	s_cbranch_execz .LBB29_1004
; %bb.1006:                             ;   in Loop: Header=BB29_1005 Depth=1
	v_mul_lo_u32 v26, s43, v6
	v_mul_lo_u32 v27, s42, v7
	v_mad_u64_u32 v[6:7], vcc, s42, v6, 0
	s_add_u32 vcc_lo, 0x402, s48
	v_add3_u32 v7, v7, v27, v26
	s_addc_u32 s34, 0, 0
	v_add_co_u32_e32 v26, vcc, vcc_lo, v25
	s_cmp_lg_u64 vcc, 0
	v_readfirstlane_b32 vcc_hi, v26
	s_addc_u32 s34, s34, 1
	s_mul_hi_u32 s35, vcc_hi, 0x80000001
	s_mul_i32 vcc_lo, s34, 0x80000001
	s_sub_i32 s35, s35, vcc_hi
	s_add_i32 s35, s35, vcc_lo
	s_mul_i32 s50, vcc_hi, 0x80000001
	s_mul_hi_u32 vcc_lo, vcc_hi, s35
	s_mul_i32 s49, vcc_hi, s35
	s_mul_hi_u32 vcc_hi, vcc_hi, s50
	s_add_u32 vcc_hi, vcc_hi, s49
	s_addc_u32 vcc_lo, 0, vcc_lo
	s_mul_hi_u32 s51, s34, s50
	s_mul_i32 s50, s34, s50
	s_add_u32 vcc_hi, vcc_hi, s50
	s_mul_hi_u32 s49, s34, s35
	s_addc_u32 vcc_lo, vcc_lo, s51
	s_addc_u32 vcc_hi, s49, 0
	s_mul_i32 s35, s34, s35
	s_add_u32 vcc_lo, vcc_lo, s35
	s_addc_u32 s35, 0, vcc_hi
	v_add_co_u32_e32 v28, vcc, vcc_lo, v26
	s_cmp_lg_u64 vcc, 0
	s_addc_u32 s34, s34, s35
	v_mad_u64_u32 v[26:27], vcc, v6, s34, 0
	v_mul_hi_u32 v29, v6, v28
	v_add_co_u32_e32 v30, vcc, v29, v26
	v_addc_co_u32_e32 v31, vcc, 0, v27, vcc
	v_mad_u64_u32 v[26:27], vcc, v7, s34, 0
	v_mad_u64_u32 v[28:29], vcc, v7, v28, 0
	v_add_co_u32_e32 v28, vcc, v30, v28
	v_addc_co_u32_e32 v28, vcc, v31, v29, vcc
	v_addc_co_u32_e32 v27, vcc, 0, v27, vcc
	v_add_co_u32_e32 v26, vcc, v28, v26
	v_addc_co_u32_e32 v29, vcc, 0, v27, vcc
	v_mad_u64_u32 v[26:27], vcc, v26, s46, 0
	v_mov_b32_e32 v28, v27
	v_mad_u64_u32 v[28:29], vcc, v29, s46, v[28:29]
	v_sub_co_u32_e32 v6, vcc, v6, v26
	v_subb_co_u32_e32 v7, vcc, v7, v28, vcc
	v_subrev_co_u32_e32 v26, vcc, s46, v6
	v_subbrev_co_u32_e32 v27, vcc, 0, v7, vcc
	v_subrev_co_u32_e32 v28, vcc, s46, v26
	v_subbrev_co_u32_e32 v29, vcc, 0, v27, vcc
	v_cmp_lt_u32_e32 vcc, s47, v26
	v_cndmask_b32_e64 v30, 0, -1, vcc
	v_cmp_eq_u32_e32 vcc, 0, v27
	v_cndmask_b32_e32 v30, -1, v30, vcc
	v_cmp_ne_u32_e32 vcc, 0, v30
	v_cmp_lt_u32_e64 s[34:35], s47, v6
	v_cndmask_b32_e32 v27, v27, v29, vcc
	v_cndmask_b32_e64 v29, 0, -1, s[34:35]
	v_cmp_eq_u32_e64 s[34:35], 0, v7
	v_cndmask_b32_e64 v29, -1, v29, s[34:35]
	v_cmp_ne_u32_e64 s[34:35], 0, v29
	v_cndmask_b32_e32 v26, v26, v28, vcc
	v_cndmask_b32_e64 v7, v7, v27, s[34:35]
	v_cndmask_b32_e64 v6, v6, v26, s[34:35]
	s_branch .LBB29_1004
.LBB29_1007:
	s_or_b64 exec, exec, s[44:45]
	s_movk_i32 vcc_lo, 0x401
	s_add_u32 vcc_lo, 0x402, vcc_lo
	v_mov_b32_e32 v15, 0xfffff800
	s_addc_u32 s34, 0, 0
	v_add_co_u32_e32 v15, vcc, vcc_lo, v15
	s_cmp_lg_u64 vcc, 0
	v_readfirstlane_b32 vcc_hi, v15
	s_addc_u32 s34, s34, 1
	s_mul_hi_u32 s35, vcc_hi, 0x80000001
	s_mul_i32 vcc_lo, s34, 0x80000001
	s_sub_i32 s35, s35, vcc_hi
	s_add_i32 s35, s35, vcc_lo
	s_mul_i32 s45, vcc_hi, 0x80000001
	s_mul_hi_u32 vcc_lo, vcc_hi, s35
	s_mul_i32 s44, vcc_hi, s35
	s_mul_hi_u32 vcc_hi, vcc_hi, s45
	s_add_u32 vcc_hi, vcc_hi, s44
	s_addc_u32 vcc_lo, 0, vcc_lo
	s_mul_hi_u32 s46, s34, s45
	s_mul_i32 s45, s34, s45
	s_add_u32 vcc_hi, vcc_hi, s45
	s_mul_hi_u32 s44, s34, s35
	s_addc_u32 vcc_lo, vcc_lo, s46
	s_addc_u32 vcc_hi, s44, 0
	s_mul_i32 s35, s34, s35
	s_add_u32 vcc_lo, vcc_lo, s35
	s_addc_u32 s35, 0, vcc_hi
	v_add_co_u32_e32 v15, vcc, vcc_lo, v15
	s_cmp_lg_u64 vcc, 0
	s_addc_u32 s34, s34, s35
	v_mad_u64_u32 v[22:23], vcc, v24, s34, 0
	v_mul_hi_u32 v30, v24, v15
	v_add_co_u32_e32 v30, vcc, v30, v22
	v_addc_co_u32_e32 v34, vcc, 0, v23, vcc
	v_mad_u64_u32 v[22:23], vcc, v25, s34, 0
	v_mad_u64_u32 v[32:33], vcc, v25, v15, 0
	v_add_co_u32_e32 v15, vcc, v30, v32
	v_addc_co_u32_e32 v15, vcc, v34, v33, vcc
	v_addc_co_u32_e32 v23, vcc, 0, v23, vcc
	v_add_co_u32_e32 v15, vcc, v15, v22
	s_brev_b32 s34, -2
	v_addc_co_u32_e32 v32, vcc, 0, v23, vcc
	v_mad_u64_u32 v[22:23], vcc, v15, s34, 0
	v_mov_b32_e32 v30, v23
	v_mad_u64_u32 v[32:33], vcc, v32, s34, v[30:31]
	v_sub_co_u32_e32 v15, vcc, v24, v22
	v_subb_co_u32_e32 v22, vcc, v25, v32, vcc
	v_subrev_co_u32_e32 v23, vcc, 0x7fffffff, v15
	v_subbrev_co_u32_e32 v24, vcc, 0, v22, vcc
	s_mov_b32 s34, 0x7ffffffe
	v_cmp_lt_u32_e32 vcc, s34, v23
	v_cndmask_b32_e64 v25, 0, -1, vcc
	v_cmp_eq_u32_e32 vcc, 0, v24
	v_cndmask_b32_e32 v24, -1, v25, vcc
	v_add_u32_e32 v25, 0x80000001, v23
	v_cmp_ne_u32_e32 vcc, 0, v24
	v_cndmask_b32_e32 v23, v23, v25, vcc
	v_cmp_lt_u32_e32 vcc, s34, v15
	v_cndmask_b32_e64 v24, 0, -1, vcc
	v_cmp_eq_u32_e32 vcc, 0, v22
	v_cndmask_b32_e32 v22, -1, v24, vcc
	v_cmp_ne_u32_e32 vcc, 0, v22
	v_cndmask_b32_e32 v23, v15, v23, vcc
.LBB29_1008:
	s_or_b64 exec, exec, s[38:39]
	s_movk_i32 s38, 0x1388
	v_mov_b32_e32 v22, 0
	s_mov_b32 s39, 0xbc8f1391
	s_mov_b32 s44, 0xbc8f
	s_brev_b32 s45, 12
	s_mov_b32 s46, 0xf800000
	v_mov_b32_e32 v15, 0x260
.LBB29_1009:                            ; =>This Inner Loop Header: Depth=1
	v_mul_hi_u32 v24, v23, s39
	v_lshrrev_b32_e32 v24, 15, v24
	v_mul_u32_u24_e32 v30, 0xadc8, v24
	v_sub_u32_e32 v23, v23, v30
	v_mul_u32_u24_e32 v24, 0xd47, v24
	v_mul_lo_u32 v23, v23, s44
	v_xor_b32_e32 v30, 0x7fffffff, v24
	v_sub_u32_e32 v32, 0, v24
	v_cmp_lt_u32_e32 vcc, v23, v24
	v_cndmask_b32_e32 v24, v32, v30, vcc
	v_add_u32_e32 v23, v24, v23
	v_mul_hi_u32 v30, v23, s39
	v_lshrrev_b32_e32 v30, 15, v30
	v_mul_u32_u24_e32 v32, 0xadc8, v30
	v_add_u32_e32 v24, -1, v23
	v_sub_u32_e32 v23, v23, v32
	v_mul_u32_u24_e32 v30, 0xd47, v30
	v_mul_lo_u32 v23, v23, s44
	v_xor_b32_e32 v32, 0x7fffffff, v30
	v_sub_u32_e32 v33, 0, v30
	v_cmp_lt_u32_e32 vcc, v23, v30
	v_cndmask_b32_e32 v30, v33, v32, vcc
	v_add_u32_e32 v23, v30, v23
	v_mul_hi_u32 v32, v23, s39
	v_add_u32_e32 v30, -1, v23
	v_lshrrev_b32_e32 v32, 15, v32
	v_cvt_f32_u32_e32 v30, v30
	v_mul_u32_u24_e32 v33, 0xadc8, v32
	v_cvt_f32_u32_e32 v24, v24
	v_sub_u32_e32 v23, v23, v33
	v_mul_u32_u24_e32 v32, 0xd47, v32
	v_mul_lo_u32 v23, v23, s44
	v_xor_b32_e32 v33, 0x7fffffff, v32
	v_sub_u32_e32 v34, 0, v32
	v_cmp_lt_u32_e32 vcc, v23, v32
	v_fma_f32 v30, v30, s45, 0
	v_cndmask_b32_e32 v32, v34, v33, vcc
	v_fma_f32 v24, v24, s45, 0
	v_mul_f32_e32 v30, v30, v30
	v_add_u32_e32 v23, v32, v23
	v_fmac_f32_e32 v30, v24, v24
	v_mul_hi_u32 v32, v23, s39
	v_mul_f32_e32 v33, 0x4f800000, v30
	v_lshrrev_b32_e32 v32, 15, v32
	v_cmp_gt_f32_e32 vcc, s46, v30
	v_cndmask_b32_e32 v30, v30, v33, vcc
	v_mul_u32_u24_e32 v33, 0xadc8, v32
	v_add_u32_e32 v24, -1, v23
	v_sqrt_f32_e32 v34, v30
	v_sub_u32_e32 v23, v23, v33
	v_mul_u32_u24_e32 v32, 0xd47, v32
	v_mul_lo_u32 v23, v23, s44
	v_xor_b32_e32 v33, 0x7fffffff, v32
	v_sub_u32_e32 v35, 0, v32
	v_cmp_lt_u32_e64 s[34:35], v23, v32
	v_cndmask_b32_e64 v32, v35, v33, s[34:35]
	v_add_u32_e32 v23, v32, v23
	v_add_u32_e32 v32, -1, v34
	v_add_u32_e32 v33, 1, v34
	v_add_u32_e32 v35, -1, v23
	v_fma_f32 v36, -v32, v34, v30
	v_fma_f32 v37, -v33, v34, v30
	v_cvt_f32_u32_e32 v35, v35
	v_cmp_ge_f32_e64 s[34:35], 0, v36
	v_cvt_f32_u32_e32 v24, v24
	v_cndmask_b32_e64 v32, v34, v32, s[34:35]
	v_cmp_lt_f32_e64 s[34:35], 0, v37
	v_cndmask_b32_e64 v32, v32, v33, s[34:35]
	v_mul_f32_e32 v33, 0x37800000, v32
	v_cndmask_b32_e32 v32, v32, v33, vcc
	v_fma_f32 v33, v35, s45, 0
	v_cmp_class_f32_e32 vcc, v30, v15
	v_fma_f32 v24, v24, s45, 0
	v_cndmask_b32_e32 v30, v32, v30, vcc
	v_mul_f32_e32 v32, v33, v33
	v_add_f32_e32 v25, 1.0, v22
	v_cmp_nge_f32_e32 vcc, 1.0, v30
	v_fmac_f32_e32 v32, v24, v24
	v_cndmask_b32_e32 v22, v25, v22, vcc
	v_mul_f32_e32 v24, 0x4f800000, v32
	v_cmp_gt_f32_e32 vcc, s46, v32
	v_cndmask_b32_e32 v24, v32, v24, vcc
	v_sqrt_f32_e32 v30, v24
	s_add_i32 s38, s38, -2
	v_add_f32_e32 v25, 1.0, v22
	s_cmp_lg_u32 s38, 0
	v_add_u32_e32 v32, -1, v30
	v_add_u32_e32 v33, 1, v30
	v_fma_f32 v34, -v32, v30, v24
	v_fma_f32 v35, -v33, v30, v24
	v_cmp_ge_f32_e64 s[34:35], 0, v34
	v_cndmask_b32_e64 v30, v30, v32, s[34:35]
	v_cmp_lt_f32_e64 s[34:35], 0, v35
	v_cndmask_b32_e64 v30, v30, v33, s[34:35]
	v_mul_f32_e32 v32, 0x37800000, v30
	v_cndmask_b32_e32 v30, v30, v32, vcc
	v_cmp_class_f32_e32 vcc, v24, v15
	v_cndmask_b32_e32 v24, v30, v24, vcc
	v_cmp_nge_f32_e32 vcc, 1.0, v24
	v_cndmask_b32_e32 v22, v25, v22, vcc
	s_cbranch_scc1 .LBB29_1009
; %bb.1010:
	v_mul_f32_e32 v15, 4.0, v22
	s_mov_b32 s34, 0x459c4000
	v_div_scale_f32 v22, vcc, s34, s34, v15
	v_rcp_f32_e32 v23, v22
	v_fma_f32 v24, -v22, v23, 1.0
	v_fmac_f32_e32 v23, v24, v23
	v_div_scale_f32 v24, vcc, v15, s34, v15
	v_mul_f32_e32 v25, v24, v23
	v_fma_f32 v30, -v22, v25, v24
	v_fmac_f32_e32 v25, v30, v23
	v_fma_f32 v22, -v22, v25, v24
	v_div_fmas_f32 v22, v22, v23, v25
	v_div_fixup_f32 v15, v22, s34, v15
.LBB29_1011:
	s_or_b64 exec, exec, s[36:37]
	v_add_u32_e32 v22, 0x700, v27
	v_cmp_lt_u32_e64 s[34:35], v22, v28
	s_and_saveexec_b64 s[38:39], s[34:35]
	s_cbranch_execz .LBB29_1031
; %bb.1012:
	v_add_u32_e32 v16, v29, v22
	s_movk_i32 vcc_lo, 0x1388
	v_mul_lo_u32 v22, v16, vcc_lo
	v_cmp_ne_u32_e32 vcc, 0, v22
	v_mov_b32_e32 v23, 1
	s_and_saveexec_b64 s[44:45], vcc
	s_cbranch_execz .LBB29_1028
; %bb.1013:
	v_mov_b32_e32 v24, 1
	v_mov_b32_e32 v23, 0
	s_mov_b64 s[48:49], 0xbc8f
	s_mov_b64 s[46:47], 0
	v_mov_b32_e32 v25, 0
	s_brev_b32 s52, -2
	s_mov_b32 s53, 0x7ffffffe
	v_mov_b32_e32 v16, 0xfffff800
	s_movk_i32 s54, 0x401
	s_branch .LBB29_1015
.LBB29_1014:                            ;   in Loop: Header=BB29_1015 Depth=1
	s_or_b64 exec, exec, s[50:51]
	s_mul_i32 vcc_lo, s48, s49
	s_mul_hi_u32 vcc_hi, s48, s48
	s_add_i32 vcc_hi, vcc_hi, vcc_lo
	s_add_i32 s36, vcc_hi, vcc_lo
	s_add_u32 vcc_lo, 0x402, s54
	s_mul_i32 s37, s48, s48
	s_addc_u32 s48, 0, 0
	v_add_co_u32_e32 v30, vcc, vcc_lo, v16
	s_cmp_lg_u64 vcc, 0
	v_readfirstlane_b32 vcc_hi, v30
	s_addc_u32 s48, s48, 1
	s_mul_hi_u32 s49, vcc_hi, 0x80000001
	s_mul_i32 vcc_lo, s48, 0x80000001
	s_sub_i32 s49, s49, vcc_hi
	s_add_i32 s49, s49, vcc_lo
	s_mul_i32 s51, vcc_hi, 0x80000001
	s_mul_hi_u32 vcc_lo, vcc_hi, s49
	s_mul_i32 s50, vcc_hi, s49
	s_mul_hi_u32 vcc_hi, vcc_hi, s51
	s_add_u32 vcc_hi, vcc_hi, s50
	s_addc_u32 vcc_lo, 0, vcc_lo
	s_mul_hi_u32 s55, s48, s51
	s_mul_i32 s51, s48, s51
	s_add_u32 vcc_hi, vcc_hi, s51
	s_mul_hi_u32 s50, s48, s49
	s_addc_u32 vcc_lo, vcc_lo, s55
	s_addc_u32 vcc_hi, s50, 0
	s_mul_i32 s49, s48, s49
	s_add_u32 vcc_lo, vcc_lo, s49
	s_addc_u32 s49, 0, vcc_hi
	v_add_co_u32_e32 v30, vcc, vcc_lo, v30
	s_cmp_lg_u64 vcc, 0
	s_addc_u32 vcc_lo, s48, s49
	v_readfirstlane_b32 s49, v30
	s_mul_i32 s48, s37, vcc_lo
	s_mul_hi_u32 s50, s37, s49
	s_mul_hi_u32 vcc_hi, s37, vcc_lo
	s_add_u32 s48, s50, s48
	s_addc_u32 vcc_hi, 0, vcc_hi
	s_mul_hi_u32 s51, s36, s49
	s_mul_i32 s49, s36, s49
	s_add_u32 s48, s48, s49
	s_mul_hi_u32 s50, s36, vcc_lo
	s_addc_u32 vcc_hi, vcc_hi, s51
	s_addc_u32 s48, s50, 0
	s_mul_i32 vcc_lo, s36, vcc_lo
	s_add_u32 vcc_lo, vcc_hi, vcc_lo
	s_addc_u32 vcc_hi, 0, s48
	s_mul_hi_u32 s48, vcc_lo, 0x7fffffff
	s_mul_i32 vcc_lo, vcc_lo, 0x7fffffff
	s_mul_i32 vcc_hi, vcc_hi, 0x7fffffff
	v_mov_b32_e32 v30, vcc_lo
	s_add_i32 s48, s48, vcc_hi
	v_sub_co_u32_e32 v30, vcc, s37, v30
	s_cmp_lg_u64 vcc, 0
	s_subb_u32 s36, s36, s48
	v_subrev_co_u32_e32 v34, vcc, s52, v30
	s_cmp_lg_u64 vcc, 0
	s_subb_u32 s37, s36, 0
	v_subrev_co_u32_e32 v35, vcc, s52, v34
	s_cmp_lg_u64 vcc, 0
	s_subb_u32 vcc_lo, s37, 0
	v_readfirstlane_b32 vcc_hi, v34
	s_cmp_gt_u32 vcc_hi, 0x7ffffffe
	s_cselect_b32 s48, -1, 0
	s_cmp_eq_u32 s37, 0
	s_cselect_b32 s48, s48, -1
	s_cmp_lg_u32 s48, 0
	s_cselect_b32 vcc_lo, vcc_lo, s37
	v_readfirstlane_b32 s37, v35
	s_cselect_b32 vcc_hi, s37, vcc_hi
	v_readfirstlane_b32 s37, v30
	s_cmp_gt_u32 s37, 0x7ffffffe
	s_cselect_b32 s48, -1, 0
	s_cmp_eq_u32 s36, 0
	s_cselect_b32 s48, s48, -1
	s_cmp_lg_u32 s48, 0
	v_lshrrev_b64 v[32:33], 1, v[22:23]
	s_cselect_b32 s49, vcc_lo, s36
	s_cselect_b32 s48, vcc_hi, s37
	v_cmp_gt_u64_e32 vcc, 2, v[22:23]
	s_or_b64 s[46:47], vcc, s[46:47]
	v_pk_mov_b32 v[22:23], v[32:33], v[32:33] op_sel:[0,1]
	s_andn2_b64 exec, exec, s[46:47]
	s_cbranch_execz .LBB29_1027
.LBB29_1015:                            ; =>This Inner Loop Header: Depth=1
	v_and_b32_e32 v30, 1, v22
	v_cmp_eq_u32_e32 vcc, 1, v30
	s_and_saveexec_b64 s[50:51], vcc
	s_cbranch_execz .LBB29_1014
; %bb.1016:                             ;   in Loop: Header=BB29_1015 Depth=1
	v_mul_lo_u32 v30, s49, v24
	v_mul_lo_u32 v32, s48, v25
	v_mad_u64_u32 v[24:25], vcc, s48, v24, 0
	s_add_u32 vcc_lo, 0x402, s54
	v_add3_u32 v25, v25, v32, v30
	s_addc_u32 s36, 0, 0
	v_add_co_u32_e32 v30, vcc, vcc_lo, v16
	s_cmp_lg_u64 vcc, 0
	v_readfirstlane_b32 vcc_hi, v30
	s_addc_u32 s36, s36, 1
	s_mul_hi_u32 s37, vcc_hi, 0x80000001
	s_mul_i32 vcc_lo, s36, 0x80000001
	s_sub_i32 s37, s37, vcc_hi
	s_add_i32 s37, s37, vcc_lo
	s_mul_i32 s56, vcc_hi, 0x80000001
	s_mul_hi_u32 vcc_lo, vcc_hi, s37
	s_mul_i32 s55, vcc_hi, s37
	s_mul_hi_u32 vcc_hi, vcc_hi, s56
	s_add_u32 vcc_hi, vcc_hi, s55
	s_addc_u32 vcc_lo, 0, vcc_lo
	s_mul_hi_u32 s57, s36, s56
	s_mul_i32 s56, s36, s56
	s_add_u32 vcc_hi, vcc_hi, s56
	s_mul_hi_u32 s55, s36, s37
	s_addc_u32 vcc_lo, vcc_lo, s57
	s_addc_u32 vcc_hi, s55, 0
	s_mul_i32 s37, s36, s37
	s_add_u32 vcc_lo, vcc_lo, s37
	s_addc_u32 s37, 0, vcc_hi
	v_add_co_u32_e32 v30, vcc, vcc_lo, v30
	s_cmp_lg_u64 vcc, 0
	s_addc_u32 s36, s36, s37
	v_mad_u64_u32 v[32:33], vcc, v24, s36, 0
	v_mul_hi_u32 v34, v24, v30
	v_add_co_u32_e32 v36, vcc, v34, v32
	v_addc_co_u32_e32 v37, vcc, 0, v33, vcc
	v_mad_u64_u32 v[32:33], vcc, v25, s36, 0
	v_mad_u64_u32 v[34:35], vcc, v25, v30, 0
	v_add_co_u32_e32 v30, vcc, v36, v34
	v_addc_co_u32_e32 v30, vcc, v37, v35, vcc
	v_addc_co_u32_e32 v33, vcc, 0, v33, vcc
	v_add_co_u32_e32 v30, vcc, v30, v32
	v_addc_co_u32_e32 v34, vcc, 0, v33, vcc
	v_mad_u64_u32 v[32:33], vcc, v30, s52, 0
	v_mov_b32_e32 v30, v33
	v_mad_u64_u32 v[34:35], vcc, v34, s52, v[30:31]
	v_sub_co_u32_e32 v24, vcc, v24, v32
	v_subb_co_u32_e32 v25, vcc, v25, v34, vcc
	v_subrev_co_u32_e32 v30, vcc, s52, v24
	v_subbrev_co_u32_e32 v32, vcc, 0, v25, vcc
	v_subrev_co_u32_e32 v33, vcc, s52, v30
	v_subbrev_co_u32_e32 v34, vcc, 0, v32, vcc
	v_cmp_lt_u32_e32 vcc, s53, v30
	v_cndmask_b32_e64 v35, 0, -1, vcc
	v_cmp_eq_u32_e32 vcc, 0, v32
	v_cndmask_b32_e32 v35, -1, v35, vcc
	v_cmp_ne_u32_e32 vcc, 0, v35
	v_cmp_lt_u32_e64 s[36:37], s53, v24
	v_cndmask_b32_e32 v32, v32, v34, vcc
	v_cndmask_b32_e64 v34, 0, -1, s[36:37]
	v_cmp_eq_u32_e64 s[36:37], 0, v25
	v_cndmask_b32_e64 v34, -1, v34, s[36:37]
	v_cmp_ne_u32_e64 s[36:37], 0, v34
	v_cndmask_b32_e32 v30, v30, v33, vcc
	v_cndmask_b32_e64 v25, v25, v32, s[36:37]
	v_cndmask_b32_e64 v24, v24, v30, s[36:37]
	s_branch .LBB29_1014
.LBB29_1017:
	s_or_b64 exec, exec, s[40:41]
	s_movk_i32 vcc_lo, 0x401
	s_add_u32 vcc_lo, 0x402, vcc_lo
	v_mov_b32_e32 v4, 0xfffff800
	s_addc_u32 s34, 0, 0
	v_add_co_u32_e32 v4, vcc, vcc_lo, v4
	s_cmp_lg_u64 vcc, 0
	v_readfirstlane_b32 vcc_hi, v4
	s_addc_u32 s34, s34, 1
	s_mul_hi_u32 s35, vcc_hi, 0x80000001
	s_mul_i32 vcc_lo, s34, 0x80000001
	s_sub_i32 s35, s35, vcc_hi
	s_add_i32 s35, s35, vcc_lo
	s_mul_i32 s41, vcc_hi, 0x80000001
	s_mul_hi_u32 vcc_lo, vcc_hi, s35
	s_mul_i32 s40, vcc_hi, s35
	s_mul_hi_u32 vcc_hi, vcc_hi, s41
	s_add_u32 vcc_hi, vcc_hi, s40
	s_addc_u32 vcc_lo, 0, vcc_lo
	s_mul_hi_u32 s42, s34, s41
	s_mul_i32 s41, s34, s41
	s_add_u32 vcc_hi, vcc_hi, s41
	s_mul_hi_u32 s40, s34, s35
	s_addc_u32 vcc_lo, vcc_lo, s42
	s_addc_u32 vcc_hi, s40, 0
	s_mul_i32 s35, s34, s35
	s_add_u32 vcc_lo, vcc_lo, s35
	s_addc_u32 s35, 0, vcc_hi
	v_add_co_u32_e32 v25, vcc, vcc_lo, v4
	s_cmp_lg_u64 vcc, 0
	s_addc_u32 s34, s34, s35
	v_mad_u64_u32 v[4:5], vcc, v6, s34, 0
	v_mul_hi_u32 v26, v6, v25
	v_add_co_u32_e32 v28, vcc, v26, v4
	v_addc_co_u32_e32 v29, vcc, 0, v5, vcc
	v_mad_u64_u32 v[4:5], vcc, v7, s34, 0
	v_mad_u64_u32 v[26:27], vcc, v7, v25, 0
	v_add_co_u32_e32 v25, vcc, v28, v26
	v_addc_co_u32_e32 v25, vcc, v29, v27, vcc
	v_addc_co_u32_e32 v5, vcc, 0, v5, vcc
	v_add_co_u32_e32 v4, vcc, v25, v4
	s_brev_b32 s34, -2
	v_addc_co_u32_e32 v25, vcc, 0, v5, vcc
	v_mad_u64_u32 v[4:5], vcc, v4, s34, 0
	v_mov_b32_e32 v26, v5
	v_mad_u64_u32 v[26:27], vcc, v25, s34, v[26:27]
	v_sub_co_u32_e32 v4, vcc, v6, v4
	v_subb_co_u32_e32 v5, vcc, v7, v26, vcc
	v_subrev_co_u32_e32 v6, vcc, 0x7fffffff, v4
	v_subbrev_co_u32_e32 v7, vcc, 0, v5, vcc
	s_mov_b32 s34, 0x7ffffffe
	v_cmp_lt_u32_e32 vcc, s34, v6
	v_cndmask_b32_e64 v25, 0, -1, vcc
	v_cmp_eq_u32_e32 vcc, 0, v7
	v_cndmask_b32_e32 v7, -1, v25, vcc
	v_add_u32_e32 v25, 0x80000001, v6
	v_cmp_ne_u32_e32 vcc, 0, v7
	v_cndmask_b32_e32 v6, v6, v25, vcc
	v_cmp_lt_u32_e32 vcc, s34, v4
	v_cndmask_b32_e64 v7, 0, -1, vcc
	v_cmp_eq_u32_e32 vcc, 0, v5
	v_cndmask_b32_e32 v5, -1, v7, vcc
	v_cmp_ne_u32_e32 vcc, 0, v5
	v_cndmask_b32_e32 v6, v4, v6, vcc
.LBB29_1018:
	s_or_b64 exec, exec, s[38:39]
	s_movk_i32 s38, 0x1388
	v_mov_b32_e32 v5, 0
	s_mov_b32 s39, 0xbc8f1391
	s_mov_b32 s40, 0xbc8f
	s_brev_b32 s41, 12
	s_mov_b32 s42, 0xf800000
	v_mov_b32_e32 v4, 0x260
.LBB29_1019:                            ; =>This Inner Loop Header: Depth=1
	v_mul_hi_u32 v7, v6, s39
	v_lshrrev_b32_e32 v7, 15, v7
	v_mul_u32_u24_e32 v26, 0xadc8, v7
	v_sub_u32_e32 v6, v6, v26
	v_mul_u32_u24_e32 v7, 0xd47, v7
	v_mul_lo_u32 v6, v6, s40
	v_xor_b32_e32 v26, 0x7fffffff, v7
	v_sub_u32_e32 v27, 0, v7
	v_cmp_lt_u32_e32 vcc, v6, v7
	v_cndmask_b32_e32 v7, v27, v26, vcc
	v_add_u32_e32 v6, v7, v6
	v_mul_hi_u32 v26, v6, s39
	v_lshrrev_b32_e32 v26, 15, v26
	v_mul_u32_u24_e32 v27, 0xadc8, v26
	v_add_u32_e32 v7, -1, v6
	v_sub_u32_e32 v6, v6, v27
	v_mul_u32_u24_e32 v26, 0xd47, v26
	v_mul_lo_u32 v6, v6, s40
	v_xor_b32_e32 v27, 0x7fffffff, v26
	v_sub_u32_e32 v28, 0, v26
	v_cmp_lt_u32_e32 vcc, v6, v26
	v_cndmask_b32_e32 v26, v28, v27, vcc
	v_add_u32_e32 v6, v26, v6
	v_mul_hi_u32 v27, v6, s39
	v_add_u32_e32 v26, -1, v6
	v_lshrrev_b32_e32 v27, 15, v27
	v_cvt_f32_u32_e32 v26, v26
	v_mul_u32_u24_e32 v28, 0xadc8, v27
	v_cvt_f32_u32_e32 v7, v7
	v_sub_u32_e32 v6, v6, v28
	v_mul_u32_u24_e32 v27, 0xd47, v27
	v_mul_lo_u32 v6, v6, s40
	v_xor_b32_e32 v28, 0x7fffffff, v27
	v_sub_u32_e32 v29, 0, v27
	v_cmp_lt_u32_e32 vcc, v6, v27
	v_fma_f32 v26, v26, s41, 0
	v_cndmask_b32_e32 v27, v29, v28, vcc
	v_fma_f32 v7, v7, s41, 0
	v_mul_f32_e32 v26, v26, v26
	v_add_u32_e32 v6, v27, v6
	v_fmac_f32_e32 v26, v7, v7
	v_mul_hi_u32 v27, v6, s39
	v_mul_f32_e32 v28, 0x4f800000, v26
	v_lshrrev_b32_e32 v27, 15, v27
	v_cmp_gt_f32_e32 vcc, s42, v26
	v_cndmask_b32_e32 v26, v26, v28, vcc
	v_mul_u32_u24_e32 v28, 0xadc8, v27
	v_add_u32_e32 v7, -1, v6
	v_sqrt_f32_e32 v29, v26
	v_sub_u32_e32 v6, v6, v28
	v_mul_u32_u24_e32 v27, 0xd47, v27
	v_mul_lo_u32 v6, v6, s40
	v_xor_b32_e32 v28, 0x7fffffff, v27
	v_sub_u32_e32 v30, 0, v27
	v_cmp_lt_u32_e64 s[34:35], v6, v27
	v_cndmask_b32_e64 v27, v30, v28, s[34:35]
	v_add_u32_e32 v6, v27, v6
	v_add_u32_e32 v27, -1, v29
	v_add_u32_e32 v28, 1, v29
	v_add_u32_e32 v30, -1, v6
	v_fma_f32 v31, -v27, v29, v26
	v_fma_f32 v32, -v28, v29, v26
	v_cvt_f32_u32_e32 v30, v30
	v_cmp_ge_f32_e64 s[34:35], 0, v31
	v_cvt_f32_u32_e32 v7, v7
	v_cndmask_b32_e64 v27, v29, v27, s[34:35]
	v_cmp_lt_f32_e64 s[34:35], 0, v32
	v_cndmask_b32_e64 v27, v27, v28, s[34:35]
	v_mul_f32_e32 v28, 0x37800000, v27
	v_cndmask_b32_e32 v27, v27, v28, vcc
	v_fma_f32 v28, v30, s41, 0
	v_cmp_class_f32_e32 vcc, v26, v4
	v_fma_f32 v7, v7, s41, 0
	v_cndmask_b32_e32 v26, v27, v26, vcc
	v_mul_f32_e32 v27, v28, v28
	v_add_f32_e32 v25, 1.0, v5
	v_cmp_nge_f32_e32 vcc, 1.0, v26
	v_fmac_f32_e32 v27, v7, v7
	v_cndmask_b32_e32 v5, v25, v5, vcc
	v_mul_f32_e32 v7, 0x4f800000, v27
	v_cmp_gt_f32_e32 vcc, s42, v27
	v_cndmask_b32_e32 v7, v27, v7, vcc
	v_sqrt_f32_e32 v26, v7
	s_add_i32 s38, s38, -2
	v_add_f32_e32 v25, 1.0, v5
	s_cmp_lg_u32 s38, 0
	v_add_u32_e32 v27, -1, v26
	v_add_u32_e32 v28, 1, v26
	v_fma_f32 v29, -v27, v26, v7
	v_fma_f32 v30, -v28, v26, v7
	v_cmp_ge_f32_e64 s[34:35], 0, v29
	v_cndmask_b32_e64 v26, v26, v27, s[34:35]
	v_cmp_lt_f32_e64 s[34:35], 0, v30
	v_cndmask_b32_e64 v26, v26, v28, s[34:35]
	v_mul_f32_e32 v27, 0x37800000, v26
	v_cndmask_b32_e32 v26, v26, v27, vcc
	v_cmp_class_f32_e32 vcc, v7, v4
	v_cndmask_b32_e32 v7, v26, v7, vcc
	v_cmp_nge_f32_e32 vcc, 1.0, v7
	v_cndmask_b32_e32 v5, v25, v5, vcc
	s_cbranch_scc1 .LBB29_1019
; %bb.1020:
	v_mul_f32_e32 v4, 4.0, v5
	s_mov_b32 s34, 0x459c4000
	v_div_scale_f32 v5, vcc, s34, s34, v4
	v_rcp_f32_e32 v6, v5
	v_fma_f32 v7, -v5, v6, 1.0
	v_fmac_f32_e32 v6, v7, v6
	v_div_scale_f32 v7, vcc, v4, s34, v4
	v_mul_f32_e32 v25, v7, v6
	v_fma_f32 v26, -v5, v25, v7
	v_fmac_f32_e32 v25, v26, v6
	v_fma_f32 v5, -v5, v25, v7
	v_div_fmas_f32 v5, v5, v6, v25
	v_div_fixup_f32 v25, v5, s34, v4
.LBB29_1021:
	s_or_b64 exec, exec, s[36:37]
	v_add_u32_e32 v4, 0x700, v11
	v_cmp_lt_u32_e64 s[34:35], v4, v8
                                        ; implicit-def: $vgpr26
	s_and_saveexec_b64 s[38:39], s[34:35]
	s_cbranch_execz .LBB29_1041
; %bb.1022:
	v_add_u32_e32 v4, v9, v4
	s_movk_i32 vcc_lo, 0x1388
	v_mul_lo_u32 v4, v4, vcc_lo
	v_cmp_ne_u32_e32 vcc, 0, v4
	v_mov_b32_e32 v6, 1
	s_and_saveexec_b64 s[40:41], vcc
	s_cbranch_execz .LBB29_1038
; %bb.1023:
	v_mov_b32_e32 v6, 1
	v_mov_b32_e32 v5, 0
	s_mov_b64 s[44:45], 0xbc8f
	s_mov_b64 s[42:43], 0
	v_mov_b32_e32 v7, 0
	s_brev_b32 s48, -2
	s_mov_b32 s49, 0x7ffffffe
	v_mov_b32_e32 v26, 0xfffff800
	s_movk_i32 s50, 0x401
	s_branch .LBB29_1025
.LBB29_1024:                            ;   in Loop: Header=BB29_1025 Depth=1
	s_or_b64 exec, exec, s[46:47]
	s_mul_i32 vcc_lo, s44, s45
	s_mul_hi_u32 vcc_hi, s44, s44
	s_add_i32 vcc_hi, vcc_hi, vcc_lo
	s_add_i32 s36, vcc_hi, vcc_lo
	s_add_u32 vcc_lo, 0x402, s50
	s_mul_i32 s37, s44, s44
	s_addc_u32 s44, 0, 0
	v_add_co_u32_e32 v27, vcc, vcc_lo, v26
	s_cmp_lg_u64 vcc, 0
	v_readfirstlane_b32 vcc_hi, v27
	s_addc_u32 s44, s44, 1
	s_mul_hi_u32 s45, vcc_hi, 0x80000001
	s_mul_i32 vcc_lo, s44, 0x80000001
	s_sub_i32 s45, s45, vcc_hi
	s_add_i32 s45, s45, vcc_lo
	s_mul_i32 s47, vcc_hi, 0x80000001
	s_mul_hi_u32 vcc_lo, vcc_hi, s45
	s_mul_i32 s46, vcc_hi, s45
	s_mul_hi_u32 vcc_hi, vcc_hi, s47
	s_add_u32 vcc_hi, vcc_hi, s46
	s_addc_u32 vcc_lo, 0, vcc_lo
	s_mul_hi_u32 s51, s44, s47
	s_mul_i32 s47, s44, s47
	s_add_u32 vcc_hi, vcc_hi, s47
	s_mul_hi_u32 s46, s44, s45
	s_addc_u32 vcc_lo, vcc_lo, s51
	s_addc_u32 vcc_hi, s46, 0
	s_mul_i32 s45, s44, s45
	s_add_u32 vcc_lo, vcc_lo, s45
	s_addc_u32 s45, 0, vcc_hi
	v_add_co_u32_e32 v27, vcc, vcc_lo, v27
	s_cmp_lg_u64 vcc, 0
	s_addc_u32 vcc_lo, s44, s45
	v_readfirstlane_b32 s45, v27
	s_mul_i32 s44, s37, vcc_lo
	s_mul_hi_u32 s46, s37, s45
	s_mul_hi_u32 vcc_hi, s37, vcc_lo
	s_add_u32 s44, s46, s44
	s_addc_u32 vcc_hi, 0, vcc_hi
	s_mul_hi_u32 s47, s36, s45
	s_mul_i32 s45, s36, s45
	s_add_u32 s44, s44, s45
	s_mul_hi_u32 s46, s36, vcc_lo
	s_addc_u32 vcc_hi, vcc_hi, s47
	s_addc_u32 s44, s46, 0
	s_mul_i32 vcc_lo, s36, vcc_lo
	s_add_u32 vcc_lo, vcc_hi, vcc_lo
	s_addc_u32 vcc_hi, 0, s44
	s_mul_hi_u32 s44, vcc_lo, 0x7fffffff
	s_mul_i32 vcc_lo, vcc_lo, 0x7fffffff
	s_mul_i32 vcc_hi, vcc_hi, 0x7fffffff
	v_mov_b32_e32 v27, vcc_lo
	s_add_i32 s44, s44, vcc_hi
	v_sub_co_u32_e32 v27, vcc, s37, v27
	s_cmp_lg_u64 vcc, 0
	s_subb_u32 s36, s36, s44
	v_subrev_co_u32_e32 v30, vcc, s48, v27
	s_cmp_lg_u64 vcc, 0
	s_subb_u32 s37, s36, 0
	v_subrev_co_u32_e32 v31, vcc, s48, v30
	s_cmp_lg_u64 vcc, 0
	s_subb_u32 vcc_lo, s37, 0
	v_readfirstlane_b32 vcc_hi, v30
	s_cmp_gt_u32 vcc_hi, 0x7ffffffe
	s_cselect_b32 s44, -1, 0
	s_cmp_eq_u32 s37, 0
	s_cselect_b32 s44, s44, -1
	s_cmp_lg_u32 s44, 0
	s_cselect_b32 vcc_lo, vcc_lo, s37
	v_readfirstlane_b32 s37, v31
	s_cselect_b32 vcc_hi, s37, vcc_hi
	v_readfirstlane_b32 s37, v27
	s_cmp_gt_u32 s37, 0x7ffffffe
	s_cselect_b32 s44, -1, 0
	s_cmp_eq_u32 s36, 0
	s_cselect_b32 s44, s44, -1
	s_cmp_lg_u32 s44, 0
	v_lshrrev_b64 v[28:29], 1, v[4:5]
	s_cselect_b32 s45, vcc_lo, s36
	s_cselect_b32 s44, vcc_hi, s37
	v_cmp_gt_u64_e32 vcc, 2, v[4:5]
	s_or_b64 s[42:43], vcc, s[42:43]
	v_pk_mov_b32 v[4:5], v[28:29], v[28:29] op_sel:[0,1]
	s_andn2_b64 exec, exec, s[42:43]
	s_cbranch_execz .LBB29_1037
.LBB29_1025:                            ; =>This Inner Loop Header: Depth=1
	v_and_b32_e32 v27, 1, v4
	v_cmp_eq_u32_e32 vcc, 1, v27
	s_and_saveexec_b64 s[46:47], vcc
	s_cbranch_execz .LBB29_1024
; %bb.1026:                             ;   in Loop: Header=BB29_1025 Depth=1
	v_mul_lo_u32 v27, s45, v6
	v_mul_lo_u32 v28, s44, v7
	v_mad_u64_u32 v[6:7], vcc, s44, v6, 0
	s_add_u32 vcc_lo, 0x402, s50
	v_add3_u32 v7, v7, v28, v27
	s_addc_u32 s36, 0, 0
	v_add_co_u32_e32 v27, vcc, vcc_lo, v26
	s_cmp_lg_u64 vcc, 0
	v_readfirstlane_b32 vcc_hi, v27
	s_addc_u32 s36, s36, 1
	s_mul_hi_u32 s37, vcc_hi, 0x80000001
	s_mul_i32 vcc_lo, s36, 0x80000001
	s_sub_i32 s37, s37, vcc_hi
	s_add_i32 s37, s37, vcc_lo
	s_mul_i32 s52, vcc_hi, 0x80000001
	s_mul_hi_u32 vcc_lo, vcc_hi, s37
	s_mul_i32 s51, vcc_hi, s37
	s_mul_hi_u32 vcc_hi, vcc_hi, s52
	s_add_u32 vcc_hi, vcc_hi, s51
	s_addc_u32 vcc_lo, 0, vcc_lo
	s_mul_hi_u32 s53, s36, s52
	s_mul_i32 s52, s36, s52
	s_add_u32 vcc_hi, vcc_hi, s52
	s_mul_hi_u32 s51, s36, s37
	s_addc_u32 vcc_lo, vcc_lo, s53
	s_addc_u32 vcc_hi, s51, 0
	s_mul_i32 s37, s36, s37
	s_add_u32 vcc_lo, vcc_lo, s37
	s_addc_u32 s37, 0, vcc_hi
	v_add_co_u32_e32 v27, vcc, vcc_lo, v27
	s_cmp_lg_u64 vcc, 0
	s_addc_u32 s36, s36, s37
	v_mad_u64_u32 v[28:29], vcc, v6, s36, 0
	v_mul_hi_u32 v30, v6, v27
	v_add_co_u32_e32 v32, vcc, v30, v28
	v_addc_co_u32_e32 v33, vcc, 0, v29, vcc
	v_mad_u64_u32 v[28:29], vcc, v7, s36, 0
	v_mad_u64_u32 v[30:31], vcc, v7, v27, 0
	v_add_co_u32_e32 v27, vcc, v32, v30
	v_addc_co_u32_e32 v27, vcc, v33, v31, vcc
	v_addc_co_u32_e32 v29, vcc, 0, v29, vcc
	v_add_co_u32_e32 v27, vcc, v27, v28
	v_addc_co_u32_e32 v31, vcc, 0, v29, vcc
	v_mad_u64_u32 v[28:29], vcc, v27, s48, 0
	v_mov_b32_e32 v30, v29
	v_mad_u64_u32 v[30:31], vcc, v31, s48, v[30:31]
	v_sub_co_u32_e32 v6, vcc, v6, v28
	v_subb_co_u32_e32 v7, vcc, v7, v30, vcc
	v_subrev_co_u32_e32 v27, vcc, s48, v6
	v_subbrev_co_u32_e32 v28, vcc, 0, v7, vcc
	v_subrev_co_u32_e32 v29, vcc, s48, v27
	v_subbrev_co_u32_e32 v30, vcc, 0, v28, vcc
	v_cmp_lt_u32_e32 vcc, s49, v27
	v_cndmask_b32_e64 v31, 0, -1, vcc
	v_cmp_eq_u32_e32 vcc, 0, v28
	v_cndmask_b32_e32 v31, -1, v31, vcc
	v_cmp_ne_u32_e32 vcc, 0, v31
	v_cmp_lt_u32_e64 s[36:37], s49, v6
	v_cndmask_b32_e32 v28, v28, v30, vcc
	v_cndmask_b32_e64 v30, 0, -1, s[36:37]
	v_cmp_eq_u32_e64 s[36:37], 0, v7
	v_cndmask_b32_e64 v30, -1, v30, s[36:37]
	v_cmp_ne_u32_e64 s[36:37], 0, v30
	v_cndmask_b32_e32 v27, v27, v29, vcc
	v_cndmask_b32_e64 v7, v7, v28, s[36:37]
	v_cndmask_b32_e64 v6, v6, v27, s[36:37]
	s_branch .LBB29_1024
.LBB29_1027:
	s_or_b64 exec, exec, s[46:47]
	s_movk_i32 vcc_lo, 0x401
	s_add_u32 vcc_lo, 0x402, vcc_lo
	v_mov_b32_e32 v16, 0xfffff800
	s_addc_u32 s36, 0, 0
	v_add_co_u32_e32 v16, vcc, vcc_lo, v16
	s_cmp_lg_u64 vcc, 0
	v_readfirstlane_b32 vcc_hi, v16
	s_addc_u32 s36, s36, 1
	s_mul_hi_u32 s37, vcc_hi, 0x80000001
	s_mul_i32 vcc_lo, s36, 0x80000001
	s_sub_i32 s37, s37, vcc_hi
	s_add_i32 s37, s37, vcc_lo
	s_mul_i32 s47, vcc_hi, 0x80000001
	s_mul_hi_u32 vcc_lo, vcc_hi, s37
	s_mul_i32 s46, vcc_hi, s37
	s_mul_hi_u32 vcc_hi, vcc_hi, s47
	s_add_u32 vcc_hi, vcc_hi, s46
	s_addc_u32 vcc_lo, 0, vcc_lo
	s_mul_hi_u32 s48, s36, s47
	s_mul_i32 s47, s36, s47
	s_add_u32 vcc_hi, vcc_hi, s47
	s_mul_hi_u32 s46, s36, s37
	s_addc_u32 vcc_lo, vcc_lo, s48
	s_addc_u32 vcc_hi, s46, 0
	s_mul_i32 s37, s36, s37
	s_add_u32 vcc_lo, vcc_lo, s37
	s_addc_u32 s37, 0, vcc_hi
	v_add_co_u32_e32 v16, vcc, vcc_lo, v16
	s_cmp_lg_u64 vcc, 0
	s_addc_u32 s36, s36, s37
	v_mad_u64_u32 v[22:23], vcc, v24, s36, 0
	v_mul_hi_u32 v30, v24, v16
	v_add_co_u32_e32 v30, vcc, v30, v22
	v_addc_co_u32_e32 v34, vcc, 0, v23, vcc
	v_mad_u64_u32 v[22:23], vcc, v25, s36, 0
	v_mad_u64_u32 v[32:33], vcc, v25, v16, 0
	v_add_co_u32_e32 v16, vcc, v30, v32
	v_addc_co_u32_e32 v16, vcc, v34, v33, vcc
	v_addc_co_u32_e32 v23, vcc, 0, v23, vcc
	v_add_co_u32_e32 v16, vcc, v16, v22
	s_brev_b32 s36, -2
	v_addc_co_u32_e32 v30, vcc, 0, v23, vcc
	v_mad_u64_u32 v[22:23], vcc, v16, s36, 0
	v_mov_b32_e32 v16, v23
	v_mad_u64_u32 v[32:33], vcc, v30, s36, v[16:17]
	v_sub_co_u32_e32 v16, vcc, v24, v22
	v_subb_co_u32_e32 v22, vcc, v25, v32, vcc
	v_subrev_co_u32_e32 v23, vcc, 0x7fffffff, v16
	v_subbrev_co_u32_e32 v24, vcc, 0, v22, vcc
	s_mov_b32 s36, 0x7ffffffe
	v_cmp_lt_u32_e32 vcc, s36, v23
	v_cndmask_b32_e64 v25, 0, -1, vcc
	v_cmp_eq_u32_e32 vcc, 0, v24
	v_cndmask_b32_e32 v24, -1, v25, vcc
	v_add_u32_e32 v25, 0x80000001, v23
	v_cmp_ne_u32_e32 vcc, 0, v24
	v_cndmask_b32_e32 v23, v23, v25, vcc
	v_cmp_lt_u32_e32 vcc, s36, v16
	v_cndmask_b32_e64 v24, 0, -1, vcc
	v_cmp_eq_u32_e32 vcc, 0, v22
	v_cndmask_b32_e32 v22, -1, v24, vcc
	v_cmp_ne_u32_e32 vcc, 0, v22
	v_cndmask_b32_e32 v23, v16, v23, vcc
.LBB29_1028:
	s_or_b64 exec, exec, s[44:45]
	s_movk_i32 s44, 0x1388
	v_mov_b32_e32 v22, 0
	s_mov_b32 s45, 0xbc8f1391
	s_mov_b32 s46, 0xbc8f
	s_brev_b32 s47, 12
	s_mov_b32 s48, 0xf800000
	v_mov_b32_e32 v16, 0x260
.LBB29_1029:                            ; =>This Inner Loop Header: Depth=1
	v_mul_hi_u32 v24, v23, s45
	v_lshrrev_b32_e32 v24, 15, v24
	v_mul_u32_u24_e32 v30, 0xadc8, v24
	v_sub_u32_e32 v23, v23, v30
	v_mul_u32_u24_e32 v24, 0xd47, v24
	v_mul_lo_u32 v23, v23, s46
	v_xor_b32_e32 v30, 0x7fffffff, v24
	v_sub_u32_e32 v32, 0, v24
	v_cmp_lt_u32_e32 vcc, v23, v24
	v_cndmask_b32_e32 v24, v32, v30, vcc
	v_add_u32_e32 v23, v24, v23
	v_mul_hi_u32 v30, v23, s45
	v_lshrrev_b32_e32 v30, 15, v30
	v_mul_u32_u24_e32 v32, 0xadc8, v30
	v_add_u32_e32 v24, -1, v23
	v_sub_u32_e32 v23, v23, v32
	v_mul_u32_u24_e32 v30, 0xd47, v30
	v_mul_lo_u32 v23, v23, s46
	v_xor_b32_e32 v32, 0x7fffffff, v30
	v_sub_u32_e32 v33, 0, v30
	v_cmp_lt_u32_e32 vcc, v23, v30
	v_cndmask_b32_e32 v30, v33, v32, vcc
	v_add_u32_e32 v23, v30, v23
	v_mul_hi_u32 v32, v23, s45
	v_add_u32_e32 v30, -1, v23
	v_lshrrev_b32_e32 v32, 15, v32
	v_cvt_f32_u32_e32 v30, v30
	v_mul_u32_u24_e32 v33, 0xadc8, v32
	v_cvt_f32_u32_e32 v24, v24
	v_sub_u32_e32 v23, v23, v33
	v_mul_u32_u24_e32 v32, 0xd47, v32
	v_mul_lo_u32 v23, v23, s46
	v_xor_b32_e32 v33, 0x7fffffff, v32
	v_sub_u32_e32 v34, 0, v32
	v_cmp_lt_u32_e32 vcc, v23, v32
	v_fma_f32 v30, v30, s47, 0
	v_cndmask_b32_e32 v32, v34, v33, vcc
	v_fma_f32 v24, v24, s47, 0
	v_mul_f32_e32 v30, v30, v30
	v_add_u32_e32 v23, v32, v23
	v_fmac_f32_e32 v30, v24, v24
	v_mul_hi_u32 v32, v23, s45
	v_mul_f32_e32 v33, 0x4f800000, v30
	v_lshrrev_b32_e32 v32, 15, v32
	v_cmp_gt_f32_e32 vcc, s48, v30
	v_cndmask_b32_e32 v30, v30, v33, vcc
	v_mul_u32_u24_e32 v33, 0xadc8, v32
	v_add_u32_e32 v24, -1, v23
	v_sqrt_f32_e32 v34, v30
	v_sub_u32_e32 v23, v23, v33
	v_mul_u32_u24_e32 v32, 0xd47, v32
	v_mul_lo_u32 v23, v23, s46
	v_xor_b32_e32 v33, 0x7fffffff, v32
	v_sub_u32_e32 v35, 0, v32
	v_cmp_lt_u32_e64 s[36:37], v23, v32
	v_cndmask_b32_e64 v32, v35, v33, s[36:37]
	v_add_u32_e32 v23, v32, v23
	v_add_u32_e32 v32, -1, v34
	v_add_u32_e32 v33, 1, v34
	v_add_u32_e32 v35, -1, v23
	v_fma_f32 v36, -v32, v34, v30
	v_fma_f32 v37, -v33, v34, v30
	v_cvt_f32_u32_e32 v35, v35
	v_cmp_ge_f32_e64 s[36:37], 0, v36
	v_cvt_f32_u32_e32 v24, v24
	v_cndmask_b32_e64 v32, v34, v32, s[36:37]
	v_cmp_lt_f32_e64 s[36:37], 0, v37
	v_cndmask_b32_e64 v32, v32, v33, s[36:37]
	v_mul_f32_e32 v33, 0x37800000, v32
	v_cndmask_b32_e32 v32, v32, v33, vcc
	v_fma_f32 v33, v35, s47, 0
	v_cmp_class_f32_e32 vcc, v30, v16
	v_fma_f32 v24, v24, s47, 0
	v_cndmask_b32_e32 v30, v32, v30, vcc
	v_mul_f32_e32 v32, v33, v33
	v_add_f32_e32 v25, 1.0, v22
	v_cmp_nge_f32_e32 vcc, 1.0, v30
	v_fmac_f32_e32 v32, v24, v24
	v_cndmask_b32_e32 v22, v25, v22, vcc
	v_mul_f32_e32 v24, 0x4f800000, v32
	v_cmp_gt_f32_e32 vcc, s48, v32
	v_cndmask_b32_e32 v24, v32, v24, vcc
	v_sqrt_f32_e32 v30, v24
	s_add_i32 s44, s44, -2
	v_add_f32_e32 v25, 1.0, v22
	s_cmp_lg_u32 s44, 0
	v_add_u32_e32 v32, -1, v30
	v_add_u32_e32 v33, 1, v30
	v_fma_f32 v34, -v32, v30, v24
	v_fma_f32 v35, -v33, v30, v24
	v_cmp_ge_f32_e64 s[36:37], 0, v34
	v_cndmask_b32_e64 v30, v30, v32, s[36:37]
	v_cmp_lt_f32_e64 s[36:37], 0, v35
	v_cndmask_b32_e64 v30, v30, v33, s[36:37]
	v_mul_f32_e32 v32, 0x37800000, v30
	v_cndmask_b32_e32 v30, v30, v32, vcc
	v_cmp_class_f32_e32 vcc, v24, v16
	v_cndmask_b32_e32 v24, v30, v24, vcc
	v_cmp_nge_f32_e32 vcc, 1.0, v24
	v_cndmask_b32_e32 v22, v25, v22, vcc
	s_cbranch_scc1 .LBB29_1029
; %bb.1030:
	v_mul_f32_e32 v16, 4.0, v22
	s_mov_b32 s36, 0x459c4000
	v_div_scale_f32 v22, vcc, s36, s36, v16
	v_rcp_f32_e32 v23, v22
	v_fma_f32 v24, -v22, v23, 1.0
	v_fmac_f32_e32 v23, v24, v23
	v_div_scale_f32 v24, vcc, v16, s36, v16
	v_mul_f32_e32 v25, v24, v23
	v_fma_f32 v30, -v22, v25, v24
	v_fmac_f32_e32 v25, v30, v23
	v_fma_f32 v22, -v22, v25, v24
	v_div_fmas_f32 v22, v22, v23, v25
	v_div_fixup_f32 v16, v22, s36, v16
.LBB29_1031:
	s_or_b64 exec, exec, s[38:39]
	v_add_u32_e32 v22, 0x780, v27
	v_cmp_lt_u32_e64 s[36:37], v22, v28
	s_and_saveexec_b64 s[44:45], s[36:37]
	s_cbranch_execz .LBB29_1051
; %bb.1032:
	v_add_u32_e32 v17, v29, v22
	s_movk_i32 vcc_lo, 0x1388
	v_mul_lo_u32 v22, v17, vcc_lo
	v_cmp_ne_u32_e32 vcc, 0, v22
	v_mov_b32_e32 v23, 1
	s_and_saveexec_b64 s[46:47], vcc
	s_cbranch_execz .LBB29_1048
; %bb.1033:
	v_mov_b32_e32 v24, 1
	v_mov_b32_e32 v23, 0
	s_mov_b64 s[50:51], 0xbc8f
	s_mov_b64 s[48:49], 0
	v_mov_b32_e32 v25, 0
	s_brev_b32 s54, -2
	s_mov_b32 s55, 0x7ffffffe
	v_mov_b32_e32 v17, 0xfffff800
	s_movk_i32 s56, 0x401
	s_branch .LBB29_1035
.LBB29_1034:                            ;   in Loop: Header=BB29_1035 Depth=1
	s_or_b64 exec, exec, s[52:53]
	s_mul_i32 vcc_lo, s50, s51
	s_mul_hi_u32 vcc_hi, s50, s50
	s_add_i32 vcc_hi, vcc_hi, vcc_lo
	s_add_i32 s38, vcc_hi, vcc_lo
	s_add_u32 vcc_lo, 0x402, s56
	s_mul_i32 s39, s50, s50
	s_addc_u32 s50, 0, 0
	v_add_co_u32_e32 v29, vcc, vcc_lo, v17
	s_cmp_lg_u64 vcc, 0
	v_readfirstlane_b32 vcc_hi, v29
	s_addc_u32 s50, s50, 1
	s_mul_hi_u32 s51, vcc_hi, 0x80000001
	s_mul_i32 vcc_lo, s50, 0x80000001
	s_sub_i32 s51, s51, vcc_hi
	s_add_i32 s51, s51, vcc_lo
	s_mul_i32 s53, vcc_hi, 0x80000001
	s_mul_hi_u32 vcc_lo, vcc_hi, s51
	s_mul_i32 s52, vcc_hi, s51
	s_mul_hi_u32 vcc_hi, vcc_hi, s53
	s_add_u32 vcc_hi, vcc_hi, s52
	s_addc_u32 vcc_lo, 0, vcc_lo
	s_mul_hi_u32 s57, s50, s53
	s_mul_i32 s53, s50, s53
	s_add_u32 vcc_hi, vcc_hi, s53
	s_mul_hi_u32 s52, s50, s51
	s_addc_u32 vcc_lo, vcc_lo, s57
	s_addc_u32 vcc_hi, s52, 0
	s_mul_i32 s51, s50, s51
	s_add_u32 vcc_lo, vcc_lo, s51
	s_addc_u32 s51, 0, vcc_hi
	v_add_co_u32_e32 v29, vcc, vcc_lo, v29
	s_cmp_lg_u64 vcc, 0
	s_addc_u32 vcc_lo, s50, s51
	v_readfirstlane_b32 s51, v29
	s_mul_i32 s50, s39, vcc_lo
	s_mul_hi_u32 s52, s39, s51
	s_mul_hi_u32 vcc_hi, s39, vcc_lo
	s_add_u32 s50, s52, s50
	s_addc_u32 vcc_hi, 0, vcc_hi
	s_mul_hi_u32 s53, s38, s51
	s_mul_i32 s51, s38, s51
	s_add_u32 s50, s50, s51
	s_mul_hi_u32 s52, s38, vcc_lo
	s_addc_u32 vcc_hi, vcc_hi, s53
	s_addc_u32 s50, s52, 0
	s_mul_i32 vcc_lo, s38, vcc_lo
	s_add_u32 vcc_lo, vcc_hi, vcc_lo
	s_addc_u32 vcc_hi, 0, s50
	s_mul_hi_u32 s50, vcc_lo, 0x7fffffff
	s_mul_i32 vcc_lo, vcc_lo, 0x7fffffff
	s_mul_i32 vcc_hi, vcc_hi, 0x7fffffff
	v_mov_b32_e32 v29, vcc_lo
	s_add_i32 s50, s50, vcc_hi
	v_sub_co_u32_e32 v29, vcc, s39, v29
	s_cmp_lg_u64 vcc, 0
	s_subb_u32 s38, s38, s50
	v_subrev_co_u32_e32 v30, vcc, s54, v29
	s_cmp_lg_u64 vcc, 0
	s_subb_u32 s39, s38, 0
	v_subrev_co_u32_e32 v34, vcc, s54, v30
	s_cmp_lg_u64 vcc, 0
	s_subb_u32 vcc_lo, s39, 0
	v_readfirstlane_b32 vcc_hi, v30
	s_cmp_gt_u32 vcc_hi, 0x7ffffffe
	s_cselect_b32 s50, -1, 0
	s_cmp_eq_u32 s39, 0
	s_cselect_b32 s50, s50, -1
	s_cmp_lg_u32 s50, 0
	s_cselect_b32 vcc_lo, vcc_lo, s39
	v_readfirstlane_b32 s39, v34
	s_cselect_b32 vcc_hi, s39, vcc_hi
	v_readfirstlane_b32 s39, v29
	s_cmp_gt_u32 s39, 0x7ffffffe
	s_cselect_b32 s50, -1, 0
	s_cmp_eq_u32 s38, 0
	s_cselect_b32 s50, s50, -1
	s_cmp_lg_u32 s50, 0
	v_lshrrev_b64 v[32:33], 1, v[22:23]
	s_cselect_b32 s51, vcc_lo, s38
	s_cselect_b32 s50, vcc_hi, s39
	v_cmp_gt_u64_e32 vcc, 2, v[22:23]
	s_or_b64 s[48:49], vcc, s[48:49]
	v_pk_mov_b32 v[22:23], v[32:33], v[32:33] op_sel:[0,1]
	s_andn2_b64 exec, exec, s[48:49]
	s_cbranch_execz .LBB29_1047
.LBB29_1035:                            ; =>This Inner Loop Header: Depth=1
	v_and_b32_e32 v29, 1, v22
	v_cmp_eq_u32_e32 vcc, 1, v29
	s_and_saveexec_b64 s[52:53], vcc
	s_cbranch_execz .LBB29_1034
; %bb.1036:                             ;   in Loop: Header=BB29_1035 Depth=1
	v_mul_lo_u32 v29, s51, v24
	v_mul_lo_u32 v30, s50, v25
	v_mad_u64_u32 v[24:25], vcc, s50, v24, 0
	s_add_u32 vcc_lo, 0x402, s56
	v_add3_u32 v25, v25, v30, v29
	s_addc_u32 s38, 0, 0
	v_add_co_u32_e32 v29, vcc, vcc_lo, v17
	s_cmp_lg_u64 vcc, 0
	v_readfirstlane_b32 vcc_hi, v29
	s_addc_u32 s38, s38, 1
	s_mul_hi_u32 s39, vcc_hi, 0x80000001
	s_mul_i32 vcc_lo, s38, 0x80000001
	s_sub_i32 s39, s39, vcc_hi
	s_add_i32 s39, s39, vcc_lo
	s_mul_i32 s58, vcc_hi, 0x80000001
	s_mul_hi_u32 vcc_lo, vcc_hi, s39
	s_mul_i32 s57, vcc_hi, s39
	s_mul_hi_u32 vcc_hi, vcc_hi, s58
	s_add_u32 vcc_hi, vcc_hi, s57
	s_addc_u32 vcc_lo, 0, vcc_lo
	s_mul_hi_u32 s59, s38, s58
	s_mul_i32 s58, s38, s58
	s_add_u32 vcc_hi, vcc_hi, s58
	s_mul_hi_u32 s57, s38, s39
	s_addc_u32 vcc_lo, vcc_lo, s59
	s_addc_u32 vcc_hi, s57, 0
	s_mul_i32 s39, s38, s39
	s_add_u32 vcc_lo, vcc_lo, s39
	s_addc_u32 s39, 0, vcc_hi
	v_add_co_u32_e32 v29, vcc, vcc_lo, v29
	s_cmp_lg_u64 vcc, 0
	s_addc_u32 s38, s38, s39
	v_mad_u64_u32 v[32:33], vcc, v24, s38, 0
	v_mul_hi_u32 v30, v24, v29
	v_add_co_u32_e32 v30, vcc, v30, v32
	v_addc_co_u32_e32 v36, vcc, 0, v33, vcc
	v_mad_u64_u32 v[32:33], vcc, v25, s38, 0
	v_mad_u64_u32 v[34:35], vcc, v25, v29, 0
	v_add_co_u32_e32 v29, vcc, v30, v34
	v_addc_co_u32_e32 v29, vcc, v36, v35, vcc
	v_addc_co_u32_e32 v30, vcc, 0, v33, vcc
	v_add_co_u32_e32 v29, vcc, v29, v32
	v_addc_co_u32_e32 v34, vcc, 0, v30, vcc
	v_mad_u64_u32 v[32:33], vcc, v29, s54, 0
	v_mov_b32_e32 v30, v33
	v_mad_u64_u32 v[34:35], vcc, v34, s54, v[30:31]
	v_sub_co_u32_e32 v24, vcc, v24, v32
	v_subb_co_u32_e32 v25, vcc, v25, v34, vcc
	v_subrev_co_u32_e32 v29, vcc, s54, v24
	v_subbrev_co_u32_e32 v30, vcc, 0, v25, vcc
	v_subrev_co_u32_e32 v32, vcc, s54, v29
	v_subbrev_co_u32_e32 v33, vcc, 0, v30, vcc
	v_cmp_lt_u32_e32 vcc, s55, v29
	v_cndmask_b32_e64 v34, 0, -1, vcc
	v_cmp_eq_u32_e32 vcc, 0, v30
	v_cndmask_b32_e32 v34, -1, v34, vcc
	v_cmp_ne_u32_e32 vcc, 0, v34
	v_cmp_lt_u32_e64 s[38:39], s55, v24
	v_cndmask_b32_e32 v30, v30, v33, vcc
	v_cndmask_b32_e64 v33, 0, -1, s[38:39]
	v_cmp_eq_u32_e64 s[38:39], 0, v25
	v_cndmask_b32_e64 v33, -1, v33, s[38:39]
	v_cmp_ne_u32_e64 s[38:39], 0, v33
	v_cndmask_b32_e32 v29, v29, v32, vcc
	v_cndmask_b32_e64 v25, v25, v30, s[38:39]
	v_cndmask_b32_e64 v24, v24, v29, s[38:39]
	s_branch .LBB29_1034
.LBB29_1037:
	s_or_b64 exec, exec, s[42:43]
	s_movk_i32 vcc_lo, 0x401
	s_add_u32 vcc_lo, 0x402, vcc_lo
	v_mov_b32_e32 v4, 0xfffff800
	s_addc_u32 s36, 0, 0
	v_add_co_u32_e32 v4, vcc, vcc_lo, v4
	s_cmp_lg_u64 vcc, 0
	v_readfirstlane_b32 vcc_hi, v4
	s_addc_u32 s36, s36, 1
	s_mul_hi_u32 s37, vcc_hi, 0x80000001
	s_mul_i32 vcc_lo, s36, 0x80000001
	s_sub_i32 s37, s37, vcc_hi
	s_add_i32 s37, s37, vcc_lo
	s_mul_i32 s43, vcc_hi, 0x80000001
	s_mul_hi_u32 vcc_lo, vcc_hi, s37
	s_mul_i32 s42, vcc_hi, s37
	s_mul_hi_u32 vcc_hi, vcc_hi, s43
	s_add_u32 vcc_hi, vcc_hi, s42
	s_addc_u32 vcc_lo, 0, vcc_lo
	s_mul_hi_u32 s44, s36, s43
	s_mul_i32 s43, s36, s43
	s_add_u32 vcc_hi, vcc_hi, s43
	s_mul_hi_u32 s42, s36, s37
	s_addc_u32 vcc_lo, vcc_lo, s44
	s_addc_u32 vcc_hi, s42, 0
	s_mul_i32 s37, s36, s37
	s_add_u32 vcc_lo, vcc_lo, s37
	s_addc_u32 s37, 0, vcc_hi
	v_add_co_u32_e32 v26, vcc, vcc_lo, v4
	s_cmp_lg_u64 vcc, 0
	s_addc_u32 s36, s36, s37
	v_mad_u64_u32 v[4:5], vcc, v6, s36, 0
	v_mul_hi_u32 v27, v6, v26
	v_add_co_u32_e32 v28, vcc, v27, v4
	v_addc_co_u32_e32 v29, vcc, 0, v5, vcc
	v_mad_u64_u32 v[4:5], vcc, v7, s36, 0
	v_mad_u64_u32 v[26:27], vcc, v7, v26, 0
	v_add_co_u32_e32 v26, vcc, v28, v26
	v_addc_co_u32_e32 v26, vcc, v29, v27, vcc
	v_addc_co_u32_e32 v5, vcc, 0, v5, vcc
	v_add_co_u32_e32 v4, vcc, v26, v4
	s_brev_b32 s36, -2
	v_addc_co_u32_e32 v27, vcc, 0, v5, vcc
	v_mad_u64_u32 v[4:5], vcc, v4, s36, 0
	v_mov_b32_e32 v26, v5
	v_mad_u64_u32 v[26:27], vcc, v27, s36, v[26:27]
	v_sub_co_u32_e32 v4, vcc, v6, v4
	v_subb_co_u32_e32 v5, vcc, v7, v26, vcc
	v_subrev_co_u32_e32 v6, vcc, 0x7fffffff, v4
	v_subbrev_co_u32_e32 v7, vcc, 0, v5, vcc
	s_mov_b32 s36, 0x7ffffffe
	v_cmp_lt_u32_e32 vcc, s36, v6
	v_cndmask_b32_e64 v26, 0, -1, vcc
	v_cmp_eq_u32_e32 vcc, 0, v7
	v_cndmask_b32_e32 v7, -1, v26, vcc
	v_add_u32_e32 v26, 0x80000001, v6
	v_cmp_ne_u32_e32 vcc, 0, v7
	v_cndmask_b32_e32 v6, v6, v26, vcc
	v_cmp_lt_u32_e32 vcc, s36, v4
	v_cndmask_b32_e64 v7, 0, -1, vcc
	v_cmp_eq_u32_e32 vcc, 0, v5
	v_cndmask_b32_e32 v5, -1, v7, vcc
	v_cmp_ne_u32_e32 vcc, 0, v5
	v_cndmask_b32_e32 v6, v4, v6, vcc
.LBB29_1038:
	s_or_b64 exec, exec, s[40:41]
	s_movk_i32 s40, 0x1388
	v_mov_b32_e32 v5, 0
	s_mov_b32 s41, 0xbc8f1391
	s_mov_b32 s42, 0xbc8f
	s_brev_b32 s43, 12
	s_mov_b32 s44, 0xf800000
	v_mov_b32_e32 v4, 0x260
.LBB29_1039:                            ; =>This Inner Loop Header: Depth=1
	v_mul_hi_u32 v7, v6, s41
	v_lshrrev_b32_e32 v7, 15, v7
	v_mul_u32_u24_e32 v27, 0xadc8, v7
	v_sub_u32_e32 v6, v6, v27
	v_mul_u32_u24_e32 v7, 0xd47, v7
	v_mul_lo_u32 v6, v6, s42
	v_xor_b32_e32 v27, 0x7fffffff, v7
	v_sub_u32_e32 v28, 0, v7
	v_cmp_lt_u32_e32 vcc, v6, v7
	v_cndmask_b32_e32 v7, v28, v27, vcc
	v_add_u32_e32 v6, v7, v6
	v_mul_hi_u32 v27, v6, s41
	v_lshrrev_b32_e32 v27, 15, v27
	v_mul_u32_u24_e32 v28, 0xadc8, v27
	v_add_u32_e32 v7, -1, v6
	v_sub_u32_e32 v6, v6, v28
	v_mul_u32_u24_e32 v27, 0xd47, v27
	v_mul_lo_u32 v6, v6, s42
	v_xor_b32_e32 v28, 0x7fffffff, v27
	v_sub_u32_e32 v29, 0, v27
	v_cmp_lt_u32_e32 vcc, v6, v27
	v_cndmask_b32_e32 v27, v29, v28, vcc
	v_add_u32_e32 v6, v27, v6
	v_mul_hi_u32 v28, v6, s41
	v_add_u32_e32 v27, -1, v6
	v_lshrrev_b32_e32 v28, 15, v28
	v_cvt_f32_u32_e32 v27, v27
	v_mul_u32_u24_e32 v29, 0xadc8, v28
	v_cvt_f32_u32_e32 v7, v7
	v_sub_u32_e32 v6, v6, v29
	v_mul_u32_u24_e32 v28, 0xd47, v28
	v_mul_lo_u32 v6, v6, s42
	v_xor_b32_e32 v29, 0x7fffffff, v28
	v_sub_u32_e32 v30, 0, v28
	v_cmp_lt_u32_e32 vcc, v6, v28
	v_fma_f32 v27, v27, s43, 0
	v_cndmask_b32_e32 v28, v30, v29, vcc
	v_fma_f32 v7, v7, s43, 0
	v_mul_f32_e32 v27, v27, v27
	v_add_u32_e32 v6, v28, v6
	v_fmac_f32_e32 v27, v7, v7
	v_mul_hi_u32 v28, v6, s41
	v_mul_f32_e32 v29, 0x4f800000, v27
	v_lshrrev_b32_e32 v28, 15, v28
	v_cmp_gt_f32_e32 vcc, s44, v27
	v_cndmask_b32_e32 v27, v27, v29, vcc
	v_mul_u32_u24_e32 v29, 0xadc8, v28
	v_add_u32_e32 v7, -1, v6
	v_sqrt_f32_e32 v30, v27
	v_sub_u32_e32 v6, v6, v29
	v_mul_u32_u24_e32 v28, 0xd47, v28
	v_mul_lo_u32 v6, v6, s42
	v_xor_b32_e32 v29, 0x7fffffff, v28
	v_sub_u32_e32 v31, 0, v28
	v_cmp_lt_u32_e64 s[36:37], v6, v28
	v_cndmask_b32_e64 v28, v31, v29, s[36:37]
	v_add_u32_e32 v6, v28, v6
	v_add_u32_e32 v28, -1, v30
	v_add_u32_e32 v29, 1, v30
	v_add_u32_e32 v31, -1, v6
	v_fma_f32 v32, -v28, v30, v27
	v_fma_f32 v33, -v29, v30, v27
	v_cvt_f32_u32_e32 v31, v31
	v_cmp_ge_f32_e64 s[36:37], 0, v32
	v_cvt_f32_u32_e32 v7, v7
	v_cndmask_b32_e64 v28, v30, v28, s[36:37]
	v_cmp_lt_f32_e64 s[36:37], 0, v33
	v_cndmask_b32_e64 v28, v28, v29, s[36:37]
	v_mul_f32_e32 v29, 0x37800000, v28
	v_cndmask_b32_e32 v28, v28, v29, vcc
	v_fma_f32 v29, v31, s43, 0
	v_cmp_class_f32_e32 vcc, v27, v4
	v_fma_f32 v7, v7, s43, 0
	v_cndmask_b32_e32 v27, v28, v27, vcc
	v_mul_f32_e32 v28, v29, v29
	v_add_f32_e32 v26, 1.0, v5
	v_cmp_nge_f32_e32 vcc, 1.0, v27
	v_fmac_f32_e32 v28, v7, v7
	v_cndmask_b32_e32 v5, v26, v5, vcc
	v_mul_f32_e32 v7, 0x4f800000, v28
	v_cmp_gt_f32_e32 vcc, s44, v28
	v_cndmask_b32_e32 v7, v28, v7, vcc
	v_sqrt_f32_e32 v27, v7
	s_add_i32 s40, s40, -2
	v_add_f32_e32 v26, 1.0, v5
	s_cmp_lg_u32 s40, 0
	v_add_u32_e32 v28, -1, v27
	v_add_u32_e32 v29, 1, v27
	v_fma_f32 v30, -v28, v27, v7
	v_fma_f32 v31, -v29, v27, v7
	v_cmp_ge_f32_e64 s[36:37], 0, v30
	v_cndmask_b32_e64 v27, v27, v28, s[36:37]
	v_cmp_lt_f32_e64 s[36:37], 0, v31
	v_cndmask_b32_e64 v27, v27, v29, s[36:37]
	v_mul_f32_e32 v28, 0x37800000, v27
	v_cndmask_b32_e32 v27, v27, v28, vcc
	v_cmp_class_f32_e32 vcc, v7, v4
	v_cndmask_b32_e32 v7, v27, v7, vcc
	v_cmp_nge_f32_e32 vcc, 1.0, v7
	v_cndmask_b32_e32 v5, v26, v5, vcc
	s_cbranch_scc1 .LBB29_1039
; %bb.1040:
	v_mul_f32_e32 v4, 4.0, v5
	s_mov_b32 s36, 0x459c4000
	v_div_scale_f32 v5, vcc, s36, s36, v4
	v_rcp_f32_e32 v6, v5
	v_fma_f32 v7, -v5, v6, 1.0
	v_fmac_f32_e32 v6, v7, v6
	v_div_scale_f32 v7, vcc, v4, s36, v4
	v_mul_f32_e32 v26, v7, v6
	v_fma_f32 v27, -v5, v26, v7
	v_fmac_f32_e32 v26, v27, v6
	v_fma_f32 v5, -v5, v26, v7
	v_div_fmas_f32 v5, v5, v6, v26
	v_div_fixup_f32 v26, v5, s36, v4
.LBB29_1041:
	s_or_b64 exec, exec, s[38:39]
	v_add_u32_e32 v4, 0x780, v11
	v_cmp_lt_u32_e64 s[36:37], v4, v8
                                        ; implicit-def: $vgpr27
	s_and_saveexec_b64 s[40:41], s[36:37]
	s_cbranch_execz .LBB29_1060
; %bb.1042:
	v_add_u32_e32 v4, v9, v4
	s_movk_i32 vcc_lo, 0x1388
	v_mul_lo_u32 v4, v4, vcc_lo
	v_cmp_ne_u32_e32 vcc, 0, v4
	v_mov_b32_e32 v6, 1
	s_and_saveexec_b64 s[42:43], vcc
	s_cbranch_execz .LBB29_1057
; %bb.1043:
	v_mov_b32_e32 v6, 1
	v_mov_b32_e32 v5, 0
	s_mov_b64 s[46:47], 0xbc8f
	s_mov_b64 s[44:45], 0
	v_mov_b32_e32 v7, 0
	s_brev_b32 s50, -2
	s_mov_b32 s51, 0x7ffffffe
	v_mov_b32_e32 v27, 0xfffff800
	s_movk_i32 s52, 0x401
	s_branch .LBB29_1045
.LBB29_1044:                            ;   in Loop: Header=BB29_1045 Depth=1
	s_or_b64 exec, exec, s[48:49]
	s_mul_i32 vcc_lo, s46, s47
	s_mul_hi_u32 vcc_hi, s46, s46
	s_add_i32 vcc_hi, vcc_hi, vcc_lo
	s_add_i32 s38, vcc_hi, vcc_lo
	s_add_u32 vcc_lo, 0x402, s52
	s_mul_i32 s39, s46, s46
	s_addc_u32 s46, 0, 0
	v_add_co_u32_e32 v30, vcc, vcc_lo, v27
	s_cmp_lg_u64 vcc, 0
	v_readfirstlane_b32 vcc_hi, v30
	s_addc_u32 s46, s46, 1
	s_mul_hi_u32 s47, vcc_hi, 0x80000001
	s_mul_i32 vcc_lo, s46, 0x80000001
	s_sub_i32 s47, s47, vcc_hi
	s_add_i32 s47, s47, vcc_lo
	s_mul_i32 s49, vcc_hi, 0x80000001
	s_mul_hi_u32 vcc_lo, vcc_hi, s47
	s_mul_i32 s48, vcc_hi, s47
	s_mul_hi_u32 vcc_hi, vcc_hi, s49
	s_add_u32 vcc_hi, vcc_hi, s48
	s_addc_u32 vcc_lo, 0, vcc_lo
	s_mul_hi_u32 s53, s46, s49
	s_mul_i32 s49, s46, s49
	s_add_u32 vcc_hi, vcc_hi, s49
	s_mul_hi_u32 s48, s46, s47
	s_addc_u32 vcc_lo, vcc_lo, s53
	s_addc_u32 vcc_hi, s48, 0
	s_mul_i32 s47, s46, s47
	s_add_u32 vcc_lo, vcc_lo, s47
	s_addc_u32 s47, 0, vcc_hi
	v_add_co_u32_e32 v30, vcc, vcc_lo, v30
	s_cmp_lg_u64 vcc, 0
	s_addc_u32 vcc_lo, s46, s47
	v_readfirstlane_b32 s47, v30
	s_mul_i32 s46, s39, vcc_lo
	s_mul_hi_u32 s48, s39, s47
	s_mul_hi_u32 vcc_hi, s39, vcc_lo
	s_add_u32 s46, s48, s46
	s_addc_u32 vcc_hi, 0, vcc_hi
	s_mul_hi_u32 s49, s38, s47
	s_mul_i32 s47, s38, s47
	s_add_u32 s46, s46, s47
	s_mul_hi_u32 s48, s38, vcc_lo
	s_addc_u32 vcc_hi, vcc_hi, s49
	s_addc_u32 s46, s48, 0
	s_mul_i32 vcc_lo, s38, vcc_lo
	s_add_u32 vcc_lo, vcc_hi, vcc_lo
	s_addc_u32 vcc_hi, 0, s46
	s_mul_hi_u32 s46, vcc_lo, 0x7fffffff
	s_mul_i32 vcc_lo, vcc_lo, 0x7fffffff
	s_mul_i32 vcc_hi, vcc_hi, 0x7fffffff
	v_mov_b32_e32 v30, vcc_lo
	s_add_i32 s46, s46, vcc_hi
	v_sub_co_u32_e32 v30, vcc, s39, v30
	s_cmp_lg_u64 vcc, 0
	s_subb_u32 s38, s38, s46
	v_subrev_co_u32_e32 v31, vcc, s50, v30
	s_cmp_lg_u64 vcc, 0
	s_subb_u32 s39, s38, 0
	v_subrev_co_u32_e32 v32, vcc, s50, v31
	s_cmp_lg_u64 vcc, 0
	s_subb_u32 vcc_lo, s39, 0
	v_readfirstlane_b32 vcc_hi, v31
	s_cmp_gt_u32 vcc_hi, 0x7ffffffe
	s_cselect_b32 s46, -1, 0
	s_cmp_eq_u32 s39, 0
	s_cselect_b32 s46, s46, -1
	s_cmp_lg_u32 s46, 0
	s_cselect_b32 vcc_lo, vcc_lo, s39
	v_readfirstlane_b32 s39, v32
	s_cselect_b32 vcc_hi, s39, vcc_hi
	v_readfirstlane_b32 s39, v30
	s_cmp_gt_u32 s39, 0x7ffffffe
	s_cselect_b32 s46, -1, 0
	s_cmp_eq_u32 s38, 0
	s_cselect_b32 s46, s46, -1
	s_cmp_lg_u32 s46, 0
	v_lshrrev_b64 v[28:29], 1, v[4:5]
	s_cselect_b32 s47, vcc_lo, s38
	s_cselect_b32 s46, vcc_hi, s39
	v_cmp_gt_u64_e32 vcc, 2, v[4:5]
	s_or_b64 s[44:45], vcc, s[44:45]
	v_pk_mov_b32 v[4:5], v[28:29], v[28:29] op_sel:[0,1]
	s_andn2_b64 exec, exec, s[44:45]
	s_cbranch_execz .LBB29_1056
.LBB29_1045:                            ; =>This Inner Loop Header: Depth=1
	v_and_b32_e32 v28, 1, v4
	v_cmp_eq_u32_e32 vcc, 1, v28
	s_and_saveexec_b64 s[48:49], vcc
	s_cbranch_execz .LBB29_1044
; %bb.1046:                             ;   in Loop: Header=BB29_1045 Depth=1
	v_mul_lo_u32 v28, s47, v6
	v_mul_lo_u32 v29, s46, v7
	v_mad_u64_u32 v[6:7], vcc, s46, v6, 0
	s_add_u32 vcc_lo, 0x402, s52
	v_add3_u32 v7, v7, v29, v28
	s_addc_u32 s38, 0, 0
	v_add_co_u32_e32 v28, vcc, vcc_lo, v27
	s_cmp_lg_u64 vcc, 0
	v_readfirstlane_b32 vcc_hi, v28
	s_addc_u32 s38, s38, 1
	s_mul_hi_u32 s39, vcc_hi, 0x80000001
	s_mul_i32 vcc_lo, s38, 0x80000001
	s_sub_i32 s39, s39, vcc_hi
	s_add_i32 s39, s39, vcc_lo
	s_mul_i32 s54, vcc_hi, 0x80000001
	s_mul_hi_u32 vcc_lo, vcc_hi, s39
	s_mul_i32 s53, vcc_hi, s39
	s_mul_hi_u32 vcc_hi, vcc_hi, s54
	s_add_u32 vcc_hi, vcc_hi, s53
	s_addc_u32 vcc_lo, 0, vcc_lo
	s_mul_hi_u32 s55, s38, s54
	s_mul_i32 s54, s38, s54
	s_add_u32 vcc_hi, vcc_hi, s54
	s_mul_hi_u32 s53, s38, s39
	s_addc_u32 vcc_lo, vcc_lo, s55
	s_addc_u32 vcc_hi, s53, 0
	s_mul_i32 s39, s38, s39
	s_add_u32 vcc_lo, vcc_lo, s39
	s_addc_u32 s39, 0, vcc_hi
	v_add_co_u32_e32 v30, vcc, vcc_lo, v28
	s_cmp_lg_u64 vcc, 0
	s_addc_u32 s38, s38, s39
	v_mad_u64_u32 v[28:29], vcc, v6, s38, 0
	v_mul_hi_u32 v31, v6, v30
	v_add_co_u32_e32 v32, vcc, v31, v28
	v_addc_co_u32_e32 v33, vcc, 0, v29, vcc
	v_mad_u64_u32 v[28:29], vcc, v7, s38, 0
	v_mad_u64_u32 v[30:31], vcc, v7, v30, 0
	v_add_co_u32_e32 v30, vcc, v32, v30
	v_addc_co_u32_e32 v30, vcc, v33, v31, vcc
	v_addc_co_u32_e32 v29, vcc, 0, v29, vcc
	v_add_co_u32_e32 v28, vcc, v30, v28
	v_addc_co_u32_e32 v31, vcc, 0, v29, vcc
	v_mad_u64_u32 v[28:29], vcc, v28, s50, 0
	v_mov_b32_e32 v30, v29
	v_mad_u64_u32 v[30:31], vcc, v31, s50, v[30:31]
	v_sub_co_u32_e32 v6, vcc, v6, v28
	v_subb_co_u32_e32 v7, vcc, v7, v30, vcc
	v_subrev_co_u32_e32 v28, vcc, s50, v6
	v_subbrev_co_u32_e32 v29, vcc, 0, v7, vcc
	v_subrev_co_u32_e32 v30, vcc, s50, v28
	v_subbrev_co_u32_e32 v31, vcc, 0, v29, vcc
	v_cmp_lt_u32_e32 vcc, s51, v28
	v_cndmask_b32_e64 v32, 0, -1, vcc
	v_cmp_eq_u32_e32 vcc, 0, v29
	v_cndmask_b32_e32 v32, -1, v32, vcc
	v_cmp_ne_u32_e32 vcc, 0, v32
	v_cmp_lt_u32_e64 s[38:39], s51, v6
	v_cndmask_b32_e32 v29, v29, v31, vcc
	v_cndmask_b32_e64 v31, 0, -1, s[38:39]
	v_cmp_eq_u32_e64 s[38:39], 0, v7
	v_cndmask_b32_e64 v31, -1, v31, s[38:39]
	v_cmp_ne_u32_e64 s[38:39], 0, v31
	v_cndmask_b32_e32 v28, v28, v30, vcc
	v_cndmask_b32_e64 v7, v7, v29, s[38:39]
	v_cndmask_b32_e64 v6, v6, v28, s[38:39]
	s_branch .LBB29_1044
.LBB29_1047:
	s_or_b64 exec, exec, s[48:49]
	s_movk_i32 vcc_lo, 0x401
	s_add_u32 vcc_lo, 0x402, vcc_lo
	v_mov_b32_e32 v17, 0xfffff800
	s_addc_u32 s38, 0, 0
	v_add_co_u32_e32 v17, vcc, vcc_lo, v17
	s_cmp_lg_u64 vcc, 0
	v_readfirstlane_b32 vcc_hi, v17
	s_addc_u32 s38, s38, 1
	s_mul_hi_u32 s39, vcc_hi, 0x80000001
	s_mul_i32 vcc_lo, s38, 0x80000001
	s_sub_i32 s39, s39, vcc_hi
	s_add_i32 s39, s39, vcc_lo
	s_mul_i32 s49, vcc_hi, 0x80000001
	s_mul_hi_u32 vcc_lo, vcc_hi, s39
	s_mul_i32 s48, vcc_hi, s39
	s_mul_hi_u32 vcc_hi, vcc_hi, s49
	s_add_u32 vcc_hi, vcc_hi, s48
	s_addc_u32 vcc_lo, 0, vcc_lo
	s_mul_hi_u32 s50, s38, s49
	s_mul_i32 s49, s38, s49
	s_add_u32 vcc_hi, vcc_hi, s49
	s_mul_hi_u32 s48, s38, s39
	s_addc_u32 vcc_lo, vcc_lo, s50
	s_addc_u32 vcc_hi, s48, 0
	s_mul_i32 s39, s38, s39
	s_add_u32 vcc_lo, vcc_lo, s39
	s_addc_u32 s39, 0, vcc_hi
	v_add_co_u32_e32 v17, vcc, vcc_lo, v17
	s_cmp_lg_u64 vcc, 0
	s_addc_u32 s38, s38, s39
	v_mad_u64_u32 v[22:23], vcc, v24, s38, 0
	v_mul_hi_u32 v29, v24, v17
	v_add_co_u32_e32 v29, vcc, v29, v22
	v_addc_co_u32_e32 v30, vcc, 0, v23, vcc
	v_mad_u64_u32 v[22:23], vcc, v25, s38, 0
	v_mad_u64_u32 v[32:33], vcc, v25, v17, 0
	v_add_co_u32_e32 v17, vcc, v29, v32
	v_addc_co_u32_e32 v17, vcc, v30, v33, vcc
	v_addc_co_u32_e32 v23, vcc, 0, v23, vcc
	v_add_co_u32_e32 v17, vcc, v17, v22
	s_brev_b32 s38, -2
	v_addc_co_u32_e32 v29, vcc, 0, v23, vcc
	v_mad_u64_u32 v[22:23], vcc, v17, s38, 0
	v_mov_b32_e32 v30, v23
	v_mad_u64_u32 v[32:33], vcc, v29, s38, v[30:31]
	v_sub_co_u32_e32 v17, vcc, v24, v22
	v_subb_co_u32_e32 v22, vcc, v25, v32, vcc
	v_subrev_co_u32_e32 v23, vcc, 0x7fffffff, v17
	v_subbrev_co_u32_e32 v24, vcc, 0, v22, vcc
	s_mov_b32 s38, 0x7ffffffe
	v_cmp_lt_u32_e32 vcc, s38, v23
	v_cndmask_b32_e64 v25, 0, -1, vcc
	v_cmp_eq_u32_e32 vcc, 0, v24
	v_cndmask_b32_e32 v24, -1, v25, vcc
	v_add_u32_e32 v25, 0x80000001, v23
	v_cmp_ne_u32_e32 vcc, 0, v24
	v_cndmask_b32_e32 v23, v23, v25, vcc
	v_cmp_lt_u32_e32 vcc, s38, v17
	v_cndmask_b32_e64 v24, 0, -1, vcc
	v_cmp_eq_u32_e32 vcc, 0, v22
	v_cndmask_b32_e32 v22, -1, v24, vcc
	v_cmp_ne_u32_e32 vcc, 0, v22
	v_cndmask_b32_e32 v23, v17, v23, vcc
.LBB29_1048:
	s_or_b64 exec, exec, s[46:47]
	s_movk_i32 s46, 0x1388
	v_mov_b32_e32 v22, 0
	s_mov_b32 s47, 0xbc8f1391
	s_mov_b32 s48, 0xbc8f
	s_brev_b32 s49, 12
	s_mov_b32 s50, 0xf800000
	v_mov_b32_e32 v17, 0x260
.LBB29_1049:                            ; =>This Inner Loop Header: Depth=1
	v_mul_hi_u32 v24, v23, s47
	v_lshrrev_b32_e32 v24, 15, v24
	v_mul_u32_u24_e32 v29, 0xadc8, v24
	v_sub_u32_e32 v23, v23, v29
	v_mul_u32_u24_e32 v24, 0xd47, v24
	v_mul_lo_u32 v23, v23, s48
	v_xor_b32_e32 v29, 0x7fffffff, v24
	v_sub_u32_e32 v30, 0, v24
	v_cmp_lt_u32_e32 vcc, v23, v24
	v_cndmask_b32_e32 v24, v30, v29, vcc
	v_add_u32_e32 v23, v24, v23
	v_mul_hi_u32 v29, v23, s47
	v_lshrrev_b32_e32 v29, 15, v29
	v_mul_u32_u24_e32 v30, 0xadc8, v29
	v_add_u32_e32 v24, -1, v23
	v_sub_u32_e32 v23, v23, v30
	v_mul_u32_u24_e32 v29, 0xd47, v29
	v_mul_lo_u32 v23, v23, s48
	v_xor_b32_e32 v30, 0x7fffffff, v29
	v_sub_u32_e32 v32, 0, v29
	v_cmp_lt_u32_e32 vcc, v23, v29
	v_cndmask_b32_e32 v29, v32, v30, vcc
	v_add_u32_e32 v23, v29, v23
	v_mul_hi_u32 v30, v23, s47
	v_add_u32_e32 v29, -1, v23
	v_lshrrev_b32_e32 v30, 15, v30
	v_cvt_f32_u32_e32 v29, v29
	v_mul_u32_u24_e32 v32, 0xadc8, v30
	v_cvt_f32_u32_e32 v24, v24
	v_sub_u32_e32 v23, v23, v32
	v_mul_u32_u24_e32 v30, 0xd47, v30
	v_mul_lo_u32 v23, v23, s48
	v_xor_b32_e32 v32, 0x7fffffff, v30
	v_sub_u32_e32 v33, 0, v30
	v_cmp_lt_u32_e32 vcc, v23, v30
	v_fma_f32 v29, v29, s49, 0
	v_cndmask_b32_e32 v30, v33, v32, vcc
	v_fma_f32 v24, v24, s49, 0
	v_mul_f32_e32 v29, v29, v29
	v_add_u32_e32 v23, v30, v23
	v_fmac_f32_e32 v29, v24, v24
	v_mul_hi_u32 v30, v23, s47
	v_mul_f32_e32 v32, 0x4f800000, v29
	v_lshrrev_b32_e32 v30, 15, v30
	v_cmp_gt_f32_e32 vcc, s50, v29
	v_cndmask_b32_e32 v29, v29, v32, vcc
	v_mul_u32_u24_e32 v32, 0xadc8, v30
	v_add_u32_e32 v24, -1, v23
	v_sqrt_f32_e32 v33, v29
	v_sub_u32_e32 v23, v23, v32
	v_mul_u32_u24_e32 v30, 0xd47, v30
	v_mul_lo_u32 v23, v23, s48
	v_xor_b32_e32 v32, 0x7fffffff, v30
	v_sub_u32_e32 v34, 0, v30
	v_cmp_lt_u32_e64 s[38:39], v23, v30
	v_cndmask_b32_e64 v30, v34, v32, s[38:39]
	v_add_u32_e32 v23, v30, v23
	v_add_u32_e32 v30, -1, v33
	v_add_u32_e32 v32, 1, v33
	v_add_u32_e32 v34, -1, v23
	v_fma_f32 v35, -v30, v33, v29
	v_fma_f32 v36, -v32, v33, v29
	v_cvt_f32_u32_e32 v34, v34
	v_cmp_ge_f32_e64 s[38:39], 0, v35
	v_cvt_f32_u32_e32 v24, v24
	v_cndmask_b32_e64 v30, v33, v30, s[38:39]
	v_cmp_lt_f32_e64 s[38:39], 0, v36
	v_cndmask_b32_e64 v30, v30, v32, s[38:39]
	v_mul_f32_e32 v32, 0x37800000, v30
	v_cndmask_b32_e32 v30, v30, v32, vcc
	v_fma_f32 v32, v34, s49, 0
	v_cmp_class_f32_e32 vcc, v29, v17
	v_fma_f32 v24, v24, s49, 0
	v_cndmask_b32_e32 v29, v30, v29, vcc
	v_mul_f32_e32 v30, v32, v32
	v_add_f32_e32 v25, 1.0, v22
	v_cmp_nge_f32_e32 vcc, 1.0, v29
	v_fmac_f32_e32 v30, v24, v24
	v_cndmask_b32_e32 v22, v25, v22, vcc
	v_mul_f32_e32 v24, 0x4f800000, v30
	v_cmp_gt_f32_e32 vcc, s50, v30
	v_cndmask_b32_e32 v24, v30, v24, vcc
	v_sqrt_f32_e32 v29, v24
	s_add_i32 s46, s46, -2
	v_add_f32_e32 v25, 1.0, v22
	s_cmp_lg_u32 s46, 0
	v_add_u32_e32 v30, -1, v29
	v_add_u32_e32 v32, 1, v29
	v_fma_f32 v33, -v30, v29, v24
	v_fma_f32 v34, -v32, v29, v24
	v_cmp_ge_f32_e64 s[38:39], 0, v33
	v_cndmask_b32_e64 v29, v29, v30, s[38:39]
	v_cmp_lt_f32_e64 s[38:39], 0, v34
	v_cndmask_b32_e64 v29, v29, v32, s[38:39]
	v_mul_f32_e32 v30, 0x37800000, v29
	v_cndmask_b32_e32 v29, v29, v30, vcc
	v_cmp_class_f32_e32 vcc, v24, v17
	v_cndmask_b32_e32 v24, v29, v24, vcc
	v_cmp_nge_f32_e32 vcc, 1.0, v24
	v_cndmask_b32_e32 v22, v25, v22, vcc
	s_cbranch_scc1 .LBB29_1049
; %bb.1050:
	v_mul_f32_e32 v17, 4.0, v22
	s_mov_b32 s38, 0x459c4000
	v_div_scale_f32 v22, vcc, s38, s38, v17
	v_rcp_f32_e32 v23, v22
	v_fma_f32 v24, -v22, v23, 1.0
	v_fmac_f32_e32 v23, v24, v23
	v_div_scale_f32 v24, vcc, v17, s38, v17
	v_mul_f32_e32 v25, v24, v23
	v_fma_f32 v29, -v22, v25, v24
	v_fmac_f32_e32 v25, v29, v23
	v_fma_f32 v22, -v22, v25, v24
	v_div_fmas_f32 v22, v22, v23, v25
	v_div_fixup_f32 v17, v22, s38, v17
.LBB29_1051:
	s_or_b64 exec, exec, s[44:45]
	v_add_f32_e32 v3, v2, v3
	v_cndmask_b32_e64 v2, v2, v3, s[4:5]
	v_add_f32_e32 v3, v4, v2
	v_cndmask_b32_e64 v2, v2, v3, s[6:7]
	v_add_f32_e32 v3, v5, v2
	v_cndmask_b32_e64 v2, v2, v3, s[8:9]
	v_add_f32_e32 v3, v6, v2
	v_cndmask_b32_e64 v2, v2, v3, s[10:11]
	v_add_f32_e32 v3, v7, v2
	v_cndmask_b32_e64 v2, v2, v3, s[14:15]
	v_add_f32_e32 v3, v8, v2
	v_cndmask_b32_e64 v2, v2, v3, s[16:17]
	v_add_f32_e32 v3, v9, v2
	v_cndmask_b32_e64 v2, v2, v3, s[18:19]
	v_add_f32_e32 v3, v10, v2
	v_cndmask_b32_e64 v2, v2, v3, s[20:21]
	v_add_f32_e32 v3, v11, v2
	v_cndmask_b32_e64 v2, v2, v3, s[22:23]
	v_add_f32_e32 v3, v12, v2
	v_cndmask_b32_e64 v2, v2, v3, s[24:25]
	v_add_f32_e32 v3, v13, v2
	v_cndmask_b32_e64 v2, v2, v3, s[26:27]
	v_add_f32_e32 v3, v14, v2
	v_cndmask_b32_e64 v2, v2, v3, s[28:29]
	v_add_f32_e32 v3, v15, v2
	v_cndmask_b32_e64 v2, v2, v3, s[30:31]
	v_add_f32_e32 v3, v16, v2
	v_cndmask_b32_e64 v2, v2, v3, s[34:35]
	v_add_f32_e32 v3, v17, v2
	v_cndmask_b32_e64 v4, v2, v3, s[36:37]
	v_mbcnt_lo_u32_b32 v2, -1, 0
	v_mbcnt_hi_u32_b32 v2, -1, v2
	v_and_b32_e32 v5, 63, v2
	v_cmp_ne_u32_e32 vcc, 63, v5
	v_addc_co_u32_e32 v3, vcc, 0, v2, vcc
	v_lshlrev_b32_e32 v3, 2, v3
	ds_bpermute_b32 v6, v3, v4
	v_min_u32_e32 v3, 0x80, v28
	v_and_b32_e32 v7, 0x3c0, v27
	v_sub_u32_e64 v7, v3, v7 clamp
	v_add_u32_e32 v8, 1, v5
	v_cmp_gt_u32_e64 s[4:5], 62, v5
	v_cmp_lt_u32_e32 vcc, v8, v7
	v_cndmask_b32_e64 v8, 0, 1, s[4:5]
	s_waitcnt lgkmcnt(0)
	v_add_f32_e32 v6, v4, v6
	v_lshlrev_b32_e32 v8, 1, v8
	v_cndmask_b32_e32 v6, v4, v6, vcc
	v_add_lshl_u32 v8, v8, v2, 2
	ds_bpermute_b32 v8, v8, v6
	v_add_u32_e32 v9, 2, v5
	v_cmp_lt_u32_e64 s[4:5], v9, v7
	v_add_u32_e32 v9, 4, v5
	s_waitcnt lgkmcnt(0)
	v_add_f32_e32 v8, v6, v8
	v_cndmask_b32_e64 v6, v6, v8, s[4:5]
	v_cmp_gt_u32_e64 s[4:5], 60, v5
	v_cndmask_b32_e64 v8, 0, 1, s[4:5]
	v_lshlrev_b32_e32 v8, 2, v8
	v_add_lshl_u32 v8, v8, v2, 2
	ds_bpermute_b32 v8, v8, v6
	v_cmp_lt_u32_e64 s[4:5], v9, v7
	v_add_u32_e32 v9, 8, v5
	s_waitcnt lgkmcnt(0)
	v_add_f32_e32 v8, v6, v8
	v_cndmask_b32_e64 v6, v6, v8, s[4:5]
	v_cmp_gt_u32_e64 s[4:5], 56, v5
	v_cndmask_b32_e64 v8, 0, 1, s[4:5]
	v_lshlrev_b32_e32 v8, 3, v8
	v_add_lshl_u32 v8, v8, v2, 2
	ds_bpermute_b32 v8, v8, v6
	;; [unrolled: 10-line block ×3, first 2 shown]
	v_cmp_lt_u32_e64 s[4:5], v9, v7
	s_waitcnt lgkmcnt(0)
	v_add_f32_e32 v8, v6, v8
	v_cndmask_b32_e64 v6, v6, v8, s[4:5]
	v_cmp_gt_u32_e64 s[4:5], 32, v5
	v_cndmask_b32_e64 v8, 0, 1, s[4:5]
	v_lshlrev_b32_e32 v8, 5, v8
	v_add_lshl_u32 v8, v8, v2, 2
	ds_bpermute_b32 v8, v8, v6
	v_add_u32_e32 v5, 32, v5
	v_cmp_lt_u32_e64 s[4:5], v5, v7
	s_waitcnt lgkmcnt(0)
	v_add_f32_e32 v8, v6, v8
	v_cndmask_b32_e64 v5, v6, v8, s[4:5]
	v_cndmask_b32_e32 v4, v4, v5, vcc
	v_cmp_eq_u32_e32 vcc, 0, v2
	s_and_saveexec_b64 s[4:5], vcc
	s_cbranch_execz .LBB29_1053
; %bb.1052:
	v_lshrrev_b32_e32 v5, 4, v27
	v_and_b32_e32 v5, 60, v5
	ds_write_b32 v5, v4 offset:48
.LBB29_1053:
	s_or_b64 exec, exec, s[4:5]
	v_cmp_gt_u32_e32 vcc, 2, v27
	s_waitcnt lgkmcnt(0)
	s_barrier
	s_and_saveexec_b64 s[4:5], vcc
	s_cbranch_execz .LBB29_1055
; %bb.1054:
	v_lshlrev_b32_e32 v4, 2, v2
	ds_read_b32 v5, v4 offset:48
	v_or_b32_e32 v4, 4, v4
	v_add_u32_e32 v3, 63, v3
	v_and_b32_e32 v2, 1, v2
	v_lshrrev_b32_e32 v3, 6, v3
	s_waitcnt lgkmcnt(0)
	ds_bpermute_b32 v4, v4, v5
	v_add_u32_e32 v2, 1, v2
	v_cmp_lt_u32_e32 vcc, v2, v3
	s_waitcnt lgkmcnt(0)
	v_add_f32_e32 v4, v5, v4
	v_cndmask_b32_e32 v4, v5, v4, vcc
.LBB29_1055:
	s_or_b64 exec, exec, s[4:5]
	s_or_b64 exec, exec, s[42:43]
	v_cmp_eq_u32_e32 vcc, 0, v27
	s_and_b64 exec, exec, vcc
	s_cbranch_execz .LBB29_1231
; %bb.1241:
	s_getpc_b64 s[92:93]
.Lpost_getpc8:
	s_add_u32 s92, s92, (.LBB29_24-.Lpost_getpc8)&4294967295
	s_addc_u32 s93, s93, (.LBB29_24-.Lpost_getpc8)>>32
	s_setpc_b64 s[92:93]
.LBB29_1231:
	s_getpc_b64 s[92:93]
.Lpost_getpc3:
	s_add_u32 s92, s92, (.LBB29_25-.Lpost_getpc3)&4294967295
	s_addc_u32 s93, s93, (.LBB29_25-.Lpost_getpc3)>>32
	s_setpc_b64 s[92:93]
.LBB29_1056:
	s_or_b64 exec, exec, s[44:45]
	s_movk_i32 vcc_lo, 0x401
	s_add_u32 vcc_lo, 0x402, vcc_lo
	v_mov_b32_e32 v4, 0xfffff800
	s_addc_u32 s38, 0, 0
	v_add_co_u32_e32 v4, vcc, vcc_lo, v4
	s_cmp_lg_u64 vcc, 0
	v_readfirstlane_b32 vcc_hi, v4
	s_addc_u32 s38, s38, 1
	s_mul_hi_u32 s39, vcc_hi, 0x80000001
	s_mul_i32 vcc_lo, s38, 0x80000001
	s_sub_i32 s39, s39, vcc_hi
	s_add_i32 s39, s39, vcc_lo
	s_mul_i32 s45, vcc_hi, 0x80000001
	s_mul_hi_u32 vcc_lo, vcc_hi, s39
	s_mul_i32 s44, vcc_hi, s39
	s_mul_hi_u32 vcc_hi, vcc_hi, s45
	s_add_u32 vcc_hi, vcc_hi, s44
	s_addc_u32 vcc_lo, 0, vcc_lo
	s_mul_hi_u32 s46, s38, s45
	s_mul_i32 s45, s38, s45
	s_add_u32 vcc_hi, vcc_hi, s45
	s_mul_hi_u32 s44, s38, s39
	s_addc_u32 vcc_lo, vcc_lo, s46
	s_addc_u32 vcc_hi, s44, 0
	s_mul_i32 s39, s38, s39
	s_add_u32 vcc_lo, vcc_lo, s39
	s_addc_u32 s39, 0, vcc_hi
	v_add_co_u32_e32 v27, vcc, vcc_lo, v4
	s_cmp_lg_u64 vcc, 0
	s_addc_u32 s38, s38, s39
	v_mad_u64_u32 v[4:5], vcc, v6, s38, 0
	v_mul_hi_u32 v28, v6, v27
	v_add_co_u32_e32 v30, vcc, v28, v4
	v_addc_co_u32_e32 v31, vcc, 0, v5, vcc
	v_mad_u64_u32 v[4:5], vcc, v7, s38, 0
	v_mad_u64_u32 v[28:29], vcc, v7, v27, 0
	v_add_co_u32_e32 v27, vcc, v30, v28
	v_addc_co_u32_e32 v27, vcc, v31, v29, vcc
	v_addc_co_u32_e32 v5, vcc, 0, v5, vcc
	v_add_co_u32_e32 v4, vcc, v27, v4
	s_brev_b32 s38, -2
	v_addc_co_u32_e32 v27, vcc, 0, v5, vcc
	v_mad_u64_u32 v[4:5], vcc, v4, s38, 0
	v_mov_b32_e32 v28, v5
	v_mad_u64_u32 v[28:29], vcc, v27, s38, v[28:29]
	v_sub_co_u32_e32 v4, vcc, v6, v4
	v_subb_co_u32_e32 v5, vcc, v7, v28, vcc
	v_subrev_co_u32_e32 v6, vcc, 0x7fffffff, v4
	v_subbrev_co_u32_e32 v7, vcc, 0, v5, vcc
	s_mov_b32 s38, 0x7ffffffe
	v_cmp_lt_u32_e32 vcc, s38, v6
	v_cndmask_b32_e64 v27, 0, -1, vcc
	v_cmp_eq_u32_e32 vcc, 0, v7
	v_cndmask_b32_e32 v7, -1, v27, vcc
	v_add_u32_e32 v27, 0x80000001, v6
	v_cmp_ne_u32_e32 vcc, 0, v7
	v_cndmask_b32_e32 v6, v6, v27, vcc
	v_cmp_lt_u32_e32 vcc, s38, v4
	v_cndmask_b32_e64 v7, 0, -1, vcc
	v_cmp_eq_u32_e32 vcc, 0, v5
	v_cndmask_b32_e32 v5, -1, v7, vcc
	v_cmp_ne_u32_e32 vcc, 0, v5
	v_cndmask_b32_e32 v6, v4, v6, vcc
.LBB29_1057:
	s_or_b64 exec, exec, s[42:43]
	s_movk_i32 s42, 0x1388
	v_mov_b32_e32 v5, 0
	s_mov_b32 s43, 0xbc8f1391
	s_mov_b32 s44, 0xbc8f
	s_brev_b32 s45, 12
	s_mov_b32 s46, 0xf800000
	v_mov_b32_e32 v4, 0x260
.LBB29_1058:                            ; =>This Inner Loop Header: Depth=1
	v_mul_hi_u32 v7, v6, s43
	v_lshrrev_b32_e32 v7, 15, v7
	v_mul_u32_u24_e32 v28, 0xadc8, v7
	v_sub_u32_e32 v6, v6, v28
	v_mul_u32_u24_e32 v7, 0xd47, v7
	v_mul_lo_u32 v6, v6, s44
	v_xor_b32_e32 v28, 0x7fffffff, v7
	v_sub_u32_e32 v29, 0, v7
	v_cmp_lt_u32_e32 vcc, v6, v7
	v_cndmask_b32_e32 v7, v29, v28, vcc
	v_add_u32_e32 v6, v7, v6
	v_mul_hi_u32 v28, v6, s43
	v_lshrrev_b32_e32 v28, 15, v28
	v_mul_u32_u24_e32 v29, 0xadc8, v28
	v_add_u32_e32 v7, -1, v6
	v_sub_u32_e32 v6, v6, v29
	v_mul_u32_u24_e32 v28, 0xd47, v28
	v_mul_lo_u32 v6, v6, s44
	v_xor_b32_e32 v29, 0x7fffffff, v28
	v_sub_u32_e32 v30, 0, v28
	v_cmp_lt_u32_e32 vcc, v6, v28
	v_cndmask_b32_e32 v28, v30, v29, vcc
	v_add_u32_e32 v6, v28, v6
	v_mul_hi_u32 v29, v6, s43
	v_add_u32_e32 v28, -1, v6
	v_lshrrev_b32_e32 v29, 15, v29
	v_cvt_f32_u32_e32 v28, v28
	v_mul_u32_u24_e32 v30, 0xadc8, v29
	v_cvt_f32_u32_e32 v7, v7
	v_sub_u32_e32 v6, v6, v30
	v_mul_u32_u24_e32 v29, 0xd47, v29
	v_mul_lo_u32 v6, v6, s44
	v_xor_b32_e32 v30, 0x7fffffff, v29
	v_sub_u32_e32 v31, 0, v29
	v_cmp_lt_u32_e32 vcc, v6, v29
	v_fma_f32 v28, v28, s45, 0
	v_cndmask_b32_e32 v29, v31, v30, vcc
	v_fma_f32 v7, v7, s45, 0
	v_mul_f32_e32 v28, v28, v28
	v_add_u32_e32 v6, v29, v6
	v_fmac_f32_e32 v28, v7, v7
	v_mul_hi_u32 v29, v6, s43
	v_mul_f32_e32 v30, 0x4f800000, v28
	v_lshrrev_b32_e32 v29, 15, v29
	v_cmp_gt_f32_e32 vcc, s46, v28
	v_cndmask_b32_e32 v28, v28, v30, vcc
	v_mul_u32_u24_e32 v30, 0xadc8, v29
	v_add_u32_e32 v7, -1, v6
	v_sqrt_f32_e32 v31, v28
	v_sub_u32_e32 v6, v6, v30
	v_mul_u32_u24_e32 v29, 0xd47, v29
	v_mul_lo_u32 v6, v6, s44
	v_xor_b32_e32 v30, 0x7fffffff, v29
	v_sub_u32_e32 v32, 0, v29
	v_cmp_lt_u32_e64 s[38:39], v6, v29
	v_cndmask_b32_e64 v29, v32, v30, s[38:39]
	v_add_u32_e32 v6, v29, v6
	v_add_u32_e32 v29, -1, v31
	v_add_u32_e32 v30, 1, v31
	v_add_u32_e32 v32, -1, v6
	v_fma_f32 v33, -v29, v31, v28
	v_fma_f32 v34, -v30, v31, v28
	v_cvt_f32_u32_e32 v32, v32
	v_cmp_ge_f32_e64 s[38:39], 0, v33
	v_cvt_f32_u32_e32 v7, v7
	v_cndmask_b32_e64 v29, v31, v29, s[38:39]
	v_cmp_lt_f32_e64 s[38:39], 0, v34
	v_cndmask_b32_e64 v29, v29, v30, s[38:39]
	v_mul_f32_e32 v30, 0x37800000, v29
	v_cndmask_b32_e32 v29, v29, v30, vcc
	v_fma_f32 v30, v32, s45, 0
	v_cmp_class_f32_e32 vcc, v28, v4
	v_fma_f32 v7, v7, s45, 0
	v_cndmask_b32_e32 v28, v29, v28, vcc
	v_mul_f32_e32 v29, v30, v30
	v_add_f32_e32 v27, 1.0, v5
	v_cmp_nge_f32_e32 vcc, 1.0, v28
	v_fmac_f32_e32 v29, v7, v7
	v_cndmask_b32_e32 v5, v27, v5, vcc
	v_mul_f32_e32 v7, 0x4f800000, v29
	v_cmp_gt_f32_e32 vcc, s46, v29
	v_cndmask_b32_e32 v7, v29, v7, vcc
	v_sqrt_f32_e32 v28, v7
	s_add_i32 s42, s42, -2
	v_add_f32_e32 v27, 1.0, v5
	s_cmp_lg_u32 s42, 0
	v_add_u32_e32 v29, -1, v28
	v_add_u32_e32 v30, 1, v28
	v_fma_f32 v31, -v29, v28, v7
	v_fma_f32 v32, -v30, v28, v7
	v_cmp_ge_f32_e64 s[38:39], 0, v31
	v_cndmask_b32_e64 v28, v28, v29, s[38:39]
	v_cmp_lt_f32_e64 s[38:39], 0, v32
	v_cndmask_b32_e64 v28, v28, v30, s[38:39]
	v_mul_f32_e32 v29, 0x37800000, v28
	v_cndmask_b32_e32 v28, v28, v29, vcc
	v_cmp_class_f32_e32 vcc, v7, v4
	v_cndmask_b32_e32 v7, v28, v7, vcc
	v_cmp_nge_f32_e32 vcc, 1.0, v7
	v_cndmask_b32_e32 v5, v27, v5, vcc
	s_cbranch_scc1 .LBB29_1058
; %bb.1059:
	v_mul_f32_e32 v4, 4.0, v5
	s_mov_b32 s38, 0x459c4000
	v_div_scale_f32 v5, vcc, s38, s38, v4
	v_rcp_f32_e32 v6, v5
	v_fma_f32 v7, -v5, v6, 1.0
	v_fmac_f32_e32 v6, v7, v6
	v_div_scale_f32 v7, vcc, v4, s38, v4
	v_mul_f32_e32 v27, v7, v6
	v_fma_f32 v28, -v5, v27, v7
	v_fmac_f32_e32 v27, v28, v6
	v_fma_f32 v5, -v5, v27, v7
	v_div_fmas_f32 v5, v5, v6, v27
	v_div_fixup_f32 v27, v5, s38, v4
.LBB29_1060:
	s_or_b64 exec, exec, s[40:41]
	v_or_b32_e32 v4, 0x800, v11
	v_cmp_lt_u32_e64 s[38:39], v4, v8
                                        ; implicit-def: $vgpr28
	s_and_saveexec_b64 s[42:43], s[38:39]
	s_cbranch_execz .LBB29_1070
; %bb.1061:
	v_add_u32_e32 v4, v9, v4
	s_movk_i32 vcc_lo, 0x1388
	v_mul_lo_u32 v4, v4, vcc_lo
	v_cmp_ne_u32_e32 vcc, 0, v4
	v_mov_b32_e32 v6, 1
	s_and_saveexec_b64 s[44:45], vcc
	s_cbranch_execz .LBB29_1067
; %bb.1062:
	v_mov_b32_e32 v6, 1
	v_mov_b32_e32 v5, 0
	s_mov_b64 s[48:49], 0xbc8f
	s_mov_b64 s[46:47], 0
	v_mov_b32_e32 v7, 0
	s_brev_b32 s52, -2
	s_mov_b32 s53, 0x7ffffffe
	v_mov_b32_e32 v28, 0xfffff800
	s_movk_i32 s54, 0x401
	s_branch .LBB29_1064
.LBB29_1063:                            ;   in Loop: Header=BB29_1064 Depth=1
	s_or_b64 exec, exec, s[50:51]
	s_mul_i32 vcc_lo, s48, s49
	s_mul_hi_u32 vcc_hi, s48, s48
	s_add_i32 vcc_hi, vcc_hi, vcc_lo
	s_add_i32 s40, vcc_hi, vcc_lo
	s_add_u32 vcc_lo, 0x402, s54
	s_mul_i32 s41, s48, s48
	s_addc_u32 s48, 0, 0
	v_add_co_u32_e32 v29, vcc, vcc_lo, v28
	s_cmp_lg_u64 vcc, 0
	v_readfirstlane_b32 vcc_hi, v29
	s_addc_u32 s48, s48, 1
	s_mul_hi_u32 s49, vcc_hi, 0x80000001
	s_mul_i32 vcc_lo, s48, 0x80000001
	s_sub_i32 s49, s49, vcc_hi
	s_add_i32 s49, s49, vcc_lo
	s_mul_i32 s51, vcc_hi, 0x80000001
	s_mul_hi_u32 vcc_lo, vcc_hi, s49
	s_mul_i32 s50, vcc_hi, s49
	s_mul_hi_u32 vcc_hi, vcc_hi, s51
	s_add_u32 vcc_hi, vcc_hi, s50
	s_addc_u32 vcc_lo, 0, vcc_lo
	s_mul_hi_u32 s55, s48, s51
	s_mul_i32 s51, s48, s51
	s_add_u32 vcc_hi, vcc_hi, s51
	s_mul_hi_u32 s50, s48, s49
	s_addc_u32 vcc_lo, vcc_lo, s55
	s_addc_u32 vcc_hi, s50, 0
	s_mul_i32 s49, s48, s49
	s_add_u32 vcc_lo, vcc_lo, s49
	s_addc_u32 s49, 0, vcc_hi
	v_add_co_u32_e32 v29, vcc, vcc_lo, v29
	s_cmp_lg_u64 vcc, 0
	s_addc_u32 vcc_lo, s48, s49
	v_readfirstlane_b32 s49, v29
	s_mul_i32 s48, s41, vcc_lo
	s_mul_hi_u32 s50, s41, s49
	s_mul_hi_u32 vcc_hi, s41, vcc_lo
	s_add_u32 s48, s50, s48
	s_addc_u32 vcc_hi, 0, vcc_hi
	s_mul_hi_u32 s51, s40, s49
	s_mul_i32 s49, s40, s49
	s_add_u32 s48, s48, s49
	s_mul_hi_u32 s50, s40, vcc_lo
	s_addc_u32 vcc_hi, vcc_hi, s51
	s_addc_u32 s48, s50, 0
	s_mul_i32 vcc_lo, s40, vcc_lo
	s_add_u32 vcc_lo, vcc_hi, vcc_lo
	s_addc_u32 vcc_hi, 0, s48
	s_mul_hi_u32 s48, vcc_lo, 0x7fffffff
	s_mul_i32 vcc_lo, vcc_lo, 0x7fffffff
	s_mul_i32 vcc_hi, vcc_hi, 0x7fffffff
	v_mov_b32_e32 v29, vcc_lo
	s_add_i32 s48, s48, vcc_hi
	v_sub_co_u32_e32 v29, vcc, s41, v29
	s_cmp_lg_u64 vcc, 0
	s_subb_u32 s40, s40, s48
	v_subrev_co_u32_e32 v32, vcc, s52, v29
	s_cmp_lg_u64 vcc, 0
	s_subb_u32 s41, s40, 0
	v_subrev_co_u32_e32 v33, vcc, s52, v32
	s_cmp_lg_u64 vcc, 0
	s_subb_u32 vcc_lo, s41, 0
	v_readfirstlane_b32 vcc_hi, v32
	s_cmp_gt_u32 vcc_hi, 0x7ffffffe
	s_cselect_b32 s48, -1, 0
	s_cmp_eq_u32 s41, 0
	s_cselect_b32 s48, s48, -1
	s_cmp_lg_u32 s48, 0
	s_cselect_b32 vcc_lo, vcc_lo, s41
	v_readfirstlane_b32 s41, v33
	s_cselect_b32 vcc_hi, s41, vcc_hi
	v_readfirstlane_b32 s41, v29
	s_cmp_gt_u32 s41, 0x7ffffffe
	s_cselect_b32 s48, -1, 0
	s_cmp_eq_u32 s40, 0
	s_cselect_b32 s48, s48, -1
	s_cmp_lg_u32 s48, 0
	v_lshrrev_b64 v[30:31], 1, v[4:5]
	s_cselect_b32 s49, vcc_lo, s40
	s_cselect_b32 s48, vcc_hi, s41
	v_cmp_gt_u64_e32 vcc, 2, v[4:5]
	s_or_b64 s[46:47], vcc, s[46:47]
	v_pk_mov_b32 v[4:5], v[30:31], v[30:31] op_sel:[0,1]
	s_andn2_b64 exec, exec, s[46:47]
	s_cbranch_execz .LBB29_1066
.LBB29_1064:                            ; =>This Inner Loop Header: Depth=1
	v_and_b32_e32 v29, 1, v4
	v_cmp_eq_u32_e32 vcc, 1, v29
	s_and_saveexec_b64 s[50:51], vcc
	s_cbranch_execz .LBB29_1063
; %bb.1065:                             ;   in Loop: Header=BB29_1064 Depth=1
	v_mul_lo_u32 v29, s49, v6
	v_mul_lo_u32 v30, s48, v7
	v_mad_u64_u32 v[6:7], vcc, s48, v6, 0
	s_add_u32 vcc_lo, 0x402, s54
	v_add3_u32 v7, v7, v30, v29
	s_addc_u32 s40, 0, 0
	v_add_co_u32_e32 v29, vcc, vcc_lo, v28
	s_cmp_lg_u64 vcc, 0
	v_readfirstlane_b32 vcc_hi, v29
	s_addc_u32 s40, s40, 1
	s_mul_hi_u32 s41, vcc_hi, 0x80000001
	s_mul_i32 vcc_lo, s40, 0x80000001
	s_sub_i32 s41, s41, vcc_hi
	s_add_i32 s41, s41, vcc_lo
	s_mul_i32 s56, vcc_hi, 0x80000001
	s_mul_hi_u32 vcc_lo, vcc_hi, s41
	s_mul_i32 s55, vcc_hi, s41
	s_mul_hi_u32 vcc_hi, vcc_hi, s56
	s_add_u32 vcc_hi, vcc_hi, s55
	s_addc_u32 vcc_lo, 0, vcc_lo
	s_mul_hi_u32 s57, s40, s56
	s_mul_i32 s56, s40, s56
	s_add_u32 vcc_hi, vcc_hi, s56
	s_mul_hi_u32 s55, s40, s41
	s_addc_u32 vcc_lo, vcc_lo, s57
	s_addc_u32 vcc_hi, s55, 0
	s_mul_i32 s41, s40, s41
	s_add_u32 vcc_lo, vcc_lo, s41
	s_addc_u32 s41, 0, vcc_hi
	v_add_co_u32_e32 v29, vcc, vcc_lo, v29
	s_cmp_lg_u64 vcc, 0
	s_addc_u32 s40, s40, s41
	v_mad_u64_u32 v[30:31], vcc, v6, s40, 0
	v_mul_hi_u32 v32, v6, v29
	v_add_co_u32_e32 v34, vcc, v32, v30
	v_addc_co_u32_e32 v35, vcc, 0, v31, vcc
	v_mad_u64_u32 v[30:31], vcc, v7, s40, 0
	v_mad_u64_u32 v[32:33], vcc, v7, v29, 0
	v_add_co_u32_e32 v29, vcc, v34, v32
	v_addc_co_u32_e32 v29, vcc, v35, v33, vcc
	v_addc_co_u32_e32 v31, vcc, 0, v31, vcc
	v_add_co_u32_e32 v29, vcc, v29, v30
	v_addc_co_u32_e32 v33, vcc, 0, v31, vcc
	v_mad_u64_u32 v[30:31], vcc, v29, s52, 0
	v_mov_b32_e32 v32, v31
	v_mad_u64_u32 v[32:33], vcc, v33, s52, v[32:33]
	v_sub_co_u32_e32 v6, vcc, v6, v30
	v_subb_co_u32_e32 v7, vcc, v7, v32, vcc
	v_subrev_co_u32_e32 v29, vcc, s52, v6
	v_subbrev_co_u32_e32 v30, vcc, 0, v7, vcc
	v_subrev_co_u32_e32 v31, vcc, s52, v29
	v_subbrev_co_u32_e32 v32, vcc, 0, v30, vcc
	v_cmp_lt_u32_e32 vcc, s53, v29
	v_cndmask_b32_e64 v33, 0, -1, vcc
	v_cmp_eq_u32_e32 vcc, 0, v30
	v_cndmask_b32_e32 v33, -1, v33, vcc
	v_cmp_ne_u32_e32 vcc, 0, v33
	v_cmp_lt_u32_e64 s[40:41], s53, v6
	v_cndmask_b32_e32 v30, v30, v32, vcc
	v_cndmask_b32_e64 v32, 0, -1, s[40:41]
	v_cmp_eq_u32_e64 s[40:41], 0, v7
	v_cndmask_b32_e64 v32, -1, v32, s[40:41]
	v_cmp_ne_u32_e64 s[40:41], 0, v32
	v_cndmask_b32_e32 v29, v29, v31, vcc
	v_cndmask_b32_e64 v7, v7, v30, s[40:41]
	v_cndmask_b32_e64 v6, v6, v29, s[40:41]
	s_branch .LBB29_1063
.LBB29_1066:
	s_or_b64 exec, exec, s[46:47]
	s_movk_i32 vcc_lo, 0x401
	s_add_u32 vcc_lo, 0x402, vcc_lo
	v_mov_b32_e32 v4, 0xfffff800
	s_addc_u32 s40, 0, 0
	v_add_co_u32_e32 v4, vcc, vcc_lo, v4
	s_cmp_lg_u64 vcc, 0
	v_readfirstlane_b32 vcc_hi, v4
	s_addc_u32 s40, s40, 1
	s_mul_hi_u32 s41, vcc_hi, 0x80000001
	s_mul_i32 vcc_lo, s40, 0x80000001
	s_sub_i32 s41, s41, vcc_hi
	s_add_i32 s41, s41, vcc_lo
	s_mul_i32 s47, vcc_hi, 0x80000001
	s_mul_hi_u32 vcc_lo, vcc_hi, s41
	s_mul_i32 s46, vcc_hi, s41
	s_mul_hi_u32 vcc_hi, vcc_hi, s47
	s_add_u32 vcc_hi, vcc_hi, s46
	s_addc_u32 vcc_lo, 0, vcc_lo
	s_mul_hi_u32 s48, s40, s47
	s_mul_i32 s47, s40, s47
	s_add_u32 vcc_hi, vcc_hi, s47
	s_mul_hi_u32 s46, s40, s41
	s_addc_u32 vcc_lo, vcc_lo, s48
	s_addc_u32 vcc_hi, s46, 0
	s_mul_i32 s41, s40, s41
	s_add_u32 vcc_lo, vcc_lo, s41
	s_addc_u32 s41, 0, vcc_hi
	v_add_co_u32_e32 v28, vcc, vcc_lo, v4
	s_cmp_lg_u64 vcc, 0
	s_addc_u32 s40, s40, s41
	v_mad_u64_u32 v[4:5], vcc, v6, s40, 0
	v_mul_hi_u32 v29, v6, v28
	v_add_co_u32_e32 v30, vcc, v29, v4
	v_addc_co_u32_e32 v31, vcc, 0, v5, vcc
	v_mad_u64_u32 v[4:5], vcc, v7, s40, 0
	v_mad_u64_u32 v[28:29], vcc, v7, v28, 0
	v_add_co_u32_e32 v28, vcc, v30, v28
	v_addc_co_u32_e32 v28, vcc, v31, v29, vcc
	v_addc_co_u32_e32 v5, vcc, 0, v5, vcc
	v_add_co_u32_e32 v4, vcc, v28, v4
	s_brev_b32 s40, -2
	v_addc_co_u32_e32 v29, vcc, 0, v5, vcc
	v_mad_u64_u32 v[4:5], vcc, v4, s40, 0
	v_mov_b32_e32 v28, v5
	v_mad_u64_u32 v[28:29], vcc, v29, s40, v[28:29]
	v_sub_co_u32_e32 v4, vcc, v6, v4
	v_subb_co_u32_e32 v5, vcc, v7, v28, vcc
	v_subrev_co_u32_e32 v6, vcc, 0x7fffffff, v4
	v_subbrev_co_u32_e32 v7, vcc, 0, v5, vcc
	s_mov_b32 s40, 0x7ffffffe
	v_cmp_lt_u32_e32 vcc, s40, v6
	v_cndmask_b32_e64 v28, 0, -1, vcc
	v_cmp_eq_u32_e32 vcc, 0, v7
	v_cndmask_b32_e32 v7, -1, v28, vcc
	v_add_u32_e32 v28, 0x80000001, v6
	v_cmp_ne_u32_e32 vcc, 0, v7
	v_cndmask_b32_e32 v6, v6, v28, vcc
	v_cmp_lt_u32_e32 vcc, s40, v4
	v_cndmask_b32_e64 v7, 0, -1, vcc
	v_cmp_eq_u32_e32 vcc, 0, v5
	v_cndmask_b32_e32 v5, -1, v7, vcc
	v_cmp_ne_u32_e32 vcc, 0, v5
	v_cndmask_b32_e32 v6, v4, v6, vcc
.LBB29_1067:
	s_or_b64 exec, exec, s[44:45]
	s_movk_i32 s44, 0x1388
	v_mov_b32_e32 v5, 0
	s_mov_b32 s45, 0xbc8f1391
	s_mov_b32 s46, 0xbc8f
	s_brev_b32 s47, 12
	s_mov_b32 s48, 0xf800000
	v_mov_b32_e32 v4, 0x260
.LBB29_1068:                            ; =>This Inner Loop Header: Depth=1
	v_mul_hi_u32 v7, v6, s45
	v_lshrrev_b32_e32 v7, 15, v7
	v_mul_u32_u24_e32 v29, 0xadc8, v7
	v_sub_u32_e32 v6, v6, v29
	v_mul_u32_u24_e32 v7, 0xd47, v7
	v_mul_lo_u32 v6, v6, s46
	v_xor_b32_e32 v29, 0x7fffffff, v7
	v_sub_u32_e32 v30, 0, v7
	v_cmp_lt_u32_e32 vcc, v6, v7
	v_cndmask_b32_e32 v7, v30, v29, vcc
	v_add_u32_e32 v6, v7, v6
	v_mul_hi_u32 v29, v6, s45
	v_lshrrev_b32_e32 v29, 15, v29
	v_mul_u32_u24_e32 v30, 0xadc8, v29
	v_add_u32_e32 v7, -1, v6
	v_sub_u32_e32 v6, v6, v30
	v_mul_u32_u24_e32 v29, 0xd47, v29
	v_mul_lo_u32 v6, v6, s46
	v_xor_b32_e32 v30, 0x7fffffff, v29
	v_sub_u32_e32 v31, 0, v29
	v_cmp_lt_u32_e32 vcc, v6, v29
	v_cndmask_b32_e32 v29, v31, v30, vcc
	v_add_u32_e32 v6, v29, v6
	v_mul_hi_u32 v30, v6, s45
	v_add_u32_e32 v29, -1, v6
	v_lshrrev_b32_e32 v30, 15, v30
	v_cvt_f32_u32_e32 v29, v29
	v_mul_u32_u24_e32 v31, 0xadc8, v30
	v_cvt_f32_u32_e32 v7, v7
	v_sub_u32_e32 v6, v6, v31
	v_mul_u32_u24_e32 v30, 0xd47, v30
	v_mul_lo_u32 v6, v6, s46
	v_xor_b32_e32 v31, 0x7fffffff, v30
	v_sub_u32_e32 v32, 0, v30
	v_cmp_lt_u32_e32 vcc, v6, v30
	v_fma_f32 v29, v29, s47, 0
	v_cndmask_b32_e32 v30, v32, v31, vcc
	v_fma_f32 v7, v7, s47, 0
	v_mul_f32_e32 v29, v29, v29
	v_add_u32_e32 v6, v30, v6
	v_fmac_f32_e32 v29, v7, v7
	v_mul_hi_u32 v30, v6, s45
	v_mul_f32_e32 v31, 0x4f800000, v29
	v_lshrrev_b32_e32 v30, 15, v30
	v_cmp_gt_f32_e32 vcc, s48, v29
	v_cndmask_b32_e32 v29, v29, v31, vcc
	v_mul_u32_u24_e32 v31, 0xadc8, v30
	v_add_u32_e32 v7, -1, v6
	v_sqrt_f32_e32 v32, v29
	v_sub_u32_e32 v6, v6, v31
	v_mul_u32_u24_e32 v30, 0xd47, v30
	v_mul_lo_u32 v6, v6, s46
	v_xor_b32_e32 v31, 0x7fffffff, v30
	v_sub_u32_e32 v33, 0, v30
	v_cmp_lt_u32_e64 s[40:41], v6, v30
	v_cndmask_b32_e64 v30, v33, v31, s[40:41]
	v_add_u32_e32 v6, v30, v6
	v_add_u32_e32 v30, -1, v32
	v_add_u32_e32 v31, 1, v32
	v_add_u32_e32 v33, -1, v6
	v_fma_f32 v34, -v30, v32, v29
	v_fma_f32 v35, -v31, v32, v29
	v_cvt_f32_u32_e32 v33, v33
	v_cmp_ge_f32_e64 s[40:41], 0, v34
	v_cvt_f32_u32_e32 v7, v7
	v_cndmask_b32_e64 v30, v32, v30, s[40:41]
	v_cmp_lt_f32_e64 s[40:41], 0, v35
	v_cndmask_b32_e64 v30, v30, v31, s[40:41]
	v_mul_f32_e32 v31, 0x37800000, v30
	v_cndmask_b32_e32 v30, v30, v31, vcc
	v_fma_f32 v31, v33, s47, 0
	v_cmp_class_f32_e32 vcc, v29, v4
	v_fma_f32 v7, v7, s47, 0
	v_cndmask_b32_e32 v29, v30, v29, vcc
	v_mul_f32_e32 v30, v31, v31
	v_add_f32_e32 v28, 1.0, v5
	v_cmp_nge_f32_e32 vcc, 1.0, v29
	v_fmac_f32_e32 v30, v7, v7
	v_cndmask_b32_e32 v5, v28, v5, vcc
	v_mul_f32_e32 v7, 0x4f800000, v30
	v_cmp_gt_f32_e32 vcc, s48, v30
	v_cndmask_b32_e32 v7, v30, v7, vcc
	v_sqrt_f32_e32 v29, v7
	s_add_i32 s44, s44, -2
	v_add_f32_e32 v28, 1.0, v5
	s_cmp_lg_u32 s44, 0
	v_add_u32_e32 v30, -1, v29
	v_add_u32_e32 v31, 1, v29
	v_fma_f32 v32, -v30, v29, v7
	v_fma_f32 v33, -v31, v29, v7
	v_cmp_ge_f32_e64 s[40:41], 0, v32
	v_cndmask_b32_e64 v29, v29, v30, s[40:41]
	v_cmp_lt_f32_e64 s[40:41], 0, v33
	v_cndmask_b32_e64 v29, v29, v31, s[40:41]
	v_mul_f32_e32 v30, 0x37800000, v29
	v_cndmask_b32_e32 v29, v29, v30, vcc
	v_cmp_class_f32_e32 vcc, v7, v4
	v_cndmask_b32_e32 v7, v29, v7, vcc
	v_cmp_nge_f32_e32 vcc, 1.0, v7
	v_cndmask_b32_e32 v5, v28, v5, vcc
	s_cbranch_scc1 .LBB29_1068
; %bb.1069:
	v_mul_f32_e32 v4, 4.0, v5
	s_mov_b32 s40, 0x459c4000
	v_div_scale_f32 v5, vcc, s40, s40, v4
	v_rcp_f32_e32 v6, v5
	v_fma_f32 v7, -v5, v6, 1.0
	v_fmac_f32_e32 v6, v7, v6
	v_div_scale_f32 v7, vcc, v4, s40, v4
	v_mul_f32_e32 v28, v7, v6
	v_fma_f32 v29, -v5, v28, v7
	v_fmac_f32_e32 v28, v29, v6
	v_fma_f32 v5, -v5, v28, v7
	v_div_fmas_f32 v5, v5, v6, v28
	v_div_fixup_f32 v28, v5, s40, v4
.LBB29_1070:
	s_or_b64 exec, exec, s[42:43]
	v_add_u32_e32 v4, 0x880, v11
	v_cmp_lt_u32_e64 s[40:41], v4, v8
                                        ; implicit-def: $vgpr29
	s_and_saveexec_b64 s[44:45], s[40:41]
	s_cbranch_execz .LBB29_1080
; %bb.1071:
	v_add_u32_e32 v4, v9, v4
	s_movk_i32 vcc_lo, 0x1388
	v_mul_lo_u32 v4, v4, vcc_lo
	v_cmp_ne_u32_e32 vcc, 0, v4
	v_mov_b32_e32 v6, 1
	s_and_saveexec_b64 s[46:47], vcc
	s_cbranch_execz .LBB29_1077
; %bb.1072:
	v_mov_b32_e32 v6, 1
	v_mov_b32_e32 v5, 0
	s_mov_b64 s[50:51], 0xbc8f
	s_mov_b64 s[48:49], 0
	v_mov_b32_e32 v7, 0
	s_brev_b32 s54, -2
	s_mov_b32 s55, 0x7ffffffe
	v_mov_b32_e32 v29, 0xfffff800
	s_movk_i32 s56, 0x401
	s_branch .LBB29_1074
.LBB29_1073:                            ;   in Loop: Header=BB29_1074 Depth=1
	s_or_b64 exec, exec, s[52:53]
	s_mul_i32 vcc_lo, s50, s51
	s_mul_hi_u32 vcc_hi, s50, s50
	s_add_i32 vcc_hi, vcc_hi, vcc_lo
	s_add_i32 s42, vcc_hi, vcc_lo
	s_add_u32 vcc_lo, 0x402, s56
	s_mul_i32 s43, s50, s50
	s_addc_u32 s50, 0, 0
	v_add_co_u32_e32 v32, vcc, vcc_lo, v29
	s_cmp_lg_u64 vcc, 0
	v_readfirstlane_b32 vcc_hi, v32
	s_addc_u32 s50, s50, 1
	s_mul_hi_u32 s51, vcc_hi, 0x80000001
	s_mul_i32 vcc_lo, s50, 0x80000001
	s_sub_i32 s51, s51, vcc_hi
	s_add_i32 s51, s51, vcc_lo
	s_mul_i32 s53, vcc_hi, 0x80000001
	s_mul_hi_u32 vcc_lo, vcc_hi, s51
	s_mul_i32 s52, vcc_hi, s51
	s_mul_hi_u32 vcc_hi, vcc_hi, s53
	s_add_u32 vcc_hi, vcc_hi, s52
	s_addc_u32 vcc_lo, 0, vcc_lo
	s_mul_hi_u32 s57, s50, s53
	s_mul_i32 s53, s50, s53
	s_add_u32 vcc_hi, vcc_hi, s53
	s_mul_hi_u32 s52, s50, s51
	s_addc_u32 vcc_lo, vcc_lo, s57
	s_addc_u32 vcc_hi, s52, 0
	s_mul_i32 s51, s50, s51
	s_add_u32 vcc_lo, vcc_lo, s51
	s_addc_u32 s51, 0, vcc_hi
	v_add_co_u32_e32 v32, vcc, vcc_lo, v32
	s_cmp_lg_u64 vcc, 0
	s_addc_u32 vcc_lo, s50, s51
	v_readfirstlane_b32 s51, v32
	s_mul_i32 s50, s43, vcc_lo
	s_mul_hi_u32 s52, s43, s51
	s_mul_hi_u32 vcc_hi, s43, vcc_lo
	s_add_u32 s50, s52, s50
	s_addc_u32 vcc_hi, 0, vcc_hi
	s_mul_hi_u32 s53, s42, s51
	s_mul_i32 s51, s42, s51
	s_add_u32 s50, s50, s51
	s_mul_hi_u32 s52, s42, vcc_lo
	s_addc_u32 vcc_hi, vcc_hi, s53
	s_addc_u32 s50, s52, 0
	s_mul_i32 vcc_lo, s42, vcc_lo
	s_add_u32 vcc_lo, vcc_hi, vcc_lo
	s_addc_u32 vcc_hi, 0, s50
	s_mul_hi_u32 s50, vcc_lo, 0x7fffffff
	s_mul_i32 vcc_lo, vcc_lo, 0x7fffffff
	s_mul_i32 vcc_hi, vcc_hi, 0x7fffffff
	v_mov_b32_e32 v32, vcc_lo
	s_add_i32 s50, s50, vcc_hi
	v_sub_co_u32_e32 v32, vcc, s43, v32
	s_cmp_lg_u64 vcc, 0
	s_subb_u32 s42, s42, s50
	v_subrev_co_u32_e32 v33, vcc, s54, v32
	s_cmp_lg_u64 vcc, 0
	s_subb_u32 s43, s42, 0
	v_subrev_co_u32_e32 v34, vcc, s54, v33
	s_cmp_lg_u64 vcc, 0
	s_subb_u32 vcc_lo, s43, 0
	v_readfirstlane_b32 vcc_hi, v33
	s_cmp_gt_u32 vcc_hi, 0x7ffffffe
	s_cselect_b32 s50, -1, 0
	s_cmp_eq_u32 s43, 0
	s_cselect_b32 s50, s50, -1
	s_cmp_lg_u32 s50, 0
	s_cselect_b32 vcc_lo, vcc_lo, s43
	v_readfirstlane_b32 s43, v34
	s_cselect_b32 vcc_hi, s43, vcc_hi
	v_readfirstlane_b32 s43, v32
	s_cmp_gt_u32 s43, 0x7ffffffe
	s_cselect_b32 s50, -1, 0
	s_cmp_eq_u32 s42, 0
	s_cselect_b32 s50, s50, -1
	s_cmp_lg_u32 s50, 0
	v_lshrrev_b64 v[30:31], 1, v[4:5]
	s_cselect_b32 s51, vcc_lo, s42
	s_cselect_b32 s50, vcc_hi, s43
	v_cmp_gt_u64_e32 vcc, 2, v[4:5]
	s_or_b64 s[48:49], vcc, s[48:49]
	v_pk_mov_b32 v[4:5], v[30:31], v[30:31] op_sel:[0,1]
	s_andn2_b64 exec, exec, s[48:49]
	s_cbranch_execz .LBB29_1076
.LBB29_1074:                            ; =>This Inner Loop Header: Depth=1
	v_and_b32_e32 v30, 1, v4
	v_cmp_eq_u32_e32 vcc, 1, v30
	s_and_saveexec_b64 s[52:53], vcc
	s_cbranch_execz .LBB29_1073
; %bb.1075:                             ;   in Loop: Header=BB29_1074 Depth=1
	v_mul_lo_u32 v30, s51, v6
	v_mul_lo_u32 v31, s50, v7
	v_mad_u64_u32 v[6:7], vcc, s50, v6, 0
	s_add_u32 vcc_lo, 0x402, s56
	v_add3_u32 v7, v7, v31, v30
	s_addc_u32 s42, 0, 0
	v_add_co_u32_e32 v30, vcc, vcc_lo, v29
	s_cmp_lg_u64 vcc, 0
	v_readfirstlane_b32 vcc_hi, v30
	s_addc_u32 s42, s42, 1
	s_mul_hi_u32 s43, vcc_hi, 0x80000001
	s_mul_i32 vcc_lo, s42, 0x80000001
	s_sub_i32 s43, s43, vcc_hi
	s_add_i32 s43, s43, vcc_lo
	s_mul_i32 s58, vcc_hi, 0x80000001
	s_mul_hi_u32 vcc_lo, vcc_hi, s43
	s_mul_i32 s57, vcc_hi, s43
	s_mul_hi_u32 vcc_hi, vcc_hi, s58
	s_add_u32 vcc_hi, vcc_hi, s57
	s_addc_u32 vcc_lo, 0, vcc_lo
	s_mul_hi_u32 s59, s42, s58
	s_mul_i32 s58, s42, s58
	s_add_u32 vcc_hi, vcc_hi, s58
	s_mul_hi_u32 s57, s42, s43
	s_addc_u32 vcc_lo, vcc_lo, s59
	s_addc_u32 vcc_hi, s57, 0
	s_mul_i32 s43, s42, s43
	s_add_u32 vcc_lo, vcc_lo, s43
	s_addc_u32 s43, 0, vcc_hi
	v_add_co_u32_e32 v32, vcc, vcc_lo, v30
	s_cmp_lg_u64 vcc, 0
	s_addc_u32 s42, s42, s43
	v_mad_u64_u32 v[30:31], vcc, v6, s42, 0
	v_mul_hi_u32 v33, v6, v32
	v_add_co_u32_e32 v34, vcc, v33, v30
	v_addc_co_u32_e32 v35, vcc, 0, v31, vcc
	v_mad_u64_u32 v[30:31], vcc, v7, s42, 0
	v_mad_u64_u32 v[32:33], vcc, v7, v32, 0
	v_add_co_u32_e32 v32, vcc, v34, v32
	v_addc_co_u32_e32 v32, vcc, v35, v33, vcc
	v_addc_co_u32_e32 v31, vcc, 0, v31, vcc
	v_add_co_u32_e32 v30, vcc, v32, v30
	v_addc_co_u32_e32 v33, vcc, 0, v31, vcc
	v_mad_u64_u32 v[30:31], vcc, v30, s54, 0
	v_mov_b32_e32 v32, v31
	v_mad_u64_u32 v[32:33], vcc, v33, s54, v[32:33]
	v_sub_co_u32_e32 v6, vcc, v6, v30
	v_subb_co_u32_e32 v7, vcc, v7, v32, vcc
	v_subrev_co_u32_e32 v30, vcc, s54, v6
	v_subbrev_co_u32_e32 v31, vcc, 0, v7, vcc
	v_subrev_co_u32_e32 v32, vcc, s54, v30
	v_subbrev_co_u32_e32 v33, vcc, 0, v31, vcc
	v_cmp_lt_u32_e32 vcc, s55, v30
	v_cndmask_b32_e64 v34, 0, -1, vcc
	v_cmp_eq_u32_e32 vcc, 0, v31
	v_cndmask_b32_e32 v34, -1, v34, vcc
	v_cmp_ne_u32_e32 vcc, 0, v34
	v_cmp_lt_u32_e64 s[42:43], s55, v6
	v_cndmask_b32_e32 v31, v31, v33, vcc
	v_cndmask_b32_e64 v33, 0, -1, s[42:43]
	v_cmp_eq_u32_e64 s[42:43], 0, v7
	v_cndmask_b32_e64 v33, -1, v33, s[42:43]
	v_cmp_ne_u32_e64 s[42:43], 0, v33
	v_cndmask_b32_e32 v30, v30, v32, vcc
	v_cndmask_b32_e64 v7, v7, v31, s[42:43]
	v_cndmask_b32_e64 v6, v6, v30, s[42:43]
	s_branch .LBB29_1073
.LBB29_1076:
	s_or_b64 exec, exec, s[48:49]
	s_movk_i32 vcc_lo, 0x401
	s_add_u32 vcc_lo, 0x402, vcc_lo
	v_mov_b32_e32 v4, 0xfffff800
	s_addc_u32 s42, 0, 0
	v_add_co_u32_e32 v4, vcc, vcc_lo, v4
	s_cmp_lg_u64 vcc, 0
	v_readfirstlane_b32 vcc_hi, v4
	s_addc_u32 s42, s42, 1
	s_mul_hi_u32 s43, vcc_hi, 0x80000001
	s_mul_i32 vcc_lo, s42, 0x80000001
	s_sub_i32 s43, s43, vcc_hi
	s_add_i32 s43, s43, vcc_lo
	s_mul_i32 s49, vcc_hi, 0x80000001
	s_mul_hi_u32 vcc_lo, vcc_hi, s43
	s_mul_i32 s48, vcc_hi, s43
	s_mul_hi_u32 vcc_hi, vcc_hi, s49
	s_add_u32 vcc_hi, vcc_hi, s48
	s_addc_u32 vcc_lo, 0, vcc_lo
	s_mul_hi_u32 s50, s42, s49
	s_mul_i32 s49, s42, s49
	s_add_u32 vcc_hi, vcc_hi, s49
	s_mul_hi_u32 s48, s42, s43
	s_addc_u32 vcc_lo, vcc_lo, s50
	s_addc_u32 vcc_hi, s48, 0
	s_mul_i32 s43, s42, s43
	s_add_u32 vcc_lo, vcc_lo, s43
	s_addc_u32 s43, 0, vcc_hi
	v_add_co_u32_e32 v29, vcc, vcc_lo, v4
	s_cmp_lg_u64 vcc, 0
	s_addc_u32 s42, s42, s43
	v_mad_u64_u32 v[4:5], vcc, v6, s42, 0
	v_mul_hi_u32 v30, v6, v29
	v_add_co_u32_e32 v32, vcc, v30, v4
	v_addc_co_u32_e32 v33, vcc, 0, v5, vcc
	v_mad_u64_u32 v[4:5], vcc, v7, s42, 0
	v_mad_u64_u32 v[30:31], vcc, v7, v29, 0
	v_add_co_u32_e32 v29, vcc, v32, v30
	v_addc_co_u32_e32 v29, vcc, v33, v31, vcc
	v_addc_co_u32_e32 v5, vcc, 0, v5, vcc
	v_add_co_u32_e32 v4, vcc, v29, v4
	s_brev_b32 s42, -2
	v_addc_co_u32_e32 v29, vcc, 0, v5, vcc
	v_mad_u64_u32 v[4:5], vcc, v4, s42, 0
	v_mov_b32_e32 v30, v5
	v_mad_u64_u32 v[30:31], vcc, v29, s42, v[30:31]
	v_sub_co_u32_e32 v4, vcc, v6, v4
	v_subb_co_u32_e32 v5, vcc, v7, v30, vcc
	v_subrev_co_u32_e32 v6, vcc, 0x7fffffff, v4
	v_subbrev_co_u32_e32 v7, vcc, 0, v5, vcc
	s_mov_b32 s42, 0x7ffffffe
	v_cmp_lt_u32_e32 vcc, s42, v6
	v_cndmask_b32_e64 v29, 0, -1, vcc
	v_cmp_eq_u32_e32 vcc, 0, v7
	v_cndmask_b32_e32 v7, -1, v29, vcc
	v_add_u32_e32 v29, 0x80000001, v6
	v_cmp_ne_u32_e32 vcc, 0, v7
	v_cndmask_b32_e32 v6, v6, v29, vcc
	v_cmp_lt_u32_e32 vcc, s42, v4
	v_cndmask_b32_e64 v7, 0, -1, vcc
	v_cmp_eq_u32_e32 vcc, 0, v5
	v_cndmask_b32_e32 v5, -1, v7, vcc
	v_cmp_ne_u32_e32 vcc, 0, v5
	v_cndmask_b32_e32 v6, v4, v6, vcc
.LBB29_1077:
	s_or_b64 exec, exec, s[46:47]
	s_movk_i32 s46, 0x1388
	v_mov_b32_e32 v5, 0
	s_mov_b32 s47, 0xbc8f1391
	s_mov_b32 s48, 0xbc8f
	s_brev_b32 s49, 12
	s_mov_b32 s50, 0xf800000
	v_mov_b32_e32 v4, 0x260
.LBB29_1078:                            ; =>This Inner Loop Header: Depth=1
	v_mul_hi_u32 v7, v6, s47
	v_lshrrev_b32_e32 v7, 15, v7
	v_mul_u32_u24_e32 v30, 0xadc8, v7
	v_sub_u32_e32 v6, v6, v30
	v_mul_u32_u24_e32 v7, 0xd47, v7
	v_mul_lo_u32 v6, v6, s48
	v_xor_b32_e32 v30, 0x7fffffff, v7
	v_sub_u32_e32 v31, 0, v7
	v_cmp_lt_u32_e32 vcc, v6, v7
	v_cndmask_b32_e32 v7, v31, v30, vcc
	v_add_u32_e32 v6, v7, v6
	v_mul_hi_u32 v30, v6, s47
	v_lshrrev_b32_e32 v30, 15, v30
	v_mul_u32_u24_e32 v31, 0xadc8, v30
	v_add_u32_e32 v7, -1, v6
	v_sub_u32_e32 v6, v6, v31
	v_mul_u32_u24_e32 v30, 0xd47, v30
	v_mul_lo_u32 v6, v6, s48
	v_xor_b32_e32 v31, 0x7fffffff, v30
	v_sub_u32_e32 v32, 0, v30
	v_cmp_lt_u32_e32 vcc, v6, v30
	v_cndmask_b32_e32 v30, v32, v31, vcc
	v_add_u32_e32 v6, v30, v6
	v_mul_hi_u32 v31, v6, s47
	v_add_u32_e32 v30, -1, v6
	v_lshrrev_b32_e32 v31, 15, v31
	v_cvt_f32_u32_e32 v30, v30
	v_mul_u32_u24_e32 v32, 0xadc8, v31
	v_cvt_f32_u32_e32 v7, v7
	v_sub_u32_e32 v6, v6, v32
	v_mul_u32_u24_e32 v31, 0xd47, v31
	v_mul_lo_u32 v6, v6, s48
	v_xor_b32_e32 v32, 0x7fffffff, v31
	v_sub_u32_e32 v33, 0, v31
	v_cmp_lt_u32_e32 vcc, v6, v31
	v_fma_f32 v30, v30, s49, 0
	v_cndmask_b32_e32 v31, v33, v32, vcc
	v_fma_f32 v7, v7, s49, 0
	v_mul_f32_e32 v30, v30, v30
	v_add_u32_e32 v6, v31, v6
	v_fmac_f32_e32 v30, v7, v7
	v_mul_hi_u32 v31, v6, s47
	v_mul_f32_e32 v32, 0x4f800000, v30
	v_lshrrev_b32_e32 v31, 15, v31
	v_cmp_gt_f32_e32 vcc, s50, v30
	v_cndmask_b32_e32 v30, v30, v32, vcc
	v_mul_u32_u24_e32 v32, 0xadc8, v31
	v_add_u32_e32 v7, -1, v6
	v_sqrt_f32_e32 v33, v30
	v_sub_u32_e32 v6, v6, v32
	v_mul_u32_u24_e32 v31, 0xd47, v31
	v_mul_lo_u32 v6, v6, s48
	v_xor_b32_e32 v32, 0x7fffffff, v31
	v_sub_u32_e32 v34, 0, v31
	v_cmp_lt_u32_e64 s[42:43], v6, v31
	v_cndmask_b32_e64 v31, v34, v32, s[42:43]
	v_add_u32_e32 v6, v31, v6
	v_add_u32_e32 v31, -1, v33
	v_add_u32_e32 v32, 1, v33
	v_add_u32_e32 v34, -1, v6
	v_fma_f32 v35, -v31, v33, v30
	v_fma_f32 v36, -v32, v33, v30
	v_cvt_f32_u32_e32 v34, v34
	v_cmp_ge_f32_e64 s[42:43], 0, v35
	v_cvt_f32_u32_e32 v7, v7
	v_cndmask_b32_e64 v31, v33, v31, s[42:43]
	v_cmp_lt_f32_e64 s[42:43], 0, v36
	v_cndmask_b32_e64 v31, v31, v32, s[42:43]
	v_mul_f32_e32 v32, 0x37800000, v31
	v_cndmask_b32_e32 v31, v31, v32, vcc
	v_fma_f32 v32, v34, s49, 0
	v_cmp_class_f32_e32 vcc, v30, v4
	v_fma_f32 v7, v7, s49, 0
	v_cndmask_b32_e32 v30, v31, v30, vcc
	v_mul_f32_e32 v31, v32, v32
	v_add_f32_e32 v29, 1.0, v5
	v_cmp_nge_f32_e32 vcc, 1.0, v30
	v_fmac_f32_e32 v31, v7, v7
	v_cndmask_b32_e32 v5, v29, v5, vcc
	v_mul_f32_e32 v7, 0x4f800000, v31
	v_cmp_gt_f32_e32 vcc, s50, v31
	v_cndmask_b32_e32 v7, v31, v7, vcc
	v_sqrt_f32_e32 v30, v7
	s_add_i32 s46, s46, -2
	v_add_f32_e32 v29, 1.0, v5
	s_cmp_lg_u32 s46, 0
	v_add_u32_e32 v31, -1, v30
	v_add_u32_e32 v32, 1, v30
	v_fma_f32 v33, -v31, v30, v7
	v_fma_f32 v34, -v32, v30, v7
	v_cmp_ge_f32_e64 s[42:43], 0, v33
	v_cndmask_b32_e64 v30, v30, v31, s[42:43]
	v_cmp_lt_f32_e64 s[42:43], 0, v34
	v_cndmask_b32_e64 v30, v30, v32, s[42:43]
	v_mul_f32_e32 v31, 0x37800000, v30
	v_cndmask_b32_e32 v30, v30, v31, vcc
	v_cmp_class_f32_e32 vcc, v7, v4
	v_cndmask_b32_e32 v7, v30, v7, vcc
	v_cmp_nge_f32_e32 vcc, 1.0, v7
	v_cndmask_b32_e32 v5, v29, v5, vcc
	s_cbranch_scc1 .LBB29_1078
; %bb.1079:
	v_mul_f32_e32 v4, 4.0, v5
	s_mov_b32 s42, 0x459c4000
	v_div_scale_f32 v5, vcc, s42, s42, v4
	v_rcp_f32_e32 v6, v5
	v_fma_f32 v7, -v5, v6, 1.0
	v_fmac_f32_e32 v6, v7, v6
	v_div_scale_f32 v7, vcc, v4, s42, v4
	v_mul_f32_e32 v29, v7, v6
	v_fma_f32 v30, -v5, v29, v7
	v_fmac_f32_e32 v29, v30, v6
	v_fma_f32 v5, -v5, v29, v7
	v_div_fmas_f32 v5, v5, v6, v29
	v_div_fixup_f32 v29, v5, s42, v4
.LBB29_1080:
	s_or_b64 exec, exec, s[44:45]
	v_add_u32_e32 v4, 0x900, v11
	v_cmp_lt_u32_e64 s[42:43], v4, v8
                                        ; implicit-def: $vgpr30
	s_and_saveexec_b64 s[46:47], s[42:43]
	s_cbranch_execz .LBB29_1090
; %bb.1081:
	v_add_u32_e32 v4, v9, v4
	s_movk_i32 vcc_lo, 0x1388
	v_mul_lo_u32 v4, v4, vcc_lo
	v_cmp_ne_u32_e32 vcc, 0, v4
	v_mov_b32_e32 v6, 1
	s_and_saveexec_b64 s[48:49], vcc
	s_cbranch_execz .LBB29_1087
; %bb.1082:
	v_mov_b32_e32 v6, 1
	v_mov_b32_e32 v5, 0
	s_mov_b64 s[52:53], 0xbc8f
	s_mov_b64 s[50:51], 0
	v_mov_b32_e32 v7, 0
	s_brev_b32 s56, -2
	s_mov_b32 s57, 0x7ffffffe
	v_mov_b32_e32 v30, 0xfffff800
	s_movk_i32 s58, 0x401
	s_branch .LBB29_1084
.LBB29_1083:                            ;   in Loop: Header=BB29_1084 Depth=1
	s_or_b64 exec, exec, s[54:55]
	s_mul_i32 vcc_lo, s52, s53
	s_mul_hi_u32 vcc_hi, s52, s52
	s_add_i32 vcc_hi, vcc_hi, vcc_lo
	s_add_i32 s44, vcc_hi, vcc_lo
	s_add_u32 vcc_lo, 0x402, s58
	s_mul_i32 s45, s52, s52
	s_addc_u32 s52, 0, 0
	v_add_co_u32_e32 v31, vcc, vcc_lo, v30
	s_cmp_lg_u64 vcc, 0
	v_readfirstlane_b32 vcc_hi, v31
	s_addc_u32 s52, s52, 1
	s_mul_hi_u32 s53, vcc_hi, 0x80000001
	s_mul_i32 vcc_lo, s52, 0x80000001
	s_sub_i32 s53, s53, vcc_hi
	s_add_i32 s53, s53, vcc_lo
	s_mul_i32 s55, vcc_hi, 0x80000001
	s_mul_hi_u32 vcc_lo, vcc_hi, s53
	s_mul_i32 s54, vcc_hi, s53
	s_mul_hi_u32 vcc_hi, vcc_hi, s55
	s_add_u32 vcc_hi, vcc_hi, s54
	s_addc_u32 vcc_lo, 0, vcc_lo
	s_mul_hi_u32 s59, s52, s55
	s_mul_i32 s55, s52, s55
	s_add_u32 vcc_hi, vcc_hi, s55
	s_mul_hi_u32 s54, s52, s53
	s_addc_u32 vcc_lo, vcc_lo, s59
	s_addc_u32 vcc_hi, s54, 0
	s_mul_i32 s53, s52, s53
	s_add_u32 vcc_lo, vcc_lo, s53
	s_addc_u32 s53, 0, vcc_hi
	v_add_co_u32_e32 v31, vcc, vcc_lo, v31
	s_cmp_lg_u64 vcc, 0
	s_addc_u32 vcc_lo, s52, s53
	v_readfirstlane_b32 s53, v31
	s_mul_i32 s52, s45, vcc_lo
	s_mul_hi_u32 s54, s45, s53
	s_mul_hi_u32 vcc_hi, s45, vcc_lo
	s_add_u32 s52, s54, s52
	s_addc_u32 vcc_hi, 0, vcc_hi
	s_mul_hi_u32 s55, s44, s53
	s_mul_i32 s53, s44, s53
	s_add_u32 s52, s52, s53
	s_mul_hi_u32 s54, s44, vcc_lo
	s_addc_u32 vcc_hi, vcc_hi, s55
	s_addc_u32 s52, s54, 0
	s_mul_i32 vcc_lo, s44, vcc_lo
	s_add_u32 vcc_lo, vcc_hi, vcc_lo
	s_addc_u32 vcc_hi, 0, s52
	s_mul_hi_u32 s52, vcc_lo, 0x7fffffff
	s_mul_i32 vcc_lo, vcc_lo, 0x7fffffff
	s_mul_i32 vcc_hi, vcc_hi, 0x7fffffff
	v_mov_b32_e32 v31, vcc_lo
	s_add_i32 s52, s52, vcc_hi
	v_sub_co_u32_e32 v31, vcc, s45, v31
	s_cmp_lg_u64 vcc, 0
	s_subb_u32 s44, s44, s52
	v_subrev_co_u32_e32 v34, vcc, s56, v31
	s_cmp_lg_u64 vcc, 0
	s_subb_u32 s45, s44, 0
	v_subrev_co_u32_e32 v35, vcc, s56, v34
	s_cmp_lg_u64 vcc, 0
	s_subb_u32 vcc_lo, s45, 0
	v_readfirstlane_b32 vcc_hi, v34
	s_cmp_gt_u32 vcc_hi, 0x7ffffffe
	s_cselect_b32 s52, -1, 0
	s_cmp_eq_u32 s45, 0
	s_cselect_b32 s52, s52, -1
	s_cmp_lg_u32 s52, 0
	s_cselect_b32 vcc_lo, vcc_lo, s45
	v_readfirstlane_b32 s45, v35
	s_cselect_b32 vcc_hi, s45, vcc_hi
	v_readfirstlane_b32 s45, v31
	s_cmp_gt_u32 s45, 0x7ffffffe
	s_cselect_b32 s52, -1, 0
	s_cmp_eq_u32 s44, 0
	s_cselect_b32 s52, s52, -1
	s_cmp_lg_u32 s52, 0
	v_lshrrev_b64 v[32:33], 1, v[4:5]
	s_cselect_b32 s53, vcc_lo, s44
	s_cselect_b32 s52, vcc_hi, s45
	v_cmp_gt_u64_e32 vcc, 2, v[4:5]
	s_or_b64 s[50:51], vcc, s[50:51]
	v_pk_mov_b32 v[4:5], v[32:33], v[32:33] op_sel:[0,1]
	s_andn2_b64 exec, exec, s[50:51]
	s_cbranch_execz .LBB29_1086
.LBB29_1084:                            ; =>This Inner Loop Header: Depth=1
	v_and_b32_e32 v31, 1, v4
	v_cmp_eq_u32_e32 vcc, 1, v31
	s_and_saveexec_b64 s[54:55], vcc
	s_cbranch_execz .LBB29_1083
; %bb.1085:                             ;   in Loop: Header=BB29_1084 Depth=1
	v_mul_lo_u32 v31, s53, v6
	v_mul_lo_u32 v32, s52, v7
	v_mad_u64_u32 v[6:7], vcc, s52, v6, 0
	s_add_u32 vcc_lo, 0x402, s58
	v_add3_u32 v7, v7, v32, v31
	s_addc_u32 s44, 0, 0
	v_add_co_u32_e32 v31, vcc, vcc_lo, v30
	s_cmp_lg_u64 vcc, 0
	v_readfirstlane_b32 vcc_hi, v31
	s_addc_u32 s44, s44, 1
	s_mul_hi_u32 s45, vcc_hi, 0x80000001
	s_mul_i32 vcc_lo, s44, 0x80000001
	s_sub_i32 s45, s45, vcc_hi
	s_add_i32 s45, s45, vcc_lo
	s_mul_i32 s60, vcc_hi, 0x80000001
	s_mul_hi_u32 vcc_lo, vcc_hi, s45
	s_mul_i32 s59, vcc_hi, s45
	s_mul_hi_u32 vcc_hi, vcc_hi, s60
	s_add_u32 vcc_hi, vcc_hi, s59
	s_addc_u32 vcc_lo, 0, vcc_lo
	s_mul_hi_u32 s61, s44, s60
	s_mul_i32 s60, s44, s60
	s_add_u32 vcc_hi, vcc_hi, s60
	s_mul_hi_u32 s59, s44, s45
	s_addc_u32 vcc_lo, vcc_lo, s61
	s_addc_u32 vcc_hi, s59, 0
	s_mul_i32 s45, s44, s45
	s_add_u32 vcc_lo, vcc_lo, s45
	s_addc_u32 s45, 0, vcc_hi
	v_add_co_u32_e32 v31, vcc, vcc_lo, v31
	s_cmp_lg_u64 vcc, 0
	s_addc_u32 s44, s44, s45
	v_mad_u64_u32 v[32:33], vcc, v6, s44, 0
	v_mul_hi_u32 v34, v6, v31
	v_add_co_u32_e32 v36, vcc, v34, v32
	v_addc_co_u32_e32 v37, vcc, 0, v33, vcc
	v_mad_u64_u32 v[32:33], vcc, v7, s44, 0
	v_mad_u64_u32 v[34:35], vcc, v7, v31, 0
	v_add_co_u32_e32 v31, vcc, v36, v34
	v_addc_co_u32_e32 v31, vcc, v37, v35, vcc
	v_addc_co_u32_e32 v33, vcc, 0, v33, vcc
	v_add_co_u32_e32 v31, vcc, v31, v32
	v_addc_co_u32_e32 v35, vcc, 0, v33, vcc
	v_mad_u64_u32 v[32:33], vcc, v31, s56, 0
	v_mov_b32_e32 v34, v33
	v_mad_u64_u32 v[34:35], vcc, v35, s56, v[34:35]
	v_sub_co_u32_e32 v6, vcc, v6, v32
	v_subb_co_u32_e32 v7, vcc, v7, v34, vcc
	v_subrev_co_u32_e32 v31, vcc, s56, v6
	v_subbrev_co_u32_e32 v32, vcc, 0, v7, vcc
	v_subrev_co_u32_e32 v33, vcc, s56, v31
	v_subbrev_co_u32_e32 v34, vcc, 0, v32, vcc
	v_cmp_lt_u32_e32 vcc, s57, v31
	v_cndmask_b32_e64 v35, 0, -1, vcc
	v_cmp_eq_u32_e32 vcc, 0, v32
	v_cndmask_b32_e32 v35, -1, v35, vcc
	v_cmp_ne_u32_e32 vcc, 0, v35
	v_cmp_lt_u32_e64 s[44:45], s57, v6
	v_cndmask_b32_e32 v32, v32, v34, vcc
	v_cndmask_b32_e64 v34, 0, -1, s[44:45]
	v_cmp_eq_u32_e64 s[44:45], 0, v7
	v_cndmask_b32_e64 v34, -1, v34, s[44:45]
	v_cmp_ne_u32_e64 s[44:45], 0, v34
	v_cndmask_b32_e32 v31, v31, v33, vcc
	v_cndmask_b32_e64 v7, v7, v32, s[44:45]
	v_cndmask_b32_e64 v6, v6, v31, s[44:45]
	s_branch .LBB29_1083
.LBB29_1086:
	s_or_b64 exec, exec, s[50:51]
	s_movk_i32 vcc_lo, 0x401
	s_add_u32 vcc_lo, 0x402, vcc_lo
	v_mov_b32_e32 v4, 0xfffff800
	s_addc_u32 s44, 0, 0
	v_add_co_u32_e32 v4, vcc, vcc_lo, v4
	s_cmp_lg_u64 vcc, 0
	v_readfirstlane_b32 vcc_hi, v4
	s_addc_u32 s44, s44, 1
	s_mul_hi_u32 s45, vcc_hi, 0x80000001
	s_mul_i32 vcc_lo, s44, 0x80000001
	s_sub_i32 s45, s45, vcc_hi
	s_add_i32 s45, s45, vcc_lo
	s_mul_i32 s51, vcc_hi, 0x80000001
	s_mul_hi_u32 vcc_lo, vcc_hi, s45
	s_mul_i32 s50, vcc_hi, s45
	s_mul_hi_u32 vcc_hi, vcc_hi, s51
	s_add_u32 vcc_hi, vcc_hi, s50
	s_addc_u32 vcc_lo, 0, vcc_lo
	s_mul_hi_u32 s52, s44, s51
	s_mul_i32 s51, s44, s51
	s_add_u32 vcc_hi, vcc_hi, s51
	s_mul_hi_u32 s50, s44, s45
	s_addc_u32 vcc_lo, vcc_lo, s52
	s_addc_u32 vcc_hi, s50, 0
	s_mul_i32 s45, s44, s45
	s_add_u32 vcc_lo, vcc_lo, s45
	s_addc_u32 s45, 0, vcc_hi
	v_add_co_u32_e32 v30, vcc, vcc_lo, v4
	s_cmp_lg_u64 vcc, 0
	s_addc_u32 s44, s44, s45
	v_mad_u64_u32 v[4:5], vcc, v6, s44, 0
	v_mul_hi_u32 v31, v6, v30
	v_add_co_u32_e32 v32, vcc, v31, v4
	v_addc_co_u32_e32 v33, vcc, 0, v5, vcc
	v_mad_u64_u32 v[4:5], vcc, v7, s44, 0
	v_mad_u64_u32 v[30:31], vcc, v7, v30, 0
	v_add_co_u32_e32 v30, vcc, v32, v30
	v_addc_co_u32_e32 v30, vcc, v33, v31, vcc
	v_addc_co_u32_e32 v5, vcc, 0, v5, vcc
	v_add_co_u32_e32 v4, vcc, v30, v4
	s_brev_b32 s44, -2
	v_addc_co_u32_e32 v31, vcc, 0, v5, vcc
	v_mad_u64_u32 v[4:5], vcc, v4, s44, 0
	v_mov_b32_e32 v30, v5
	v_mad_u64_u32 v[30:31], vcc, v31, s44, v[30:31]
	v_sub_co_u32_e32 v4, vcc, v6, v4
	v_subb_co_u32_e32 v5, vcc, v7, v30, vcc
	v_subrev_co_u32_e32 v6, vcc, 0x7fffffff, v4
	v_subbrev_co_u32_e32 v7, vcc, 0, v5, vcc
	s_mov_b32 s44, 0x7ffffffe
	v_cmp_lt_u32_e32 vcc, s44, v6
	v_cndmask_b32_e64 v30, 0, -1, vcc
	v_cmp_eq_u32_e32 vcc, 0, v7
	v_cndmask_b32_e32 v7, -1, v30, vcc
	v_add_u32_e32 v30, 0x80000001, v6
	v_cmp_ne_u32_e32 vcc, 0, v7
	v_cndmask_b32_e32 v6, v6, v30, vcc
	v_cmp_lt_u32_e32 vcc, s44, v4
	v_cndmask_b32_e64 v7, 0, -1, vcc
	v_cmp_eq_u32_e32 vcc, 0, v5
	v_cndmask_b32_e32 v5, -1, v7, vcc
	v_cmp_ne_u32_e32 vcc, 0, v5
	v_cndmask_b32_e32 v6, v4, v6, vcc
.LBB29_1087:
	s_or_b64 exec, exec, s[48:49]
	s_movk_i32 s48, 0x1388
	v_mov_b32_e32 v5, 0
	s_mov_b32 s49, 0xbc8f1391
	s_mov_b32 s50, 0xbc8f
	s_brev_b32 s51, 12
	s_mov_b32 s52, 0xf800000
	v_mov_b32_e32 v4, 0x260
.LBB29_1088:                            ; =>This Inner Loop Header: Depth=1
	v_mul_hi_u32 v7, v6, s49
	v_lshrrev_b32_e32 v7, 15, v7
	v_mul_u32_u24_e32 v31, 0xadc8, v7
	v_sub_u32_e32 v6, v6, v31
	v_mul_u32_u24_e32 v7, 0xd47, v7
	v_mul_lo_u32 v6, v6, s50
	v_xor_b32_e32 v31, 0x7fffffff, v7
	v_sub_u32_e32 v32, 0, v7
	v_cmp_lt_u32_e32 vcc, v6, v7
	v_cndmask_b32_e32 v7, v32, v31, vcc
	v_add_u32_e32 v6, v7, v6
	v_mul_hi_u32 v31, v6, s49
	v_lshrrev_b32_e32 v31, 15, v31
	v_mul_u32_u24_e32 v32, 0xadc8, v31
	v_add_u32_e32 v7, -1, v6
	v_sub_u32_e32 v6, v6, v32
	v_mul_u32_u24_e32 v31, 0xd47, v31
	v_mul_lo_u32 v6, v6, s50
	v_xor_b32_e32 v32, 0x7fffffff, v31
	v_sub_u32_e32 v33, 0, v31
	v_cmp_lt_u32_e32 vcc, v6, v31
	v_cndmask_b32_e32 v31, v33, v32, vcc
	v_add_u32_e32 v6, v31, v6
	v_mul_hi_u32 v32, v6, s49
	v_add_u32_e32 v31, -1, v6
	v_lshrrev_b32_e32 v32, 15, v32
	v_cvt_f32_u32_e32 v31, v31
	v_mul_u32_u24_e32 v33, 0xadc8, v32
	v_cvt_f32_u32_e32 v7, v7
	v_sub_u32_e32 v6, v6, v33
	v_mul_u32_u24_e32 v32, 0xd47, v32
	v_mul_lo_u32 v6, v6, s50
	v_xor_b32_e32 v33, 0x7fffffff, v32
	v_sub_u32_e32 v34, 0, v32
	v_cmp_lt_u32_e32 vcc, v6, v32
	v_fma_f32 v31, v31, s51, 0
	v_cndmask_b32_e32 v32, v34, v33, vcc
	v_fma_f32 v7, v7, s51, 0
	v_mul_f32_e32 v31, v31, v31
	v_add_u32_e32 v6, v32, v6
	v_fmac_f32_e32 v31, v7, v7
	v_mul_hi_u32 v32, v6, s49
	v_mul_f32_e32 v33, 0x4f800000, v31
	v_lshrrev_b32_e32 v32, 15, v32
	v_cmp_gt_f32_e32 vcc, s52, v31
	v_cndmask_b32_e32 v31, v31, v33, vcc
	v_mul_u32_u24_e32 v33, 0xadc8, v32
	v_add_u32_e32 v7, -1, v6
	v_sqrt_f32_e32 v34, v31
	v_sub_u32_e32 v6, v6, v33
	v_mul_u32_u24_e32 v32, 0xd47, v32
	v_mul_lo_u32 v6, v6, s50
	v_xor_b32_e32 v33, 0x7fffffff, v32
	v_sub_u32_e32 v35, 0, v32
	v_cmp_lt_u32_e64 s[44:45], v6, v32
	v_cndmask_b32_e64 v32, v35, v33, s[44:45]
	v_add_u32_e32 v6, v32, v6
	v_add_u32_e32 v32, -1, v34
	v_add_u32_e32 v33, 1, v34
	v_add_u32_e32 v35, -1, v6
	v_fma_f32 v36, -v32, v34, v31
	v_fma_f32 v37, -v33, v34, v31
	v_cvt_f32_u32_e32 v35, v35
	v_cmp_ge_f32_e64 s[44:45], 0, v36
	v_cvt_f32_u32_e32 v7, v7
	v_cndmask_b32_e64 v32, v34, v32, s[44:45]
	v_cmp_lt_f32_e64 s[44:45], 0, v37
	v_cndmask_b32_e64 v32, v32, v33, s[44:45]
	v_mul_f32_e32 v33, 0x37800000, v32
	v_cndmask_b32_e32 v32, v32, v33, vcc
	v_fma_f32 v33, v35, s51, 0
	v_cmp_class_f32_e32 vcc, v31, v4
	v_fma_f32 v7, v7, s51, 0
	v_cndmask_b32_e32 v31, v32, v31, vcc
	v_mul_f32_e32 v32, v33, v33
	v_add_f32_e32 v30, 1.0, v5
	v_cmp_nge_f32_e32 vcc, 1.0, v31
	v_fmac_f32_e32 v32, v7, v7
	v_cndmask_b32_e32 v5, v30, v5, vcc
	v_mul_f32_e32 v7, 0x4f800000, v32
	v_cmp_gt_f32_e32 vcc, s52, v32
	v_cndmask_b32_e32 v7, v32, v7, vcc
	v_sqrt_f32_e32 v31, v7
	s_add_i32 s48, s48, -2
	v_add_f32_e32 v30, 1.0, v5
	s_cmp_lg_u32 s48, 0
	v_add_u32_e32 v32, -1, v31
	v_add_u32_e32 v33, 1, v31
	v_fma_f32 v34, -v32, v31, v7
	v_fma_f32 v35, -v33, v31, v7
	v_cmp_ge_f32_e64 s[44:45], 0, v34
	v_cndmask_b32_e64 v31, v31, v32, s[44:45]
	v_cmp_lt_f32_e64 s[44:45], 0, v35
	v_cndmask_b32_e64 v31, v31, v33, s[44:45]
	v_mul_f32_e32 v32, 0x37800000, v31
	v_cndmask_b32_e32 v31, v31, v32, vcc
	v_cmp_class_f32_e32 vcc, v7, v4
	v_cndmask_b32_e32 v7, v31, v7, vcc
	v_cmp_nge_f32_e32 vcc, 1.0, v7
	v_cndmask_b32_e32 v5, v30, v5, vcc
	s_cbranch_scc1 .LBB29_1088
; %bb.1089:
	v_mul_f32_e32 v4, 4.0, v5
	s_mov_b32 s44, 0x459c4000
	v_div_scale_f32 v5, vcc, s44, s44, v4
	v_rcp_f32_e32 v6, v5
	v_fma_f32 v7, -v5, v6, 1.0
	v_fmac_f32_e32 v6, v7, v6
	v_div_scale_f32 v7, vcc, v4, s44, v4
	v_mul_f32_e32 v30, v7, v6
	v_fma_f32 v31, -v5, v30, v7
	v_fmac_f32_e32 v30, v31, v6
	v_fma_f32 v5, -v5, v30, v7
	v_div_fmas_f32 v5, v5, v6, v30
	v_div_fixup_f32 v30, v5, s44, v4
.LBB29_1090:
	s_or_b64 exec, exec, s[46:47]
	v_add_u32_e32 v4, 0x980, v11
	v_cmp_lt_u32_e64 s[44:45], v4, v8
                                        ; implicit-def: $vgpr31
	s_and_saveexec_b64 s[48:49], s[44:45]
	s_cbranch_execz .LBB29_1100
; %bb.1091:
	v_add_u32_e32 v4, v9, v4
	s_movk_i32 vcc_lo, 0x1388
	v_mul_lo_u32 v4, v4, vcc_lo
	v_cmp_ne_u32_e32 vcc, 0, v4
	v_mov_b32_e32 v6, 1
	s_and_saveexec_b64 s[50:51], vcc
	s_cbranch_execz .LBB29_1097
; %bb.1092:
	v_mov_b32_e32 v6, 1
	v_mov_b32_e32 v5, 0
	s_mov_b64 s[54:55], 0xbc8f
	s_mov_b64 s[52:53], 0
	v_mov_b32_e32 v7, 0
	s_brev_b32 s58, -2
	s_mov_b32 s59, 0x7ffffffe
	v_mov_b32_e32 v31, 0xfffff800
	s_movk_i32 s60, 0x401
	s_branch .LBB29_1094
.LBB29_1093:                            ;   in Loop: Header=BB29_1094 Depth=1
	s_or_b64 exec, exec, s[56:57]
	s_mul_i32 vcc_lo, s54, s55
	s_mul_hi_u32 vcc_hi, s54, s54
	s_add_i32 vcc_hi, vcc_hi, vcc_lo
	s_add_i32 s46, vcc_hi, vcc_lo
	s_add_u32 vcc_lo, 0x402, s60
	s_mul_i32 s47, s54, s54
	s_addc_u32 s54, 0, 0
	v_add_co_u32_e32 v34, vcc, vcc_lo, v31
	s_cmp_lg_u64 vcc, 0
	v_readfirstlane_b32 vcc_hi, v34
	s_addc_u32 s54, s54, 1
	s_mul_hi_u32 s55, vcc_hi, 0x80000001
	s_mul_i32 vcc_lo, s54, 0x80000001
	s_sub_i32 s55, s55, vcc_hi
	s_add_i32 s55, s55, vcc_lo
	s_mul_i32 s57, vcc_hi, 0x80000001
	s_mul_hi_u32 vcc_lo, vcc_hi, s55
	s_mul_i32 s56, vcc_hi, s55
	s_mul_hi_u32 vcc_hi, vcc_hi, s57
	s_add_u32 vcc_hi, vcc_hi, s56
	s_addc_u32 vcc_lo, 0, vcc_lo
	s_mul_hi_u32 s61, s54, s57
	s_mul_i32 s57, s54, s57
	s_add_u32 vcc_hi, vcc_hi, s57
	s_mul_hi_u32 s56, s54, s55
	s_addc_u32 vcc_lo, vcc_lo, s61
	s_addc_u32 vcc_hi, s56, 0
	s_mul_i32 s55, s54, s55
	s_add_u32 vcc_lo, vcc_lo, s55
	s_addc_u32 s55, 0, vcc_hi
	v_add_co_u32_e32 v34, vcc, vcc_lo, v34
	s_cmp_lg_u64 vcc, 0
	s_addc_u32 vcc_lo, s54, s55
	v_readfirstlane_b32 s55, v34
	s_mul_i32 s54, s47, vcc_lo
	s_mul_hi_u32 s56, s47, s55
	s_mul_hi_u32 vcc_hi, s47, vcc_lo
	s_add_u32 s54, s56, s54
	s_addc_u32 vcc_hi, 0, vcc_hi
	s_mul_hi_u32 s57, s46, s55
	s_mul_i32 s55, s46, s55
	s_add_u32 s54, s54, s55
	s_mul_hi_u32 s56, s46, vcc_lo
	s_addc_u32 vcc_hi, vcc_hi, s57
	s_addc_u32 s54, s56, 0
	s_mul_i32 vcc_lo, s46, vcc_lo
	s_add_u32 vcc_lo, vcc_hi, vcc_lo
	s_addc_u32 vcc_hi, 0, s54
	s_mul_hi_u32 s54, vcc_lo, 0x7fffffff
	s_mul_i32 vcc_lo, vcc_lo, 0x7fffffff
	s_mul_i32 vcc_hi, vcc_hi, 0x7fffffff
	v_mov_b32_e32 v34, vcc_lo
	s_add_i32 s54, s54, vcc_hi
	v_sub_co_u32_e32 v34, vcc, s47, v34
	s_cmp_lg_u64 vcc, 0
	s_subb_u32 s46, s46, s54
	v_subrev_co_u32_e32 v35, vcc, s58, v34
	s_cmp_lg_u64 vcc, 0
	s_subb_u32 s47, s46, 0
	v_subrev_co_u32_e32 v36, vcc, s58, v35
	s_cmp_lg_u64 vcc, 0
	s_subb_u32 vcc_lo, s47, 0
	v_readfirstlane_b32 vcc_hi, v35
	s_cmp_gt_u32 vcc_hi, 0x7ffffffe
	s_cselect_b32 s54, -1, 0
	s_cmp_eq_u32 s47, 0
	s_cselect_b32 s54, s54, -1
	s_cmp_lg_u32 s54, 0
	s_cselect_b32 vcc_lo, vcc_lo, s47
	v_readfirstlane_b32 s47, v36
	s_cselect_b32 vcc_hi, s47, vcc_hi
	v_readfirstlane_b32 s47, v34
	s_cmp_gt_u32 s47, 0x7ffffffe
	s_cselect_b32 s54, -1, 0
	s_cmp_eq_u32 s46, 0
	s_cselect_b32 s54, s54, -1
	s_cmp_lg_u32 s54, 0
	v_lshrrev_b64 v[32:33], 1, v[4:5]
	s_cselect_b32 s55, vcc_lo, s46
	s_cselect_b32 s54, vcc_hi, s47
	v_cmp_gt_u64_e32 vcc, 2, v[4:5]
	s_or_b64 s[52:53], vcc, s[52:53]
	v_pk_mov_b32 v[4:5], v[32:33], v[32:33] op_sel:[0,1]
	s_andn2_b64 exec, exec, s[52:53]
	s_cbranch_execz .LBB29_1096
.LBB29_1094:                            ; =>This Inner Loop Header: Depth=1
	v_and_b32_e32 v32, 1, v4
	v_cmp_eq_u32_e32 vcc, 1, v32
	s_and_saveexec_b64 s[56:57], vcc
	s_cbranch_execz .LBB29_1093
; %bb.1095:                             ;   in Loop: Header=BB29_1094 Depth=1
	v_mul_lo_u32 v32, s55, v6
	v_mul_lo_u32 v33, s54, v7
	v_mad_u64_u32 v[6:7], vcc, s54, v6, 0
	s_add_u32 vcc_lo, 0x402, s60
	v_add3_u32 v7, v7, v33, v32
	s_addc_u32 s46, 0, 0
	v_add_co_u32_e32 v32, vcc, vcc_lo, v31
	s_cmp_lg_u64 vcc, 0
	v_readfirstlane_b32 vcc_hi, v32
	s_addc_u32 s46, s46, 1
	s_mul_hi_u32 s47, vcc_hi, 0x80000001
	s_mul_i32 vcc_lo, s46, 0x80000001
	s_sub_i32 s47, s47, vcc_hi
	s_add_i32 s47, s47, vcc_lo
	s_mul_i32 s62, vcc_hi, 0x80000001
	s_mul_hi_u32 vcc_lo, vcc_hi, s47
	s_mul_i32 s61, vcc_hi, s47
	s_mul_hi_u32 vcc_hi, vcc_hi, s62
	s_add_u32 vcc_hi, vcc_hi, s61
	s_addc_u32 vcc_lo, 0, vcc_lo
	s_mul_hi_u32 s63, s46, s62
	s_mul_i32 s62, s46, s62
	s_add_u32 vcc_hi, vcc_hi, s62
	s_mul_hi_u32 s61, s46, s47
	s_addc_u32 vcc_lo, vcc_lo, s63
	s_addc_u32 vcc_hi, s61, 0
	s_mul_i32 s47, s46, s47
	s_add_u32 vcc_lo, vcc_lo, s47
	s_addc_u32 s47, 0, vcc_hi
	v_add_co_u32_e32 v34, vcc, vcc_lo, v32
	s_cmp_lg_u64 vcc, 0
	s_addc_u32 s46, s46, s47
	v_mad_u64_u32 v[32:33], vcc, v6, s46, 0
	v_mul_hi_u32 v35, v6, v34
	v_add_co_u32_e32 v36, vcc, v35, v32
	v_addc_co_u32_e32 v37, vcc, 0, v33, vcc
	v_mad_u64_u32 v[32:33], vcc, v7, s46, 0
	v_mad_u64_u32 v[34:35], vcc, v7, v34, 0
	v_add_co_u32_e32 v34, vcc, v36, v34
	v_addc_co_u32_e32 v34, vcc, v37, v35, vcc
	v_addc_co_u32_e32 v33, vcc, 0, v33, vcc
	v_add_co_u32_e32 v32, vcc, v34, v32
	v_addc_co_u32_e32 v35, vcc, 0, v33, vcc
	v_mad_u64_u32 v[32:33], vcc, v32, s58, 0
	v_mov_b32_e32 v34, v33
	v_mad_u64_u32 v[34:35], vcc, v35, s58, v[34:35]
	v_sub_co_u32_e32 v6, vcc, v6, v32
	v_subb_co_u32_e32 v7, vcc, v7, v34, vcc
	v_subrev_co_u32_e32 v32, vcc, s58, v6
	v_subbrev_co_u32_e32 v33, vcc, 0, v7, vcc
	v_subrev_co_u32_e32 v34, vcc, s58, v32
	v_subbrev_co_u32_e32 v35, vcc, 0, v33, vcc
	v_cmp_lt_u32_e32 vcc, s59, v32
	v_cndmask_b32_e64 v36, 0, -1, vcc
	v_cmp_eq_u32_e32 vcc, 0, v33
	v_cndmask_b32_e32 v36, -1, v36, vcc
	v_cmp_ne_u32_e32 vcc, 0, v36
	v_cmp_lt_u32_e64 s[46:47], s59, v6
	v_cndmask_b32_e32 v33, v33, v35, vcc
	v_cndmask_b32_e64 v35, 0, -1, s[46:47]
	v_cmp_eq_u32_e64 s[46:47], 0, v7
	v_cndmask_b32_e64 v35, -1, v35, s[46:47]
	v_cmp_ne_u32_e64 s[46:47], 0, v35
	v_cndmask_b32_e32 v32, v32, v34, vcc
	v_cndmask_b32_e64 v7, v7, v33, s[46:47]
	v_cndmask_b32_e64 v6, v6, v32, s[46:47]
	s_branch .LBB29_1093
.LBB29_1096:
	s_or_b64 exec, exec, s[52:53]
	s_movk_i32 vcc_lo, 0x401
	s_add_u32 vcc_lo, 0x402, vcc_lo
	v_mov_b32_e32 v4, 0xfffff800
	s_addc_u32 s46, 0, 0
	v_add_co_u32_e32 v4, vcc, vcc_lo, v4
	s_cmp_lg_u64 vcc, 0
	v_readfirstlane_b32 vcc_hi, v4
	s_addc_u32 s46, s46, 1
	s_mul_hi_u32 s47, vcc_hi, 0x80000001
	s_mul_i32 vcc_lo, s46, 0x80000001
	s_sub_i32 s47, s47, vcc_hi
	s_add_i32 s47, s47, vcc_lo
	s_mul_i32 s53, vcc_hi, 0x80000001
	s_mul_hi_u32 vcc_lo, vcc_hi, s47
	s_mul_i32 s52, vcc_hi, s47
	s_mul_hi_u32 vcc_hi, vcc_hi, s53
	s_add_u32 vcc_hi, vcc_hi, s52
	s_addc_u32 vcc_lo, 0, vcc_lo
	s_mul_hi_u32 s54, s46, s53
	s_mul_i32 s53, s46, s53
	s_add_u32 vcc_hi, vcc_hi, s53
	s_mul_hi_u32 s52, s46, s47
	s_addc_u32 vcc_lo, vcc_lo, s54
	s_addc_u32 vcc_hi, s52, 0
	s_mul_i32 s47, s46, s47
	s_add_u32 vcc_lo, vcc_lo, s47
	s_addc_u32 s47, 0, vcc_hi
	v_add_co_u32_e32 v31, vcc, vcc_lo, v4
	s_cmp_lg_u64 vcc, 0
	s_addc_u32 s46, s46, s47
	v_mad_u64_u32 v[4:5], vcc, v6, s46, 0
	v_mul_hi_u32 v32, v6, v31
	v_add_co_u32_e32 v34, vcc, v32, v4
	v_addc_co_u32_e32 v35, vcc, 0, v5, vcc
	v_mad_u64_u32 v[4:5], vcc, v7, s46, 0
	v_mad_u64_u32 v[32:33], vcc, v7, v31, 0
	v_add_co_u32_e32 v31, vcc, v34, v32
	v_addc_co_u32_e32 v31, vcc, v35, v33, vcc
	v_addc_co_u32_e32 v5, vcc, 0, v5, vcc
	v_add_co_u32_e32 v4, vcc, v31, v4
	s_brev_b32 s46, -2
	v_addc_co_u32_e32 v31, vcc, 0, v5, vcc
	v_mad_u64_u32 v[4:5], vcc, v4, s46, 0
	v_mov_b32_e32 v32, v5
	v_mad_u64_u32 v[32:33], vcc, v31, s46, v[32:33]
	v_sub_co_u32_e32 v4, vcc, v6, v4
	v_subb_co_u32_e32 v5, vcc, v7, v32, vcc
	v_subrev_co_u32_e32 v6, vcc, 0x7fffffff, v4
	v_subbrev_co_u32_e32 v7, vcc, 0, v5, vcc
	s_mov_b32 s46, 0x7ffffffe
	v_cmp_lt_u32_e32 vcc, s46, v6
	v_cndmask_b32_e64 v31, 0, -1, vcc
	v_cmp_eq_u32_e32 vcc, 0, v7
	v_cndmask_b32_e32 v7, -1, v31, vcc
	v_add_u32_e32 v31, 0x80000001, v6
	v_cmp_ne_u32_e32 vcc, 0, v7
	v_cndmask_b32_e32 v6, v6, v31, vcc
	v_cmp_lt_u32_e32 vcc, s46, v4
	v_cndmask_b32_e64 v7, 0, -1, vcc
	v_cmp_eq_u32_e32 vcc, 0, v5
	v_cndmask_b32_e32 v5, -1, v7, vcc
	v_cmp_ne_u32_e32 vcc, 0, v5
	v_cndmask_b32_e32 v6, v4, v6, vcc
.LBB29_1097:
	s_or_b64 exec, exec, s[50:51]
	s_movk_i32 s50, 0x1388
	v_mov_b32_e32 v5, 0
	s_mov_b32 s51, 0xbc8f1391
	s_mov_b32 s52, 0xbc8f
	s_brev_b32 s53, 12
	s_mov_b32 s54, 0xf800000
	v_mov_b32_e32 v4, 0x260
.LBB29_1098:                            ; =>This Inner Loop Header: Depth=1
	v_mul_hi_u32 v7, v6, s51
	v_lshrrev_b32_e32 v7, 15, v7
	v_mul_u32_u24_e32 v32, 0xadc8, v7
	v_sub_u32_e32 v6, v6, v32
	v_mul_u32_u24_e32 v7, 0xd47, v7
	v_mul_lo_u32 v6, v6, s52
	v_xor_b32_e32 v32, 0x7fffffff, v7
	v_sub_u32_e32 v33, 0, v7
	v_cmp_lt_u32_e32 vcc, v6, v7
	v_cndmask_b32_e32 v7, v33, v32, vcc
	v_add_u32_e32 v6, v7, v6
	v_mul_hi_u32 v32, v6, s51
	v_lshrrev_b32_e32 v32, 15, v32
	v_mul_u32_u24_e32 v33, 0xadc8, v32
	v_add_u32_e32 v7, -1, v6
	v_sub_u32_e32 v6, v6, v33
	v_mul_u32_u24_e32 v32, 0xd47, v32
	v_mul_lo_u32 v6, v6, s52
	v_xor_b32_e32 v33, 0x7fffffff, v32
	v_sub_u32_e32 v34, 0, v32
	v_cmp_lt_u32_e32 vcc, v6, v32
	v_cndmask_b32_e32 v32, v34, v33, vcc
	v_add_u32_e32 v6, v32, v6
	v_mul_hi_u32 v33, v6, s51
	v_add_u32_e32 v32, -1, v6
	v_lshrrev_b32_e32 v33, 15, v33
	v_cvt_f32_u32_e32 v32, v32
	v_mul_u32_u24_e32 v34, 0xadc8, v33
	v_cvt_f32_u32_e32 v7, v7
	v_sub_u32_e32 v6, v6, v34
	v_mul_u32_u24_e32 v33, 0xd47, v33
	v_mul_lo_u32 v6, v6, s52
	v_xor_b32_e32 v34, 0x7fffffff, v33
	v_sub_u32_e32 v35, 0, v33
	v_cmp_lt_u32_e32 vcc, v6, v33
	v_fma_f32 v32, v32, s53, 0
	v_cndmask_b32_e32 v33, v35, v34, vcc
	v_fma_f32 v7, v7, s53, 0
	v_mul_f32_e32 v32, v32, v32
	v_add_u32_e32 v6, v33, v6
	v_fmac_f32_e32 v32, v7, v7
	v_mul_hi_u32 v33, v6, s51
	v_mul_f32_e32 v34, 0x4f800000, v32
	v_lshrrev_b32_e32 v33, 15, v33
	v_cmp_gt_f32_e32 vcc, s54, v32
	v_cndmask_b32_e32 v32, v32, v34, vcc
	v_mul_u32_u24_e32 v34, 0xadc8, v33
	v_add_u32_e32 v7, -1, v6
	v_sqrt_f32_e32 v35, v32
	v_sub_u32_e32 v6, v6, v34
	v_mul_u32_u24_e32 v33, 0xd47, v33
	v_mul_lo_u32 v6, v6, s52
	v_xor_b32_e32 v34, 0x7fffffff, v33
	v_sub_u32_e32 v36, 0, v33
	v_cmp_lt_u32_e64 s[46:47], v6, v33
	v_cndmask_b32_e64 v33, v36, v34, s[46:47]
	v_add_u32_e32 v6, v33, v6
	v_add_u32_e32 v33, -1, v35
	v_add_u32_e32 v34, 1, v35
	v_add_u32_e32 v36, -1, v6
	v_fma_f32 v37, -v33, v35, v32
	v_fma_f32 v38, -v34, v35, v32
	v_cvt_f32_u32_e32 v36, v36
	v_cmp_ge_f32_e64 s[46:47], 0, v37
	v_cvt_f32_u32_e32 v7, v7
	v_cndmask_b32_e64 v33, v35, v33, s[46:47]
	v_cmp_lt_f32_e64 s[46:47], 0, v38
	v_cndmask_b32_e64 v33, v33, v34, s[46:47]
	v_mul_f32_e32 v34, 0x37800000, v33
	v_cndmask_b32_e32 v33, v33, v34, vcc
	v_fma_f32 v34, v36, s53, 0
	v_cmp_class_f32_e32 vcc, v32, v4
	v_fma_f32 v7, v7, s53, 0
	v_cndmask_b32_e32 v32, v33, v32, vcc
	v_mul_f32_e32 v33, v34, v34
	v_add_f32_e32 v31, 1.0, v5
	v_cmp_nge_f32_e32 vcc, 1.0, v32
	v_fmac_f32_e32 v33, v7, v7
	v_cndmask_b32_e32 v5, v31, v5, vcc
	v_mul_f32_e32 v7, 0x4f800000, v33
	v_cmp_gt_f32_e32 vcc, s54, v33
	v_cndmask_b32_e32 v7, v33, v7, vcc
	v_sqrt_f32_e32 v32, v7
	s_add_i32 s50, s50, -2
	v_add_f32_e32 v31, 1.0, v5
	s_cmp_lg_u32 s50, 0
	v_add_u32_e32 v33, -1, v32
	v_add_u32_e32 v34, 1, v32
	v_fma_f32 v35, -v33, v32, v7
	v_fma_f32 v36, -v34, v32, v7
	v_cmp_ge_f32_e64 s[46:47], 0, v35
	v_cndmask_b32_e64 v32, v32, v33, s[46:47]
	v_cmp_lt_f32_e64 s[46:47], 0, v36
	v_cndmask_b32_e64 v32, v32, v34, s[46:47]
	v_mul_f32_e32 v33, 0x37800000, v32
	v_cndmask_b32_e32 v32, v32, v33, vcc
	v_cmp_class_f32_e32 vcc, v7, v4
	v_cndmask_b32_e32 v7, v32, v7, vcc
	v_cmp_nge_f32_e32 vcc, 1.0, v7
	v_cndmask_b32_e32 v5, v31, v5, vcc
	s_cbranch_scc1 .LBB29_1098
; %bb.1099:
	v_mul_f32_e32 v4, 4.0, v5
	s_mov_b32 s46, 0x459c4000
	v_div_scale_f32 v5, vcc, s46, s46, v4
	v_rcp_f32_e32 v6, v5
	v_fma_f32 v7, -v5, v6, 1.0
	v_fmac_f32_e32 v6, v7, v6
	v_div_scale_f32 v7, vcc, v4, s46, v4
	v_mul_f32_e32 v31, v7, v6
	v_fma_f32 v32, -v5, v31, v7
	v_fmac_f32_e32 v31, v32, v6
	v_fma_f32 v5, -v5, v31, v7
	v_div_fmas_f32 v5, v5, v6, v31
	v_div_fixup_f32 v31, v5, s46, v4
.LBB29_1100:
	s_or_b64 exec, exec, s[48:49]
	v_add_u32_e32 v4, 0xa00, v11
	v_cmp_lt_u32_e64 s[46:47], v4, v8
                                        ; implicit-def: $vgpr32
	s_and_saveexec_b64 s[50:51], s[46:47]
	s_cbranch_execz .LBB29_1110
; %bb.1101:
	v_add_u32_e32 v4, v9, v4
	s_movk_i32 vcc_lo, 0x1388
	v_mul_lo_u32 v4, v4, vcc_lo
	v_cmp_ne_u32_e32 vcc, 0, v4
	v_mov_b32_e32 v6, 1
	s_and_saveexec_b64 s[52:53], vcc
	s_cbranch_execz .LBB29_1107
; %bb.1102:
	v_mov_b32_e32 v6, 1
	v_mov_b32_e32 v5, 0
	s_mov_b64 s[56:57], 0xbc8f
	s_mov_b64 s[54:55], 0
	v_mov_b32_e32 v7, 0
	s_brev_b32 s60, -2
	s_mov_b32 s61, 0x7ffffffe
	v_mov_b32_e32 v32, 0xfffff800
	s_movk_i32 s62, 0x401
	s_branch .LBB29_1104
.LBB29_1103:                            ;   in Loop: Header=BB29_1104 Depth=1
	s_or_b64 exec, exec, s[58:59]
	s_mul_i32 vcc_lo, s56, s57
	s_mul_hi_u32 vcc_hi, s56, s56
	s_add_i32 vcc_hi, vcc_hi, vcc_lo
	s_add_i32 s48, vcc_hi, vcc_lo
	s_add_u32 vcc_lo, 0x402, s62
	s_mul_i32 s49, s56, s56
	s_addc_u32 s56, 0, 0
	v_add_co_u32_e32 v33, vcc, vcc_lo, v32
	s_cmp_lg_u64 vcc, 0
	v_readfirstlane_b32 vcc_hi, v33
	s_addc_u32 s56, s56, 1
	s_mul_hi_u32 s57, vcc_hi, 0x80000001
	s_mul_i32 vcc_lo, s56, 0x80000001
	s_sub_i32 s57, s57, vcc_hi
	s_add_i32 s57, s57, vcc_lo
	s_mul_i32 s59, vcc_hi, 0x80000001
	s_mul_hi_u32 vcc_lo, vcc_hi, s57
	s_mul_i32 s58, vcc_hi, s57
	s_mul_hi_u32 vcc_hi, vcc_hi, s59
	s_add_u32 vcc_hi, vcc_hi, s58
	s_addc_u32 vcc_lo, 0, vcc_lo
	s_mul_hi_u32 s63, s56, s59
	s_mul_i32 s59, s56, s59
	s_add_u32 vcc_hi, vcc_hi, s59
	s_mul_hi_u32 s58, s56, s57
	s_addc_u32 vcc_lo, vcc_lo, s63
	s_addc_u32 vcc_hi, s58, 0
	s_mul_i32 s57, s56, s57
	s_add_u32 vcc_lo, vcc_lo, s57
	s_addc_u32 s57, 0, vcc_hi
	v_add_co_u32_e32 v33, vcc, vcc_lo, v33
	s_cmp_lg_u64 vcc, 0
	s_addc_u32 vcc_lo, s56, s57
	v_readfirstlane_b32 s57, v33
	s_mul_i32 s56, s49, vcc_lo
	s_mul_hi_u32 s58, s49, s57
	s_mul_hi_u32 vcc_hi, s49, vcc_lo
	s_add_u32 s56, s58, s56
	s_addc_u32 vcc_hi, 0, vcc_hi
	s_mul_hi_u32 s59, s48, s57
	s_mul_i32 s57, s48, s57
	s_add_u32 s56, s56, s57
	s_mul_hi_u32 s58, s48, vcc_lo
	s_addc_u32 vcc_hi, vcc_hi, s59
	s_addc_u32 s56, s58, 0
	s_mul_i32 vcc_lo, s48, vcc_lo
	s_add_u32 vcc_lo, vcc_hi, vcc_lo
	s_addc_u32 vcc_hi, 0, s56
	s_mul_hi_u32 s56, vcc_lo, 0x7fffffff
	s_mul_i32 vcc_lo, vcc_lo, 0x7fffffff
	s_mul_i32 vcc_hi, vcc_hi, 0x7fffffff
	v_mov_b32_e32 v33, vcc_lo
	s_add_i32 s56, s56, vcc_hi
	v_sub_co_u32_e32 v33, vcc, s49, v33
	s_cmp_lg_u64 vcc, 0
	s_subb_u32 s48, s48, s56
	v_subrev_co_u32_e32 v36, vcc, s60, v33
	s_cmp_lg_u64 vcc, 0
	s_subb_u32 s49, s48, 0
	v_subrev_co_u32_e32 v37, vcc, s60, v36
	s_cmp_lg_u64 vcc, 0
	s_subb_u32 vcc_lo, s49, 0
	v_readfirstlane_b32 vcc_hi, v36
	s_cmp_gt_u32 vcc_hi, 0x7ffffffe
	s_cselect_b32 s56, -1, 0
	s_cmp_eq_u32 s49, 0
	s_cselect_b32 s56, s56, -1
	s_cmp_lg_u32 s56, 0
	s_cselect_b32 vcc_lo, vcc_lo, s49
	v_readfirstlane_b32 s49, v37
	s_cselect_b32 vcc_hi, s49, vcc_hi
	v_readfirstlane_b32 s49, v33
	s_cmp_gt_u32 s49, 0x7ffffffe
	s_cselect_b32 s56, -1, 0
	s_cmp_eq_u32 s48, 0
	s_cselect_b32 s56, s56, -1
	s_cmp_lg_u32 s56, 0
	v_lshrrev_b64 v[34:35], 1, v[4:5]
	s_cselect_b32 s57, vcc_lo, s48
	s_cselect_b32 s56, vcc_hi, s49
	v_cmp_gt_u64_e32 vcc, 2, v[4:5]
	s_or_b64 s[54:55], vcc, s[54:55]
	v_pk_mov_b32 v[4:5], v[34:35], v[34:35] op_sel:[0,1]
	s_andn2_b64 exec, exec, s[54:55]
	s_cbranch_execz .LBB29_1106
.LBB29_1104:                            ; =>This Inner Loop Header: Depth=1
	v_and_b32_e32 v33, 1, v4
	v_cmp_eq_u32_e32 vcc, 1, v33
	s_and_saveexec_b64 s[58:59], vcc
	s_cbranch_execz .LBB29_1103
; %bb.1105:                             ;   in Loop: Header=BB29_1104 Depth=1
	v_mul_lo_u32 v33, s57, v6
	v_mul_lo_u32 v34, s56, v7
	v_mad_u64_u32 v[6:7], vcc, s56, v6, 0
	s_add_u32 vcc_lo, 0x402, s62
	v_add3_u32 v7, v7, v34, v33
	s_addc_u32 s48, 0, 0
	v_add_co_u32_e32 v33, vcc, vcc_lo, v32
	s_cmp_lg_u64 vcc, 0
	v_readfirstlane_b32 vcc_hi, v33
	s_addc_u32 s48, s48, 1
	s_mul_hi_u32 s49, vcc_hi, 0x80000001
	s_mul_i32 vcc_lo, s48, 0x80000001
	s_sub_i32 s49, s49, vcc_hi
	s_add_i32 s49, s49, vcc_lo
	s_mul_i32 s64, vcc_hi, 0x80000001
	s_mul_hi_u32 vcc_lo, vcc_hi, s49
	s_mul_i32 s63, vcc_hi, s49
	s_mul_hi_u32 vcc_hi, vcc_hi, s64
	s_add_u32 vcc_hi, vcc_hi, s63
	s_addc_u32 vcc_lo, 0, vcc_lo
	s_mul_hi_u32 s65, s48, s64
	s_mul_i32 s64, s48, s64
	s_add_u32 vcc_hi, vcc_hi, s64
	s_mul_hi_u32 s63, s48, s49
	s_addc_u32 vcc_lo, vcc_lo, s65
	s_addc_u32 vcc_hi, s63, 0
	s_mul_i32 s49, s48, s49
	s_add_u32 vcc_lo, vcc_lo, s49
	s_addc_u32 s49, 0, vcc_hi
	v_add_co_u32_e32 v33, vcc, vcc_lo, v33
	s_cmp_lg_u64 vcc, 0
	s_addc_u32 s48, s48, s49
	v_mad_u64_u32 v[34:35], vcc, v6, s48, 0
	v_mul_hi_u32 v36, v6, v33
	v_add_co_u32_e32 v38, vcc, v36, v34
	v_addc_co_u32_e32 v39, vcc, 0, v35, vcc
	v_mad_u64_u32 v[34:35], vcc, v7, s48, 0
	v_mad_u64_u32 v[36:37], vcc, v7, v33, 0
	v_add_co_u32_e32 v33, vcc, v38, v36
	v_addc_co_u32_e32 v33, vcc, v39, v37, vcc
	v_addc_co_u32_e32 v35, vcc, 0, v35, vcc
	v_add_co_u32_e32 v33, vcc, v33, v34
	v_addc_co_u32_e32 v37, vcc, 0, v35, vcc
	v_mad_u64_u32 v[34:35], vcc, v33, s60, 0
	v_mov_b32_e32 v36, v35
	v_mad_u64_u32 v[36:37], vcc, v37, s60, v[36:37]
	v_sub_co_u32_e32 v6, vcc, v6, v34
	v_subb_co_u32_e32 v7, vcc, v7, v36, vcc
	v_subrev_co_u32_e32 v33, vcc, s60, v6
	v_subbrev_co_u32_e32 v34, vcc, 0, v7, vcc
	v_subrev_co_u32_e32 v35, vcc, s60, v33
	v_subbrev_co_u32_e32 v36, vcc, 0, v34, vcc
	v_cmp_lt_u32_e32 vcc, s61, v33
	v_cndmask_b32_e64 v37, 0, -1, vcc
	v_cmp_eq_u32_e32 vcc, 0, v34
	v_cndmask_b32_e32 v37, -1, v37, vcc
	v_cmp_ne_u32_e32 vcc, 0, v37
	v_cmp_lt_u32_e64 s[48:49], s61, v6
	v_cndmask_b32_e32 v34, v34, v36, vcc
	v_cndmask_b32_e64 v36, 0, -1, s[48:49]
	v_cmp_eq_u32_e64 s[48:49], 0, v7
	v_cndmask_b32_e64 v36, -1, v36, s[48:49]
	v_cmp_ne_u32_e64 s[48:49], 0, v36
	v_cndmask_b32_e32 v33, v33, v35, vcc
	v_cndmask_b32_e64 v7, v7, v34, s[48:49]
	v_cndmask_b32_e64 v6, v6, v33, s[48:49]
	s_branch .LBB29_1103
.LBB29_1106:
	s_or_b64 exec, exec, s[54:55]
	s_movk_i32 vcc_lo, 0x401
	s_add_u32 vcc_lo, 0x402, vcc_lo
	v_mov_b32_e32 v4, 0xfffff800
	s_addc_u32 s48, 0, 0
	v_add_co_u32_e32 v4, vcc, vcc_lo, v4
	s_cmp_lg_u64 vcc, 0
	v_readfirstlane_b32 vcc_hi, v4
	s_addc_u32 s48, s48, 1
	s_mul_hi_u32 s49, vcc_hi, 0x80000001
	s_mul_i32 vcc_lo, s48, 0x80000001
	s_sub_i32 s49, s49, vcc_hi
	s_add_i32 s49, s49, vcc_lo
	s_mul_i32 s55, vcc_hi, 0x80000001
	s_mul_hi_u32 vcc_lo, vcc_hi, s49
	s_mul_i32 s54, vcc_hi, s49
	s_mul_hi_u32 vcc_hi, vcc_hi, s55
	s_add_u32 vcc_hi, vcc_hi, s54
	s_addc_u32 vcc_lo, 0, vcc_lo
	s_mul_hi_u32 s56, s48, s55
	s_mul_i32 s55, s48, s55
	s_add_u32 vcc_hi, vcc_hi, s55
	s_mul_hi_u32 s54, s48, s49
	s_addc_u32 vcc_lo, vcc_lo, s56
	s_addc_u32 vcc_hi, s54, 0
	s_mul_i32 s49, s48, s49
	s_add_u32 vcc_lo, vcc_lo, s49
	s_addc_u32 s49, 0, vcc_hi
	v_add_co_u32_e32 v32, vcc, vcc_lo, v4
	s_cmp_lg_u64 vcc, 0
	s_addc_u32 s48, s48, s49
	v_mad_u64_u32 v[4:5], vcc, v6, s48, 0
	v_mul_hi_u32 v33, v6, v32
	v_add_co_u32_e32 v34, vcc, v33, v4
	v_addc_co_u32_e32 v35, vcc, 0, v5, vcc
	v_mad_u64_u32 v[4:5], vcc, v7, s48, 0
	v_mad_u64_u32 v[32:33], vcc, v7, v32, 0
	v_add_co_u32_e32 v32, vcc, v34, v32
	v_addc_co_u32_e32 v32, vcc, v35, v33, vcc
	v_addc_co_u32_e32 v5, vcc, 0, v5, vcc
	v_add_co_u32_e32 v4, vcc, v32, v4
	s_brev_b32 s48, -2
	v_addc_co_u32_e32 v33, vcc, 0, v5, vcc
	v_mad_u64_u32 v[4:5], vcc, v4, s48, 0
	v_mov_b32_e32 v32, v5
	v_mad_u64_u32 v[32:33], vcc, v33, s48, v[32:33]
	v_sub_co_u32_e32 v4, vcc, v6, v4
	v_subb_co_u32_e32 v5, vcc, v7, v32, vcc
	v_subrev_co_u32_e32 v6, vcc, 0x7fffffff, v4
	v_subbrev_co_u32_e32 v7, vcc, 0, v5, vcc
	s_mov_b32 s48, 0x7ffffffe
	v_cmp_lt_u32_e32 vcc, s48, v6
	v_cndmask_b32_e64 v32, 0, -1, vcc
	v_cmp_eq_u32_e32 vcc, 0, v7
	v_cndmask_b32_e32 v7, -1, v32, vcc
	v_add_u32_e32 v32, 0x80000001, v6
	v_cmp_ne_u32_e32 vcc, 0, v7
	v_cndmask_b32_e32 v6, v6, v32, vcc
	v_cmp_lt_u32_e32 vcc, s48, v4
	v_cndmask_b32_e64 v7, 0, -1, vcc
	v_cmp_eq_u32_e32 vcc, 0, v5
	v_cndmask_b32_e32 v5, -1, v7, vcc
	v_cmp_ne_u32_e32 vcc, 0, v5
	v_cndmask_b32_e32 v6, v4, v6, vcc
.LBB29_1107:
	s_or_b64 exec, exec, s[52:53]
	s_movk_i32 s52, 0x1388
	v_mov_b32_e32 v5, 0
	s_mov_b32 s53, 0xbc8f1391
	s_mov_b32 s54, 0xbc8f
	s_brev_b32 s55, 12
	s_mov_b32 s56, 0xf800000
	v_mov_b32_e32 v4, 0x260
.LBB29_1108:                            ; =>This Inner Loop Header: Depth=1
	v_mul_hi_u32 v7, v6, s53
	v_lshrrev_b32_e32 v7, 15, v7
	v_mul_u32_u24_e32 v33, 0xadc8, v7
	v_sub_u32_e32 v6, v6, v33
	v_mul_u32_u24_e32 v7, 0xd47, v7
	v_mul_lo_u32 v6, v6, s54
	v_xor_b32_e32 v33, 0x7fffffff, v7
	v_sub_u32_e32 v34, 0, v7
	v_cmp_lt_u32_e32 vcc, v6, v7
	v_cndmask_b32_e32 v7, v34, v33, vcc
	v_add_u32_e32 v6, v7, v6
	v_mul_hi_u32 v33, v6, s53
	v_lshrrev_b32_e32 v33, 15, v33
	v_mul_u32_u24_e32 v34, 0xadc8, v33
	v_add_u32_e32 v7, -1, v6
	v_sub_u32_e32 v6, v6, v34
	v_mul_u32_u24_e32 v33, 0xd47, v33
	v_mul_lo_u32 v6, v6, s54
	v_xor_b32_e32 v34, 0x7fffffff, v33
	v_sub_u32_e32 v35, 0, v33
	v_cmp_lt_u32_e32 vcc, v6, v33
	v_cndmask_b32_e32 v33, v35, v34, vcc
	v_add_u32_e32 v6, v33, v6
	v_mul_hi_u32 v34, v6, s53
	v_add_u32_e32 v33, -1, v6
	v_lshrrev_b32_e32 v34, 15, v34
	v_cvt_f32_u32_e32 v33, v33
	v_mul_u32_u24_e32 v35, 0xadc8, v34
	v_cvt_f32_u32_e32 v7, v7
	v_sub_u32_e32 v6, v6, v35
	v_mul_u32_u24_e32 v34, 0xd47, v34
	v_mul_lo_u32 v6, v6, s54
	v_xor_b32_e32 v35, 0x7fffffff, v34
	v_sub_u32_e32 v36, 0, v34
	v_cmp_lt_u32_e32 vcc, v6, v34
	v_fma_f32 v33, v33, s55, 0
	v_cndmask_b32_e32 v34, v36, v35, vcc
	v_fma_f32 v7, v7, s55, 0
	v_mul_f32_e32 v33, v33, v33
	v_add_u32_e32 v6, v34, v6
	v_fmac_f32_e32 v33, v7, v7
	v_mul_hi_u32 v34, v6, s53
	v_mul_f32_e32 v35, 0x4f800000, v33
	v_lshrrev_b32_e32 v34, 15, v34
	v_cmp_gt_f32_e32 vcc, s56, v33
	v_cndmask_b32_e32 v33, v33, v35, vcc
	v_mul_u32_u24_e32 v35, 0xadc8, v34
	v_add_u32_e32 v7, -1, v6
	v_sqrt_f32_e32 v36, v33
	v_sub_u32_e32 v6, v6, v35
	v_mul_u32_u24_e32 v34, 0xd47, v34
	v_mul_lo_u32 v6, v6, s54
	v_xor_b32_e32 v35, 0x7fffffff, v34
	v_sub_u32_e32 v37, 0, v34
	v_cmp_lt_u32_e64 s[48:49], v6, v34
	v_cndmask_b32_e64 v34, v37, v35, s[48:49]
	v_add_u32_e32 v6, v34, v6
	v_add_u32_e32 v34, -1, v36
	v_add_u32_e32 v35, 1, v36
	v_add_u32_e32 v37, -1, v6
	v_fma_f32 v38, -v34, v36, v33
	v_fma_f32 v39, -v35, v36, v33
	v_cvt_f32_u32_e32 v37, v37
	v_cmp_ge_f32_e64 s[48:49], 0, v38
	v_cvt_f32_u32_e32 v7, v7
	v_cndmask_b32_e64 v34, v36, v34, s[48:49]
	v_cmp_lt_f32_e64 s[48:49], 0, v39
	v_cndmask_b32_e64 v34, v34, v35, s[48:49]
	v_mul_f32_e32 v35, 0x37800000, v34
	v_cndmask_b32_e32 v34, v34, v35, vcc
	v_fma_f32 v35, v37, s55, 0
	v_cmp_class_f32_e32 vcc, v33, v4
	v_fma_f32 v7, v7, s55, 0
	v_cndmask_b32_e32 v33, v34, v33, vcc
	v_mul_f32_e32 v34, v35, v35
	v_add_f32_e32 v32, 1.0, v5
	v_cmp_nge_f32_e32 vcc, 1.0, v33
	v_fmac_f32_e32 v34, v7, v7
	v_cndmask_b32_e32 v5, v32, v5, vcc
	v_mul_f32_e32 v7, 0x4f800000, v34
	v_cmp_gt_f32_e32 vcc, s56, v34
	v_cndmask_b32_e32 v7, v34, v7, vcc
	v_sqrt_f32_e32 v33, v7
	s_add_i32 s52, s52, -2
	v_add_f32_e32 v32, 1.0, v5
	s_cmp_lg_u32 s52, 0
	v_add_u32_e32 v34, -1, v33
	v_add_u32_e32 v35, 1, v33
	v_fma_f32 v36, -v34, v33, v7
	v_fma_f32 v37, -v35, v33, v7
	v_cmp_ge_f32_e64 s[48:49], 0, v36
	v_cndmask_b32_e64 v33, v33, v34, s[48:49]
	v_cmp_lt_f32_e64 s[48:49], 0, v37
	v_cndmask_b32_e64 v33, v33, v35, s[48:49]
	v_mul_f32_e32 v34, 0x37800000, v33
	v_cndmask_b32_e32 v33, v33, v34, vcc
	v_cmp_class_f32_e32 vcc, v7, v4
	v_cndmask_b32_e32 v7, v33, v7, vcc
	v_cmp_nge_f32_e32 vcc, 1.0, v7
	v_cndmask_b32_e32 v5, v32, v5, vcc
	s_cbranch_scc1 .LBB29_1108
; %bb.1109:
	v_mul_f32_e32 v4, 4.0, v5
	s_mov_b32 s48, 0x459c4000
	v_div_scale_f32 v5, vcc, s48, s48, v4
	v_rcp_f32_e32 v6, v5
	v_fma_f32 v7, -v5, v6, 1.0
	v_fmac_f32_e32 v6, v7, v6
	v_div_scale_f32 v7, vcc, v4, s48, v4
	v_mul_f32_e32 v32, v7, v6
	v_fma_f32 v33, -v5, v32, v7
	v_fmac_f32_e32 v32, v33, v6
	v_fma_f32 v5, -v5, v32, v7
	v_div_fmas_f32 v5, v5, v6, v32
	v_div_fixup_f32 v32, v5, s48, v4
.LBB29_1110:
	s_or_b64 exec, exec, s[50:51]
	v_add_u32_e32 v4, 0xa80, v11
	v_cmp_lt_u32_e64 s[48:49], v4, v8
                                        ; implicit-def: $vgpr33
	s_and_saveexec_b64 s[52:53], s[48:49]
	s_cbranch_execz .LBB29_1120
; %bb.1111:
	v_add_u32_e32 v4, v9, v4
	s_movk_i32 vcc_lo, 0x1388
	v_mul_lo_u32 v4, v4, vcc_lo
	v_cmp_ne_u32_e32 vcc, 0, v4
	v_mov_b32_e32 v6, 1
	s_and_saveexec_b64 s[54:55], vcc
	s_cbranch_execz .LBB29_1117
; %bb.1112:
	v_mov_b32_e32 v6, 1
	v_mov_b32_e32 v5, 0
	s_mov_b64 s[58:59], 0xbc8f
	s_mov_b64 s[56:57], 0
	v_mov_b32_e32 v7, 0
	s_brev_b32 s62, -2
	s_mov_b32 s63, 0x7ffffffe
	v_mov_b32_e32 v33, 0xfffff800
	s_movk_i32 s64, 0x401
	s_branch .LBB29_1114
.LBB29_1113:                            ;   in Loop: Header=BB29_1114 Depth=1
	s_or_b64 exec, exec, s[60:61]
	s_mul_i32 vcc_lo, s58, s59
	s_mul_hi_u32 vcc_hi, s58, s58
	s_add_i32 vcc_hi, vcc_hi, vcc_lo
	s_add_i32 s50, vcc_hi, vcc_lo
	s_add_u32 vcc_lo, 0x402, s64
	s_mul_i32 s51, s58, s58
	s_addc_u32 s58, 0, 0
	v_add_co_u32_e32 v36, vcc, vcc_lo, v33
	s_cmp_lg_u64 vcc, 0
	v_readfirstlane_b32 vcc_hi, v36
	s_addc_u32 s58, s58, 1
	s_mul_hi_u32 s59, vcc_hi, 0x80000001
	s_mul_i32 vcc_lo, s58, 0x80000001
	s_sub_i32 s59, s59, vcc_hi
	s_add_i32 s59, s59, vcc_lo
	s_mul_i32 s61, vcc_hi, 0x80000001
	s_mul_hi_u32 vcc_lo, vcc_hi, s59
	s_mul_i32 s60, vcc_hi, s59
	s_mul_hi_u32 vcc_hi, vcc_hi, s61
	s_add_u32 vcc_hi, vcc_hi, s60
	s_addc_u32 vcc_lo, 0, vcc_lo
	s_mul_hi_u32 s65, s58, s61
	s_mul_i32 s61, s58, s61
	s_add_u32 vcc_hi, vcc_hi, s61
	s_mul_hi_u32 s60, s58, s59
	s_addc_u32 vcc_lo, vcc_lo, s65
	s_addc_u32 vcc_hi, s60, 0
	s_mul_i32 s59, s58, s59
	s_add_u32 vcc_lo, vcc_lo, s59
	s_addc_u32 s59, 0, vcc_hi
	v_add_co_u32_e32 v36, vcc, vcc_lo, v36
	s_cmp_lg_u64 vcc, 0
	s_addc_u32 vcc_lo, s58, s59
	v_readfirstlane_b32 s59, v36
	s_mul_i32 s58, s51, vcc_lo
	s_mul_hi_u32 s60, s51, s59
	s_mul_hi_u32 vcc_hi, s51, vcc_lo
	s_add_u32 s58, s60, s58
	s_addc_u32 vcc_hi, 0, vcc_hi
	s_mul_hi_u32 s61, s50, s59
	s_mul_i32 s59, s50, s59
	s_add_u32 s58, s58, s59
	s_mul_hi_u32 s60, s50, vcc_lo
	s_addc_u32 vcc_hi, vcc_hi, s61
	s_addc_u32 s58, s60, 0
	s_mul_i32 vcc_lo, s50, vcc_lo
	s_add_u32 vcc_lo, vcc_hi, vcc_lo
	s_addc_u32 vcc_hi, 0, s58
	s_mul_hi_u32 s58, vcc_lo, 0x7fffffff
	s_mul_i32 vcc_lo, vcc_lo, 0x7fffffff
	s_mul_i32 vcc_hi, vcc_hi, 0x7fffffff
	v_mov_b32_e32 v36, vcc_lo
	s_add_i32 s58, s58, vcc_hi
	v_sub_co_u32_e32 v36, vcc, s51, v36
	s_cmp_lg_u64 vcc, 0
	s_subb_u32 s50, s50, s58
	v_subrev_co_u32_e32 v37, vcc, s62, v36
	s_cmp_lg_u64 vcc, 0
	s_subb_u32 s51, s50, 0
	v_subrev_co_u32_e32 v38, vcc, s62, v37
	s_cmp_lg_u64 vcc, 0
	s_subb_u32 vcc_lo, s51, 0
	v_readfirstlane_b32 vcc_hi, v37
	s_cmp_gt_u32 vcc_hi, 0x7ffffffe
	s_cselect_b32 s58, -1, 0
	s_cmp_eq_u32 s51, 0
	s_cselect_b32 s58, s58, -1
	s_cmp_lg_u32 s58, 0
	s_cselect_b32 vcc_lo, vcc_lo, s51
	v_readfirstlane_b32 s51, v38
	s_cselect_b32 vcc_hi, s51, vcc_hi
	v_readfirstlane_b32 s51, v36
	s_cmp_gt_u32 s51, 0x7ffffffe
	s_cselect_b32 s58, -1, 0
	s_cmp_eq_u32 s50, 0
	s_cselect_b32 s58, s58, -1
	s_cmp_lg_u32 s58, 0
	v_lshrrev_b64 v[34:35], 1, v[4:5]
	s_cselect_b32 s59, vcc_lo, s50
	s_cselect_b32 s58, vcc_hi, s51
	v_cmp_gt_u64_e32 vcc, 2, v[4:5]
	s_or_b64 s[56:57], vcc, s[56:57]
	v_pk_mov_b32 v[4:5], v[34:35], v[34:35] op_sel:[0,1]
	s_andn2_b64 exec, exec, s[56:57]
	s_cbranch_execz .LBB29_1116
.LBB29_1114:                            ; =>This Inner Loop Header: Depth=1
	v_and_b32_e32 v34, 1, v4
	v_cmp_eq_u32_e32 vcc, 1, v34
	s_and_saveexec_b64 s[60:61], vcc
	s_cbranch_execz .LBB29_1113
; %bb.1115:                             ;   in Loop: Header=BB29_1114 Depth=1
	v_mul_lo_u32 v34, s59, v6
	v_mul_lo_u32 v35, s58, v7
	v_mad_u64_u32 v[6:7], vcc, s58, v6, 0
	s_add_u32 vcc_lo, 0x402, s64
	v_add3_u32 v7, v7, v35, v34
	s_addc_u32 s50, 0, 0
	v_add_co_u32_e32 v34, vcc, vcc_lo, v33
	s_cmp_lg_u64 vcc, 0
	v_readfirstlane_b32 vcc_hi, v34
	s_addc_u32 s50, s50, 1
	s_mul_hi_u32 s51, vcc_hi, 0x80000001
	s_mul_i32 vcc_lo, s50, 0x80000001
	s_sub_i32 s51, s51, vcc_hi
	s_add_i32 s51, s51, vcc_lo
	s_mul_i32 s66, vcc_hi, 0x80000001
	s_mul_hi_u32 vcc_lo, vcc_hi, s51
	s_mul_i32 s65, vcc_hi, s51
	s_mul_hi_u32 vcc_hi, vcc_hi, s66
	s_add_u32 vcc_hi, vcc_hi, s65
	s_addc_u32 vcc_lo, 0, vcc_lo
	s_mul_hi_u32 s67, s50, s66
	s_mul_i32 s66, s50, s66
	s_add_u32 vcc_hi, vcc_hi, s66
	s_mul_hi_u32 s65, s50, s51
	s_addc_u32 vcc_lo, vcc_lo, s67
	s_addc_u32 vcc_hi, s65, 0
	s_mul_i32 s51, s50, s51
	s_add_u32 vcc_lo, vcc_lo, s51
	s_addc_u32 s51, 0, vcc_hi
	v_add_co_u32_e32 v36, vcc, vcc_lo, v34
	s_cmp_lg_u64 vcc, 0
	s_addc_u32 s50, s50, s51
	v_mad_u64_u32 v[34:35], vcc, v6, s50, 0
	v_mul_hi_u32 v37, v6, v36
	v_add_co_u32_e32 v38, vcc, v37, v34
	v_addc_co_u32_e32 v39, vcc, 0, v35, vcc
	v_mad_u64_u32 v[34:35], vcc, v7, s50, 0
	v_mad_u64_u32 v[36:37], vcc, v7, v36, 0
	v_add_co_u32_e32 v36, vcc, v38, v36
	v_addc_co_u32_e32 v36, vcc, v39, v37, vcc
	v_addc_co_u32_e32 v35, vcc, 0, v35, vcc
	v_add_co_u32_e32 v34, vcc, v36, v34
	v_addc_co_u32_e32 v37, vcc, 0, v35, vcc
	v_mad_u64_u32 v[34:35], vcc, v34, s62, 0
	v_mov_b32_e32 v36, v35
	v_mad_u64_u32 v[36:37], vcc, v37, s62, v[36:37]
	v_sub_co_u32_e32 v6, vcc, v6, v34
	v_subb_co_u32_e32 v7, vcc, v7, v36, vcc
	v_subrev_co_u32_e32 v34, vcc, s62, v6
	v_subbrev_co_u32_e32 v35, vcc, 0, v7, vcc
	v_subrev_co_u32_e32 v36, vcc, s62, v34
	v_subbrev_co_u32_e32 v37, vcc, 0, v35, vcc
	v_cmp_lt_u32_e32 vcc, s63, v34
	v_cndmask_b32_e64 v38, 0, -1, vcc
	v_cmp_eq_u32_e32 vcc, 0, v35
	v_cndmask_b32_e32 v38, -1, v38, vcc
	v_cmp_ne_u32_e32 vcc, 0, v38
	v_cmp_lt_u32_e64 s[50:51], s63, v6
	v_cndmask_b32_e32 v35, v35, v37, vcc
	v_cndmask_b32_e64 v37, 0, -1, s[50:51]
	v_cmp_eq_u32_e64 s[50:51], 0, v7
	v_cndmask_b32_e64 v37, -1, v37, s[50:51]
	v_cmp_ne_u32_e64 s[50:51], 0, v37
	v_cndmask_b32_e32 v34, v34, v36, vcc
	v_cndmask_b32_e64 v7, v7, v35, s[50:51]
	v_cndmask_b32_e64 v6, v6, v34, s[50:51]
	s_branch .LBB29_1113
.LBB29_1116:
	s_or_b64 exec, exec, s[56:57]
	s_movk_i32 vcc_lo, 0x401
	s_add_u32 vcc_lo, 0x402, vcc_lo
	v_mov_b32_e32 v4, 0xfffff800
	s_addc_u32 s50, 0, 0
	v_add_co_u32_e32 v4, vcc, vcc_lo, v4
	s_cmp_lg_u64 vcc, 0
	v_readfirstlane_b32 vcc_hi, v4
	s_addc_u32 s50, s50, 1
	s_mul_hi_u32 s51, vcc_hi, 0x80000001
	s_mul_i32 vcc_lo, s50, 0x80000001
	s_sub_i32 s51, s51, vcc_hi
	s_add_i32 s51, s51, vcc_lo
	s_mul_i32 s57, vcc_hi, 0x80000001
	s_mul_hi_u32 vcc_lo, vcc_hi, s51
	s_mul_i32 s56, vcc_hi, s51
	s_mul_hi_u32 vcc_hi, vcc_hi, s57
	s_add_u32 vcc_hi, vcc_hi, s56
	s_addc_u32 vcc_lo, 0, vcc_lo
	s_mul_hi_u32 s58, s50, s57
	s_mul_i32 s57, s50, s57
	s_add_u32 vcc_hi, vcc_hi, s57
	s_mul_hi_u32 s56, s50, s51
	s_addc_u32 vcc_lo, vcc_lo, s58
	s_addc_u32 vcc_hi, s56, 0
	s_mul_i32 s51, s50, s51
	s_add_u32 vcc_lo, vcc_lo, s51
	s_addc_u32 s51, 0, vcc_hi
	v_add_co_u32_e32 v33, vcc, vcc_lo, v4
	s_cmp_lg_u64 vcc, 0
	s_addc_u32 s50, s50, s51
	v_mad_u64_u32 v[4:5], vcc, v6, s50, 0
	v_mul_hi_u32 v34, v6, v33
	v_add_co_u32_e32 v36, vcc, v34, v4
	v_addc_co_u32_e32 v37, vcc, 0, v5, vcc
	v_mad_u64_u32 v[4:5], vcc, v7, s50, 0
	v_mad_u64_u32 v[34:35], vcc, v7, v33, 0
	v_add_co_u32_e32 v33, vcc, v36, v34
	v_addc_co_u32_e32 v33, vcc, v37, v35, vcc
	v_addc_co_u32_e32 v5, vcc, 0, v5, vcc
	v_add_co_u32_e32 v4, vcc, v33, v4
	s_brev_b32 s50, -2
	v_addc_co_u32_e32 v33, vcc, 0, v5, vcc
	v_mad_u64_u32 v[4:5], vcc, v4, s50, 0
	v_mov_b32_e32 v34, v5
	v_mad_u64_u32 v[34:35], vcc, v33, s50, v[34:35]
	v_sub_co_u32_e32 v4, vcc, v6, v4
	v_subb_co_u32_e32 v5, vcc, v7, v34, vcc
	v_subrev_co_u32_e32 v6, vcc, 0x7fffffff, v4
	v_subbrev_co_u32_e32 v7, vcc, 0, v5, vcc
	s_mov_b32 s50, 0x7ffffffe
	v_cmp_lt_u32_e32 vcc, s50, v6
	v_cndmask_b32_e64 v33, 0, -1, vcc
	v_cmp_eq_u32_e32 vcc, 0, v7
	v_cndmask_b32_e32 v7, -1, v33, vcc
	v_add_u32_e32 v33, 0x80000001, v6
	v_cmp_ne_u32_e32 vcc, 0, v7
	v_cndmask_b32_e32 v6, v6, v33, vcc
	v_cmp_lt_u32_e32 vcc, s50, v4
	v_cndmask_b32_e64 v7, 0, -1, vcc
	v_cmp_eq_u32_e32 vcc, 0, v5
	v_cndmask_b32_e32 v5, -1, v7, vcc
	v_cmp_ne_u32_e32 vcc, 0, v5
	v_cndmask_b32_e32 v6, v4, v6, vcc
.LBB29_1117:
	s_or_b64 exec, exec, s[54:55]
	s_movk_i32 s54, 0x1388
	v_mov_b32_e32 v5, 0
	s_mov_b32 s55, 0xbc8f1391
	s_mov_b32 s56, 0xbc8f
	s_brev_b32 s57, 12
	s_mov_b32 s58, 0xf800000
	v_mov_b32_e32 v4, 0x260
.LBB29_1118:                            ; =>This Inner Loop Header: Depth=1
	v_mul_hi_u32 v7, v6, s55
	v_lshrrev_b32_e32 v7, 15, v7
	v_mul_u32_u24_e32 v34, 0xadc8, v7
	v_sub_u32_e32 v6, v6, v34
	v_mul_u32_u24_e32 v7, 0xd47, v7
	v_mul_lo_u32 v6, v6, s56
	v_xor_b32_e32 v34, 0x7fffffff, v7
	v_sub_u32_e32 v35, 0, v7
	v_cmp_lt_u32_e32 vcc, v6, v7
	v_cndmask_b32_e32 v7, v35, v34, vcc
	v_add_u32_e32 v6, v7, v6
	v_mul_hi_u32 v34, v6, s55
	v_lshrrev_b32_e32 v34, 15, v34
	v_mul_u32_u24_e32 v35, 0xadc8, v34
	v_add_u32_e32 v7, -1, v6
	v_sub_u32_e32 v6, v6, v35
	v_mul_u32_u24_e32 v34, 0xd47, v34
	v_mul_lo_u32 v6, v6, s56
	v_xor_b32_e32 v35, 0x7fffffff, v34
	v_sub_u32_e32 v36, 0, v34
	v_cmp_lt_u32_e32 vcc, v6, v34
	v_cndmask_b32_e32 v34, v36, v35, vcc
	v_add_u32_e32 v6, v34, v6
	v_mul_hi_u32 v35, v6, s55
	v_add_u32_e32 v34, -1, v6
	v_lshrrev_b32_e32 v35, 15, v35
	v_cvt_f32_u32_e32 v34, v34
	v_mul_u32_u24_e32 v36, 0xadc8, v35
	v_cvt_f32_u32_e32 v7, v7
	v_sub_u32_e32 v6, v6, v36
	v_mul_u32_u24_e32 v35, 0xd47, v35
	v_mul_lo_u32 v6, v6, s56
	v_xor_b32_e32 v36, 0x7fffffff, v35
	v_sub_u32_e32 v37, 0, v35
	v_cmp_lt_u32_e32 vcc, v6, v35
	v_fma_f32 v34, v34, s57, 0
	v_cndmask_b32_e32 v35, v37, v36, vcc
	v_fma_f32 v7, v7, s57, 0
	v_mul_f32_e32 v34, v34, v34
	v_add_u32_e32 v6, v35, v6
	v_fmac_f32_e32 v34, v7, v7
	v_mul_hi_u32 v35, v6, s55
	v_mul_f32_e32 v36, 0x4f800000, v34
	v_lshrrev_b32_e32 v35, 15, v35
	v_cmp_gt_f32_e32 vcc, s58, v34
	v_cndmask_b32_e32 v34, v34, v36, vcc
	v_mul_u32_u24_e32 v36, 0xadc8, v35
	v_add_u32_e32 v7, -1, v6
	v_sqrt_f32_e32 v37, v34
	v_sub_u32_e32 v6, v6, v36
	v_mul_u32_u24_e32 v35, 0xd47, v35
	v_mul_lo_u32 v6, v6, s56
	v_xor_b32_e32 v36, 0x7fffffff, v35
	v_sub_u32_e32 v38, 0, v35
	v_cmp_lt_u32_e64 s[50:51], v6, v35
	v_cndmask_b32_e64 v35, v38, v36, s[50:51]
	v_add_u32_e32 v6, v35, v6
	v_add_u32_e32 v35, -1, v37
	v_add_u32_e32 v36, 1, v37
	v_add_u32_e32 v38, -1, v6
	v_fma_f32 v39, -v35, v37, v34
	v_fma_f32 v48, -v36, v37, v34
	v_cvt_f32_u32_e32 v38, v38
	v_cmp_ge_f32_e64 s[50:51], 0, v39
	v_cvt_f32_u32_e32 v7, v7
	v_cndmask_b32_e64 v35, v37, v35, s[50:51]
	v_cmp_lt_f32_e64 s[50:51], 0, v48
	v_cndmask_b32_e64 v35, v35, v36, s[50:51]
	v_mul_f32_e32 v36, 0x37800000, v35
	v_cndmask_b32_e32 v35, v35, v36, vcc
	v_fma_f32 v36, v38, s57, 0
	v_cmp_class_f32_e32 vcc, v34, v4
	v_fma_f32 v7, v7, s57, 0
	v_cndmask_b32_e32 v34, v35, v34, vcc
	v_mul_f32_e32 v35, v36, v36
	v_add_f32_e32 v33, 1.0, v5
	v_cmp_nge_f32_e32 vcc, 1.0, v34
	v_fmac_f32_e32 v35, v7, v7
	v_cndmask_b32_e32 v5, v33, v5, vcc
	v_mul_f32_e32 v7, 0x4f800000, v35
	v_cmp_gt_f32_e32 vcc, s58, v35
	v_cndmask_b32_e32 v7, v35, v7, vcc
	v_sqrt_f32_e32 v34, v7
	s_add_i32 s54, s54, -2
	v_add_f32_e32 v33, 1.0, v5
	s_cmp_lg_u32 s54, 0
	v_add_u32_e32 v35, -1, v34
	v_add_u32_e32 v36, 1, v34
	v_fma_f32 v37, -v35, v34, v7
	v_fma_f32 v38, -v36, v34, v7
	v_cmp_ge_f32_e64 s[50:51], 0, v37
	v_cndmask_b32_e64 v34, v34, v35, s[50:51]
	v_cmp_lt_f32_e64 s[50:51], 0, v38
	v_cndmask_b32_e64 v34, v34, v36, s[50:51]
	v_mul_f32_e32 v35, 0x37800000, v34
	v_cndmask_b32_e32 v34, v34, v35, vcc
	v_cmp_class_f32_e32 vcc, v7, v4
	v_cndmask_b32_e32 v7, v34, v7, vcc
	v_cmp_nge_f32_e32 vcc, 1.0, v7
	v_cndmask_b32_e32 v5, v33, v5, vcc
	s_cbranch_scc1 .LBB29_1118
; %bb.1119:
	v_mul_f32_e32 v4, 4.0, v5
	s_mov_b32 s50, 0x459c4000
	v_div_scale_f32 v5, vcc, s50, s50, v4
	v_rcp_f32_e32 v6, v5
	v_fma_f32 v7, -v5, v6, 1.0
	v_fmac_f32_e32 v6, v7, v6
	v_div_scale_f32 v7, vcc, v4, s50, v4
	v_mul_f32_e32 v33, v7, v6
	v_fma_f32 v34, -v5, v33, v7
	v_fmac_f32_e32 v33, v34, v6
	v_fma_f32 v5, -v5, v33, v7
	v_div_fmas_f32 v5, v5, v6, v33
	v_div_fixup_f32 v33, v5, s50, v4
.LBB29_1120:
	s_or_b64 exec, exec, s[52:53]
	v_add_u32_e32 v4, 0xb00, v11
	v_cmp_lt_u32_e64 s[50:51], v4, v8
                                        ; implicit-def: $vgpr34
	s_and_saveexec_b64 s[54:55], s[50:51]
	s_cbranch_execz .LBB29_1130
; %bb.1121:
	v_add_u32_e32 v4, v9, v4
	s_movk_i32 vcc_lo, 0x1388
	v_mul_lo_u32 v4, v4, vcc_lo
	v_cmp_ne_u32_e32 vcc, 0, v4
	v_mov_b32_e32 v6, 1
	s_and_saveexec_b64 s[56:57], vcc
	s_cbranch_execz .LBB29_1127
; %bb.1122:
	v_mov_b32_e32 v6, 1
	v_mov_b32_e32 v5, 0
	s_mov_b64 s[60:61], 0xbc8f
	s_mov_b64 s[58:59], 0
	v_mov_b32_e32 v7, 0
	s_brev_b32 s64, -2
	s_mov_b32 s65, 0x7ffffffe
	v_mov_b32_e32 v34, 0xfffff800
	s_movk_i32 s66, 0x401
	s_branch .LBB29_1124
.LBB29_1123:                            ;   in Loop: Header=BB29_1124 Depth=1
	s_or_b64 exec, exec, s[62:63]
	s_mul_i32 vcc_lo, s60, s61
	s_mul_hi_u32 vcc_hi, s60, s60
	s_add_i32 vcc_hi, vcc_hi, vcc_lo
	s_add_i32 s52, vcc_hi, vcc_lo
	s_add_u32 vcc_lo, 0x402, s66
	s_mul_i32 s53, s60, s60
	s_addc_u32 s60, 0, 0
	v_add_co_u32_e32 v35, vcc, vcc_lo, v34
	s_cmp_lg_u64 vcc, 0
	v_readfirstlane_b32 vcc_hi, v35
	s_addc_u32 s60, s60, 1
	s_mul_hi_u32 s61, vcc_hi, 0x80000001
	s_mul_i32 vcc_lo, s60, 0x80000001
	s_sub_i32 s61, s61, vcc_hi
	s_add_i32 s61, s61, vcc_lo
	s_mul_i32 s63, vcc_hi, 0x80000001
	s_mul_hi_u32 vcc_lo, vcc_hi, s61
	s_mul_i32 s62, vcc_hi, s61
	s_mul_hi_u32 vcc_hi, vcc_hi, s63
	s_add_u32 vcc_hi, vcc_hi, s62
	s_addc_u32 vcc_lo, 0, vcc_lo
	s_mul_hi_u32 s67, s60, s63
	s_mul_i32 s63, s60, s63
	s_add_u32 vcc_hi, vcc_hi, s63
	s_mul_hi_u32 s62, s60, s61
	s_addc_u32 vcc_lo, vcc_lo, s67
	s_addc_u32 vcc_hi, s62, 0
	s_mul_i32 s61, s60, s61
	s_add_u32 vcc_lo, vcc_lo, s61
	s_addc_u32 s61, 0, vcc_hi
	v_add_co_u32_e32 v35, vcc, vcc_lo, v35
	s_cmp_lg_u64 vcc, 0
	s_addc_u32 vcc_lo, s60, s61
	v_readfirstlane_b32 s61, v35
	s_mul_i32 s60, s53, vcc_lo
	s_mul_hi_u32 s62, s53, s61
	s_mul_hi_u32 vcc_hi, s53, vcc_lo
	s_add_u32 s60, s62, s60
	s_addc_u32 vcc_hi, 0, vcc_hi
	s_mul_hi_u32 s63, s52, s61
	s_mul_i32 s61, s52, s61
	s_add_u32 s60, s60, s61
	s_mul_hi_u32 s62, s52, vcc_lo
	s_addc_u32 vcc_hi, vcc_hi, s63
	s_addc_u32 s60, s62, 0
	s_mul_i32 vcc_lo, s52, vcc_lo
	s_add_u32 vcc_lo, vcc_hi, vcc_lo
	s_addc_u32 vcc_hi, 0, s60
	s_mul_hi_u32 s60, vcc_lo, 0x7fffffff
	s_mul_i32 vcc_lo, vcc_lo, 0x7fffffff
	s_mul_i32 vcc_hi, vcc_hi, 0x7fffffff
	v_mov_b32_e32 v35, vcc_lo
	s_add_i32 s60, s60, vcc_hi
	v_sub_co_u32_e32 v35, vcc, s53, v35
	s_cmp_lg_u64 vcc, 0
	s_subb_u32 s52, s52, s60
	v_subrev_co_u32_e32 v38, vcc, s64, v35
	s_cmp_lg_u64 vcc, 0
	s_subb_u32 s53, s52, 0
	v_subrev_co_u32_e32 v39, vcc, s64, v38
	s_cmp_lg_u64 vcc, 0
	s_subb_u32 vcc_lo, s53, 0
	v_readfirstlane_b32 vcc_hi, v38
	s_cmp_gt_u32 vcc_hi, 0x7ffffffe
	s_cselect_b32 s60, -1, 0
	s_cmp_eq_u32 s53, 0
	s_cselect_b32 s60, s60, -1
	s_cmp_lg_u32 s60, 0
	s_cselect_b32 vcc_lo, vcc_lo, s53
	v_readfirstlane_b32 s53, v39
	s_cselect_b32 vcc_hi, s53, vcc_hi
	v_readfirstlane_b32 s53, v35
	s_cmp_gt_u32 s53, 0x7ffffffe
	s_cselect_b32 s60, -1, 0
	s_cmp_eq_u32 s52, 0
	s_cselect_b32 s60, s60, -1
	s_cmp_lg_u32 s60, 0
	v_lshrrev_b64 v[36:37], 1, v[4:5]
	s_cselect_b32 s61, vcc_lo, s52
	s_cselect_b32 s60, vcc_hi, s53
	v_cmp_gt_u64_e32 vcc, 2, v[4:5]
	s_or_b64 s[58:59], vcc, s[58:59]
	v_pk_mov_b32 v[4:5], v[36:37], v[36:37] op_sel:[0,1]
	s_andn2_b64 exec, exec, s[58:59]
	s_cbranch_execz .LBB29_1126
.LBB29_1124:                            ; =>This Inner Loop Header: Depth=1
	v_and_b32_e32 v35, 1, v4
	v_cmp_eq_u32_e32 vcc, 1, v35
	s_and_saveexec_b64 s[62:63], vcc
	s_cbranch_execz .LBB29_1123
; %bb.1125:                             ;   in Loop: Header=BB29_1124 Depth=1
	v_mul_lo_u32 v35, s61, v6
	v_mul_lo_u32 v36, s60, v7
	v_mad_u64_u32 v[6:7], vcc, s60, v6, 0
	s_add_u32 vcc_lo, 0x402, s66
	v_add3_u32 v7, v7, v36, v35
	s_addc_u32 s52, 0, 0
	v_add_co_u32_e32 v35, vcc, vcc_lo, v34
	s_cmp_lg_u64 vcc, 0
	v_readfirstlane_b32 vcc_hi, v35
	s_addc_u32 s52, s52, 1
	s_mul_hi_u32 s53, vcc_hi, 0x80000001
	s_mul_i32 vcc_lo, s52, 0x80000001
	s_sub_i32 s53, s53, vcc_hi
	s_add_i32 s53, s53, vcc_lo
	s_mul_i32 s68, vcc_hi, 0x80000001
	s_mul_hi_u32 vcc_lo, vcc_hi, s53
	s_mul_i32 s67, vcc_hi, s53
	s_mul_hi_u32 vcc_hi, vcc_hi, s68
	s_add_u32 vcc_hi, vcc_hi, s67
	s_addc_u32 vcc_lo, 0, vcc_lo
	s_mul_hi_u32 s69, s52, s68
	s_mul_i32 s68, s52, s68
	s_add_u32 vcc_hi, vcc_hi, s68
	s_mul_hi_u32 s67, s52, s53
	s_addc_u32 vcc_lo, vcc_lo, s69
	s_addc_u32 vcc_hi, s67, 0
	s_mul_i32 s53, s52, s53
	s_add_u32 vcc_lo, vcc_lo, s53
	s_addc_u32 s53, 0, vcc_hi
	v_add_co_u32_e32 v35, vcc, vcc_lo, v35
	s_cmp_lg_u64 vcc, 0
	s_addc_u32 s52, s52, s53
	v_mad_u64_u32 v[36:37], vcc, v6, s52, 0
	v_mul_hi_u32 v38, v6, v35
	v_add_co_u32_e32 v48, vcc, v38, v36
	v_addc_co_u32_e32 v49, vcc, 0, v37, vcc
	v_mad_u64_u32 v[36:37], vcc, v7, s52, 0
	v_mad_u64_u32 v[38:39], vcc, v7, v35, 0
	v_add_co_u32_e32 v35, vcc, v48, v38
	v_addc_co_u32_e32 v35, vcc, v49, v39, vcc
	v_addc_co_u32_e32 v37, vcc, 0, v37, vcc
	v_add_co_u32_e32 v35, vcc, v35, v36
	v_addc_co_u32_e32 v39, vcc, 0, v37, vcc
	v_mad_u64_u32 v[36:37], vcc, v35, s64, 0
	v_mov_b32_e32 v38, v37
	v_mad_u64_u32 v[38:39], vcc, v39, s64, v[38:39]
	v_sub_co_u32_e32 v6, vcc, v6, v36
	v_subb_co_u32_e32 v7, vcc, v7, v38, vcc
	v_subrev_co_u32_e32 v35, vcc, s64, v6
	v_subbrev_co_u32_e32 v36, vcc, 0, v7, vcc
	v_subrev_co_u32_e32 v37, vcc, s64, v35
	v_subbrev_co_u32_e32 v38, vcc, 0, v36, vcc
	v_cmp_lt_u32_e32 vcc, s65, v35
	v_cndmask_b32_e64 v39, 0, -1, vcc
	v_cmp_eq_u32_e32 vcc, 0, v36
	v_cndmask_b32_e32 v39, -1, v39, vcc
	v_cmp_ne_u32_e32 vcc, 0, v39
	v_cmp_lt_u32_e64 s[52:53], s65, v6
	v_cndmask_b32_e32 v36, v36, v38, vcc
	v_cndmask_b32_e64 v38, 0, -1, s[52:53]
	v_cmp_eq_u32_e64 s[52:53], 0, v7
	v_cndmask_b32_e64 v38, -1, v38, s[52:53]
	v_cmp_ne_u32_e64 s[52:53], 0, v38
	v_cndmask_b32_e32 v35, v35, v37, vcc
	v_cndmask_b32_e64 v7, v7, v36, s[52:53]
	v_cndmask_b32_e64 v6, v6, v35, s[52:53]
	s_branch .LBB29_1123
.LBB29_1126:
	s_or_b64 exec, exec, s[58:59]
	s_movk_i32 vcc_lo, 0x401
	s_add_u32 vcc_lo, 0x402, vcc_lo
	v_mov_b32_e32 v4, 0xfffff800
	s_addc_u32 s52, 0, 0
	v_add_co_u32_e32 v4, vcc, vcc_lo, v4
	s_cmp_lg_u64 vcc, 0
	v_readfirstlane_b32 vcc_hi, v4
	s_addc_u32 s52, s52, 1
	s_mul_hi_u32 s53, vcc_hi, 0x80000001
	s_mul_i32 vcc_lo, s52, 0x80000001
	s_sub_i32 s53, s53, vcc_hi
	s_add_i32 s53, s53, vcc_lo
	s_mul_i32 s59, vcc_hi, 0x80000001
	s_mul_hi_u32 vcc_lo, vcc_hi, s53
	s_mul_i32 s58, vcc_hi, s53
	s_mul_hi_u32 vcc_hi, vcc_hi, s59
	s_add_u32 vcc_hi, vcc_hi, s58
	s_addc_u32 vcc_lo, 0, vcc_lo
	s_mul_hi_u32 s60, s52, s59
	s_mul_i32 s59, s52, s59
	s_add_u32 vcc_hi, vcc_hi, s59
	s_mul_hi_u32 s58, s52, s53
	s_addc_u32 vcc_lo, vcc_lo, s60
	s_addc_u32 vcc_hi, s58, 0
	s_mul_i32 s53, s52, s53
	s_add_u32 vcc_lo, vcc_lo, s53
	s_addc_u32 s53, 0, vcc_hi
	v_add_co_u32_e32 v34, vcc, vcc_lo, v4
	s_cmp_lg_u64 vcc, 0
	s_addc_u32 s52, s52, s53
	v_mad_u64_u32 v[4:5], vcc, v6, s52, 0
	v_mul_hi_u32 v35, v6, v34
	v_add_co_u32_e32 v36, vcc, v35, v4
	v_addc_co_u32_e32 v37, vcc, 0, v5, vcc
	v_mad_u64_u32 v[4:5], vcc, v7, s52, 0
	v_mad_u64_u32 v[34:35], vcc, v7, v34, 0
	v_add_co_u32_e32 v34, vcc, v36, v34
	v_addc_co_u32_e32 v34, vcc, v37, v35, vcc
	v_addc_co_u32_e32 v5, vcc, 0, v5, vcc
	v_add_co_u32_e32 v4, vcc, v34, v4
	s_brev_b32 s52, -2
	v_addc_co_u32_e32 v35, vcc, 0, v5, vcc
	v_mad_u64_u32 v[4:5], vcc, v4, s52, 0
	v_mov_b32_e32 v34, v5
	v_mad_u64_u32 v[34:35], vcc, v35, s52, v[34:35]
	v_sub_co_u32_e32 v4, vcc, v6, v4
	v_subb_co_u32_e32 v5, vcc, v7, v34, vcc
	v_subrev_co_u32_e32 v6, vcc, 0x7fffffff, v4
	v_subbrev_co_u32_e32 v7, vcc, 0, v5, vcc
	s_mov_b32 s52, 0x7ffffffe
	v_cmp_lt_u32_e32 vcc, s52, v6
	v_cndmask_b32_e64 v34, 0, -1, vcc
	v_cmp_eq_u32_e32 vcc, 0, v7
	v_cndmask_b32_e32 v7, -1, v34, vcc
	v_add_u32_e32 v34, 0x80000001, v6
	v_cmp_ne_u32_e32 vcc, 0, v7
	v_cndmask_b32_e32 v6, v6, v34, vcc
	v_cmp_lt_u32_e32 vcc, s52, v4
	v_cndmask_b32_e64 v7, 0, -1, vcc
	v_cmp_eq_u32_e32 vcc, 0, v5
	v_cndmask_b32_e32 v5, -1, v7, vcc
	v_cmp_ne_u32_e32 vcc, 0, v5
	v_cndmask_b32_e32 v6, v4, v6, vcc
.LBB29_1127:
	s_or_b64 exec, exec, s[56:57]
	s_movk_i32 s56, 0x1388
	v_mov_b32_e32 v5, 0
	s_mov_b32 s57, 0xbc8f1391
	s_mov_b32 s58, 0xbc8f
	s_brev_b32 s59, 12
	s_mov_b32 s60, 0xf800000
	v_mov_b32_e32 v4, 0x260
.LBB29_1128:                            ; =>This Inner Loop Header: Depth=1
	v_mul_hi_u32 v7, v6, s57
	v_lshrrev_b32_e32 v7, 15, v7
	v_mul_u32_u24_e32 v35, 0xadc8, v7
	v_sub_u32_e32 v6, v6, v35
	v_mul_u32_u24_e32 v7, 0xd47, v7
	v_mul_lo_u32 v6, v6, s58
	v_xor_b32_e32 v35, 0x7fffffff, v7
	v_sub_u32_e32 v36, 0, v7
	v_cmp_lt_u32_e32 vcc, v6, v7
	v_cndmask_b32_e32 v7, v36, v35, vcc
	v_add_u32_e32 v6, v7, v6
	v_mul_hi_u32 v35, v6, s57
	v_lshrrev_b32_e32 v35, 15, v35
	v_mul_u32_u24_e32 v36, 0xadc8, v35
	v_add_u32_e32 v7, -1, v6
	v_sub_u32_e32 v6, v6, v36
	v_mul_u32_u24_e32 v35, 0xd47, v35
	v_mul_lo_u32 v6, v6, s58
	v_xor_b32_e32 v36, 0x7fffffff, v35
	v_sub_u32_e32 v37, 0, v35
	v_cmp_lt_u32_e32 vcc, v6, v35
	v_cndmask_b32_e32 v35, v37, v36, vcc
	v_add_u32_e32 v6, v35, v6
	v_mul_hi_u32 v36, v6, s57
	v_add_u32_e32 v35, -1, v6
	v_lshrrev_b32_e32 v36, 15, v36
	v_cvt_f32_u32_e32 v35, v35
	v_mul_u32_u24_e32 v37, 0xadc8, v36
	v_cvt_f32_u32_e32 v7, v7
	v_sub_u32_e32 v6, v6, v37
	v_mul_u32_u24_e32 v36, 0xd47, v36
	v_mul_lo_u32 v6, v6, s58
	v_xor_b32_e32 v37, 0x7fffffff, v36
	v_sub_u32_e32 v38, 0, v36
	v_cmp_lt_u32_e32 vcc, v6, v36
	v_fma_f32 v35, v35, s59, 0
	v_cndmask_b32_e32 v36, v38, v37, vcc
	v_fma_f32 v7, v7, s59, 0
	v_mul_f32_e32 v35, v35, v35
	v_add_u32_e32 v6, v36, v6
	v_fmac_f32_e32 v35, v7, v7
	v_mul_hi_u32 v36, v6, s57
	v_mul_f32_e32 v37, 0x4f800000, v35
	v_lshrrev_b32_e32 v36, 15, v36
	v_cmp_gt_f32_e32 vcc, s60, v35
	v_cndmask_b32_e32 v35, v35, v37, vcc
	v_mul_u32_u24_e32 v37, 0xadc8, v36
	v_add_u32_e32 v7, -1, v6
	v_sqrt_f32_e32 v38, v35
	v_sub_u32_e32 v6, v6, v37
	v_mul_u32_u24_e32 v36, 0xd47, v36
	v_mul_lo_u32 v6, v6, s58
	v_xor_b32_e32 v37, 0x7fffffff, v36
	v_sub_u32_e32 v39, 0, v36
	v_cmp_lt_u32_e64 s[52:53], v6, v36
	v_cndmask_b32_e64 v36, v39, v37, s[52:53]
	v_add_u32_e32 v6, v36, v6
	v_add_u32_e32 v36, -1, v38
	v_add_u32_e32 v37, 1, v38
	v_add_u32_e32 v39, -1, v6
	v_fma_f32 v48, -v36, v38, v35
	v_fma_f32 v49, -v37, v38, v35
	v_cvt_f32_u32_e32 v39, v39
	v_cmp_ge_f32_e64 s[52:53], 0, v48
	v_cvt_f32_u32_e32 v7, v7
	v_cndmask_b32_e64 v36, v38, v36, s[52:53]
	v_cmp_lt_f32_e64 s[52:53], 0, v49
	v_cndmask_b32_e64 v36, v36, v37, s[52:53]
	v_mul_f32_e32 v37, 0x37800000, v36
	v_cndmask_b32_e32 v36, v36, v37, vcc
	v_fma_f32 v37, v39, s59, 0
	v_cmp_class_f32_e32 vcc, v35, v4
	v_fma_f32 v7, v7, s59, 0
	v_cndmask_b32_e32 v35, v36, v35, vcc
	v_mul_f32_e32 v36, v37, v37
	v_add_f32_e32 v34, 1.0, v5
	v_cmp_nge_f32_e32 vcc, 1.0, v35
	v_fmac_f32_e32 v36, v7, v7
	v_cndmask_b32_e32 v5, v34, v5, vcc
	v_mul_f32_e32 v7, 0x4f800000, v36
	v_cmp_gt_f32_e32 vcc, s60, v36
	v_cndmask_b32_e32 v7, v36, v7, vcc
	v_sqrt_f32_e32 v35, v7
	s_add_i32 s56, s56, -2
	v_add_f32_e32 v34, 1.0, v5
	s_cmp_lg_u32 s56, 0
	v_add_u32_e32 v36, -1, v35
	v_add_u32_e32 v37, 1, v35
	v_fma_f32 v38, -v36, v35, v7
	v_fma_f32 v39, -v37, v35, v7
	v_cmp_ge_f32_e64 s[52:53], 0, v38
	v_cndmask_b32_e64 v35, v35, v36, s[52:53]
	v_cmp_lt_f32_e64 s[52:53], 0, v39
	v_cndmask_b32_e64 v35, v35, v37, s[52:53]
	v_mul_f32_e32 v36, 0x37800000, v35
	v_cndmask_b32_e32 v35, v35, v36, vcc
	v_cmp_class_f32_e32 vcc, v7, v4
	v_cndmask_b32_e32 v7, v35, v7, vcc
	v_cmp_nge_f32_e32 vcc, 1.0, v7
	v_cndmask_b32_e32 v5, v34, v5, vcc
	s_cbranch_scc1 .LBB29_1128
; %bb.1129:
	v_mul_f32_e32 v4, 4.0, v5
	s_mov_b32 s52, 0x459c4000
	v_div_scale_f32 v5, vcc, s52, s52, v4
	v_rcp_f32_e32 v6, v5
	v_fma_f32 v7, -v5, v6, 1.0
	v_fmac_f32_e32 v6, v7, v6
	v_div_scale_f32 v7, vcc, v4, s52, v4
	v_mul_f32_e32 v34, v7, v6
	v_fma_f32 v35, -v5, v34, v7
	v_fmac_f32_e32 v34, v35, v6
	v_fma_f32 v5, -v5, v34, v7
	v_div_fmas_f32 v5, v5, v6, v34
	v_div_fixup_f32 v34, v5, s52, v4
.LBB29_1130:
	s_or_b64 exec, exec, s[54:55]
	v_add_u32_e32 v4, 0xb80, v11
	v_cmp_lt_u32_e64 s[52:53], v4, v8
                                        ; implicit-def: $vgpr35
	s_and_saveexec_b64 s[56:57], s[52:53]
	s_cbranch_execz .LBB29_1140
; %bb.1131:
	v_add_u32_e32 v4, v9, v4
	s_movk_i32 vcc_lo, 0x1388
	v_mul_lo_u32 v4, v4, vcc_lo
	v_cmp_ne_u32_e32 vcc, 0, v4
	v_mov_b32_e32 v6, 1
	s_and_saveexec_b64 s[58:59], vcc
	s_cbranch_execz .LBB29_1137
; %bb.1132:
	v_mov_b32_e32 v6, 1
	v_mov_b32_e32 v5, 0
	s_mov_b64 s[62:63], 0xbc8f
	s_mov_b64 s[60:61], 0
	v_mov_b32_e32 v7, 0
	s_brev_b32 s66, -2
	s_mov_b32 s67, 0x7ffffffe
	v_mov_b32_e32 v35, 0xfffff800
	s_movk_i32 s68, 0x401
	s_branch .LBB29_1134
.LBB29_1133:                            ;   in Loop: Header=BB29_1134 Depth=1
	s_or_b64 exec, exec, s[64:65]
	s_mul_i32 vcc_lo, s62, s63
	s_mul_hi_u32 vcc_hi, s62, s62
	s_add_i32 vcc_hi, vcc_hi, vcc_lo
	s_add_i32 s54, vcc_hi, vcc_lo
	s_add_u32 vcc_lo, 0x402, s68
	s_mul_i32 s55, s62, s62
	s_addc_u32 s62, 0, 0
	v_add_co_u32_e32 v38, vcc, vcc_lo, v35
	s_cmp_lg_u64 vcc, 0
	v_readfirstlane_b32 vcc_hi, v38
	s_addc_u32 s62, s62, 1
	s_mul_hi_u32 s63, vcc_hi, 0x80000001
	s_mul_i32 vcc_lo, s62, 0x80000001
	s_sub_i32 s63, s63, vcc_hi
	s_add_i32 s63, s63, vcc_lo
	s_mul_i32 s65, vcc_hi, 0x80000001
	s_mul_hi_u32 vcc_lo, vcc_hi, s63
	s_mul_i32 s64, vcc_hi, s63
	s_mul_hi_u32 vcc_hi, vcc_hi, s65
	s_add_u32 vcc_hi, vcc_hi, s64
	s_addc_u32 vcc_lo, 0, vcc_lo
	s_mul_hi_u32 s69, s62, s65
	s_mul_i32 s65, s62, s65
	s_add_u32 vcc_hi, vcc_hi, s65
	s_mul_hi_u32 s64, s62, s63
	s_addc_u32 vcc_lo, vcc_lo, s69
	s_addc_u32 vcc_hi, s64, 0
	s_mul_i32 s63, s62, s63
	s_add_u32 vcc_lo, vcc_lo, s63
	s_addc_u32 s63, 0, vcc_hi
	v_add_co_u32_e32 v38, vcc, vcc_lo, v38
	s_cmp_lg_u64 vcc, 0
	s_addc_u32 vcc_lo, s62, s63
	v_readfirstlane_b32 s63, v38
	s_mul_i32 s62, s55, vcc_lo
	s_mul_hi_u32 s64, s55, s63
	s_mul_hi_u32 vcc_hi, s55, vcc_lo
	s_add_u32 s62, s64, s62
	s_addc_u32 vcc_hi, 0, vcc_hi
	s_mul_hi_u32 s65, s54, s63
	s_mul_i32 s63, s54, s63
	s_add_u32 s62, s62, s63
	s_mul_hi_u32 s64, s54, vcc_lo
	s_addc_u32 vcc_hi, vcc_hi, s65
	s_addc_u32 s62, s64, 0
	s_mul_i32 vcc_lo, s54, vcc_lo
	s_add_u32 vcc_lo, vcc_hi, vcc_lo
	s_addc_u32 vcc_hi, 0, s62
	s_mul_hi_u32 s62, vcc_lo, 0x7fffffff
	s_mul_i32 vcc_lo, vcc_lo, 0x7fffffff
	s_mul_i32 vcc_hi, vcc_hi, 0x7fffffff
	v_mov_b32_e32 v38, vcc_lo
	s_add_i32 s62, s62, vcc_hi
	v_sub_co_u32_e32 v38, vcc, s55, v38
	s_cmp_lg_u64 vcc, 0
	s_subb_u32 s54, s54, s62
	v_subrev_co_u32_e32 v39, vcc, s66, v38
	s_cmp_lg_u64 vcc, 0
	s_subb_u32 s55, s54, 0
	v_subrev_co_u32_e32 v48, vcc, s66, v39
	s_cmp_lg_u64 vcc, 0
	s_subb_u32 vcc_lo, s55, 0
	v_readfirstlane_b32 vcc_hi, v39
	s_cmp_gt_u32 vcc_hi, 0x7ffffffe
	s_cselect_b32 s62, -1, 0
	s_cmp_eq_u32 s55, 0
	s_cselect_b32 s62, s62, -1
	s_cmp_lg_u32 s62, 0
	s_cselect_b32 vcc_lo, vcc_lo, s55
	v_readfirstlane_b32 s55, v48
	s_cselect_b32 vcc_hi, s55, vcc_hi
	v_readfirstlane_b32 s55, v38
	s_cmp_gt_u32 s55, 0x7ffffffe
	s_cselect_b32 s62, -1, 0
	s_cmp_eq_u32 s54, 0
	s_cselect_b32 s62, s62, -1
	s_cmp_lg_u32 s62, 0
	v_lshrrev_b64 v[36:37], 1, v[4:5]
	s_cselect_b32 s63, vcc_lo, s54
	s_cselect_b32 s62, vcc_hi, s55
	v_cmp_gt_u64_e32 vcc, 2, v[4:5]
	s_or_b64 s[60:61], vcc, s[60:61]
	v_pk_mov_b32 v[4:5], v[36:37], v[36:37] op_sel:[0,1]
	s_andn2_b64 exec, exec, s[60:61]
	s_cbranch_execz .LBB29_1136
.LBB29_1134:                            ; =>This Inner Loop Header: Depth=1
	v_and_b32_e32 v36, 1, v4
	v_cmp_eq_u32_e32 vcc, 1, v36
	s_and_saveexec_b64 s[64:65], vcc
	s_cbranch_execz .LBB29_1133
; %bb.1135:                             ;   in Loop: Header=BB29_1134 Depth=1
	v_mul_lo_u32 v36, s63, v6
	v_mul_lo_u32 v37, s62, v7
	v_mad_u64_u32 v[6:7], vcc, s62, v6, 0
	s_add_u32 vcc_lo, 0x402, s68
	v_add3_u32 v7, v7, v37, v36
	s_addc_u32 s54, 0, 0
	v_add_co_u32_e32 v36, vcc, vcc_lo, v35
	s_cmp_lg_u64 vcc, 0
	v_readfirstlane_b32 vcc_hi, v36
	s_addc_u32 s54, s54, 1
	s_mul_hi_u32 s55, vcc_hi, 0x80000001
	s_mul_i32 vcc_lo, s54, 0x80000001
	s_sub_i32 s55, s55, vcc_hi
	s_add_i32 s55, s55, vcc_lo
	s_mul_i32 s70, vcc_hi, 0x80000001
	s_mul_hi_u32 vcc_lo, vcc_hi, s55
	s_mul_i32 s69, vcc_hi, s55
	s_mul_hi_u32 vcc_hi, vcc_hi, s70
	s_add_u32 vcc_hi, vcc_hi, s69
	s_addc_u32 vcc_lo, 0, vcc_lo
	s_mul_hi_u32 s71, s54, s70
	s_mul_i32 s70, s54, s70
	s_add_u32 vcc_hi, vcc_hi, s70
	s_mul_hi_u32 s69, s54, s55
	s_addc_u32 vcc_lo, vcc_lo, s71
	s_addc_u32 vcc_hi, s69, 0
	s_mul_i32 s55, s54, s55
	s_add_u32 vcc_lo, vcc_lo, s55
	s_addc_u32 s55, 0, vcc_hi
	v_add_co_u32_e32 v38, vcc, vcc_lo, v36
	s_cmp_lg_u64 vcc, 0
	s_addc_u32 s54, s54, s55
	v_mad_u64_u32 v[36:37], vcc, v6, s54, 0
	v_mul_hi_u32 v39, v6, v38
	v_add_co_u32_e32 v48, vcc, v39, v36
	v_addc_co_u32_e32 v49, vcc, 0, v37, vcc
	v_mad_u64_u32 v[36:37], vcc, v7, s54, 0
	v_mad_u64_u32 v[38:39], vcc, v7, v38, 0
	v_add_co_u32_e32 v38, vcc, v48, v38
	v_addc_co_u32_e32 v38, vcc, v49, v39, vcc
	v_addc_co_u32_e32 v37, vcc, 0, v37, vcc
	v_add_co_u32_e32 v36, vcc, v38, v36
	v_addc_co_u32_e32 v39, vcc, 0, v37, vcc
	v_mad_u64_u32 v[36:37], vcc, v36, s66, 0
	v_mov_b32_e32 v38, v37
	v_mad_u64_u32 v[38:39], vcc, v39, s66, v[38:39]
	v_sub_co_u32_e32 v6, vcc, v6, v36
	v_subb_co_u32_e32 v7, vcc, v7, v38, vcc
	v_subrev_co_u32_e32 v36, vcc, s66, v6
	v_subbrev_co_u32_e32 v37, vcc, 0, v7, vcc
	v_subrev_co_u32_e32 v38, vcc, s66, v36
	v_subbrev_co_u32_e32 v39, vcc, 0, v37, vcc
	v_cmp_lt_u32_e32 vcc, s67, v36
	v_cndmask_b32_e64 v48, 0, -1, vcc
	v_cmp_eq_u32_e32 vcc, 0, v37
	v_cndmask_b32_e32 v48, -1, v48, vcc
	v_cmp_ne_u32_e32 vcc, 0, v48
	v_cmp_lt_u32_e64 s[54:55], s67, v6
	v_cndmask_b32_e32 v37, v37, v39, vcc
	v_cndmask_b32_e64 v39, 0, -1, s[54:55]
	v_cmp_eq_u32_e64 s[54:55], 0, v7
	v_cndmask_b32_e64 v39, -1, v39, s[54:55]
	v_cmp_ne_u32_e64 s[54:55], 0, v39
	v_cndmask_b32_e32 v36, v36, v38, vcc
	v_cndmask_b32_e64 v7, v7, v37, s[54:55]
	v_cndmask_b32_e64 v6, v6, v36, s[54:55]
	s_branch .LBB29_1133
.LBB29_1136:
	s_or_b64 exec, exec, s[60:61]
	s_movk_i32 vcc_lo, 0x401
	s_add_u32 vcc_lo, 0x402, vcc_lo
	v_mov_b32_e32 v4, 0xfffff800
	s_addc_u32 s54, 0, 0
	v_add_co_u32_e32 v4, vcc, vcc_lo, v4
	s_cmp_lg_u64 vcc, 0
	v_readfirstlane_b32 vcc_hi, v4
	s_addc_u32 s54, s54, 1
	s_mul_hi_u32 s55, vcc_hi, 0x80000001
	s_mul_i32 vcc_lo, s54, 0x80000001
	s_sub_i32 s55, s55, vcc_hi
	s_add_i32 s55, s55, vcc_lo
	s_mul_i32 s61, vcc_hi, 0x80000001
	s_mul_hi_u32 vcc_lo, vcc_hi, s55
	s_mul_i32 s60, vcc_hi, s55
	s_mul_hi_u32 vcc_hi, vcc_hi, s61
	s_add_u32 vcc_hi, vcc_hi, s60
	s_addc_u32 vcc_lo, 0, vcc_lo
	s_mul_hi_u32 s62, s54, s61
	s_mul_i32 s61, s54, s61
	s_add_u32 vcc_hi, vcc_hi, s61
	s_mul_hi_u32 s60, s54, s55
	s_addc_u32 vcc_lo, vcc_lo, s62
	s_addc_u32 vcc_hi, s60, 0
	s_mul_i32 s55, s54, s55
	s_add_u32 vcc_lo, vcc_lo, s55
	s_addc_u32 s55, 0, vcc_hi
	v_add_co_u32_e32 v35, vcc, vcc_lo, v4
	s_cmp_lg_u64 vcc, 0
	s_addc_u32 s54, s54, s55
	v_mad_u64_u32 v[4:5], vcc, v6, s54, 0
	v_mul_hi_u32 v36, v6, v35
	v_add_co_u32_e32 v38, vcc, v36, v4
	v_addc_co_u32_e32 v39, vcc, 0, v5, vcc
	v_mad_u64_u32 v[4:5], vcc, v7, s54, 0
	v_mad_u64_u32 v[36:37], vcc, v7, v35, 0
	v_add_co_u32_e32 v35, vcc, v38, v36
	v_addc_co_u32_e32 v35, vcc, v39, v37, vcc
	v_addc_co_u32_e32 v5, vcc, 0, v5, vcc
	v_add_co_u32_e32 v4, vcc, v35, v4
	s_brev_b32 s54, -2
	v_addc_co_u32_e32 v35, vcc, 0, v5, vcc
	v_mad_u64_u32 v[4:5], vcc, v4, s54, 0
	v_mov_b32_e32 v36, v5
	v_mad_u64_u32 v[36:37], vcc, v35, s54, v[36:37]
	v_sub_co_u32_e32 v4, vcc, v6, v4
	v_subb_co_u32_e32 v5, vcc, v7, v36, vcc
	v_subrev_co_u32_e32 v6, vcc, 0x7fffffff, v4
	v_subbrev_co_u32_e32 v7, vcc, 0, v5, vcc
	s_mov_b32 s54, 0x7ffffffe
	v_cmp_lt_u32_e32 vcc, s54, v6
	v_cndmask_b32_e64 v35, 0, -1, vcc
	v_cmp_eq_u32_e32 vcc, 0, v7
	v_cndmask_b32_e32 v7, -1, v35, vcc
	v_add_u32_e32 v35, 0x80000001, v6
	v_cmp_ne_u32_e32 vcc, 0, v7
	v_cndmask_b32_e32 v6, v6, v35, vcc
	v_cmp_lt_u32_e32 vcc, s54, v4
	v_cndmask_b32_e64 v7, 0, -1, vcc
	v_cmp_eq_u32_e32 vcc, 0, v5
	v_cndmask_b32_e32 v5, -1, v7, vcc
	v_cmp_ne_u32_e32 vcc, 0, v5
	v_cndmask_b32_e32 v6, v4, v6, vcc
.LBB29_1137:
	s_or_b64 exec, exec, s[58:59]
	s_movk_i32 s58, 0x1388
	v_mov_b32_e32 v5, 0
	s_mov_b32 s59, 0xbc8f1391
	s_mov_b32 s60, 0xbc8f
	s_brev_b32 s61, 12
	s_mov_b32 s62, 0xf800000
	v_mov_b32_e32 v4, 0x260
.LBB29_1138:                            ; =>This Inner Loop Header: Depth=1
	v_mul_hi_u32 v7, v6, s59
	v_lshrrev_b32_e32 v7, 15, v7
	v_mul_u32_u24_e32 v36, 0xadc8, v7
	v_sub_u32_e32 v6, v6, v36
	v_mul_u32_u24_e32 v7, 0xd47, v7
	v_mul_lo_u32 v6, v6, s60
	v_xor_b32_e32 v36, 0x7fffffff, v7
	v_sub_u32_e32 v37, 0, v7
	v_cmp_lt_u32_e32 vcc, v6, v7
	v_cndmask_b32_e32 v7, v37, v36, vcc
	v_add_u32_e32 v6, v7, v6
	v_mul_hi_u32 v36, v6, s59
	v_lshrrev_b32_e32 v36, 15, v36
	v_mul_u32_u24_e32 v37, 0xadc8, v36
	v_add_u32_e32 v7, -1, v6
	v_sub_u32_e32 v6, v6, v37
	v_mul_u32_u24_e32 v36, 0xd47, v36
	v_mul_lo_u32 v6, v6, s60
	v_xor_b32_e32 v37, 0x7fffffff, v36
	v_sub_u32_e32 v38, 0, v36
	v_cmp_lt_u32_e32 vcc, v6, v36
	v_cndmask_b32_e32 v36, v38, v37, vcc
	v_add_u32_e32 v6, v36, v6
	v_mul_hi_u32 v37, v6, s59
	v_add_u32_e32 v36, -1, v6
	v_lshrrev_b32_e32 v37, 15, v37
	v_cvt_f32_u32_e32 v36, v36
	v_mul_u32_u24_e32 v38, 0xadc8, v37
	v_cvt_f32_u32_e32 v7, v7
	v_sub_u32_e32 v6, v6, v38
	v_mul_u32_u24_e32 v37, 0xd47, v37
	v_mul_lo_u32 v6, v6, s60
	v_xor_b32_e32 v38, 0x7fffffff, v37
	v_sub_u32_e32 v39, 0, v37
	v_cmp_lt_u32_e32 vcc, v6, v37
	v_fma_f32 v36, v36, s61, 0
	v_cndmask_b32_e32 v37, v39, v38, vcc
	v_fma_f32 v7, v7, s61, 0
	v_mul_f32_e32 v36, v36, v36
	v_add_u32_e32 v6, v37, v6
	v_fmac_f32_e32 v36, v7, v7
	v_mul_hi_u32 v37, v6, s59
	v_mul_f32_e32 v38, 0x4f800000, v36
	v_lshrrev_b32_e32 v37, 15, v37
	v_cmp_gt_f32_e32 vcc, s62, v36
	v_cndmask_b32_e32 v36, v36, v38, vcc
	v_mul_u32_u24_e32 v38, 0xadc8, v37
	v_add_u32_e32 v7, -1, v6
	v_sqrt_f32_e32 v39, v36
	v_sub_u32_e32 v6, v6, v38
	v_mul_u32_u24_e32 v37, 0xd47, v37
	v_mul_lo_u32 v6, v6, s60
	v_xor_b32_e32 v38, 0x7fffffff, v37
	v_sub_u32_e32 v48, 0, v37
	v_cmp_lt_u32_e64 s[54:55], v6, v37
	v_cndmask_b32_e64 v37, v48, v38, s[54:55]
	v_add_u32_e32 v6, v37, v6
	v_add_u32_e32 v37, -1, v39
	v_add_u32_e32 v38, 1, v39
	v_add_u32_e32 v48, -1, v6
	v_fma_f32 v49, -v37, v39, v36
	v_fma_f32 v50, -v38, v39, v36
	v_cvt_f32_u32_e32 v48, v48
	v_cmp_ge_f32_e64 s[54:55], 0, v49
	v_cvt_f32_u32_e32 v7, v7
	v_cndmask_b32_e64 v37, v39, v37, s[54:55]
	v_cmp_lt_f32_e64 s[54:55], 0, v50
	v_cndmask_b32_e64 v37, v37, v38, s[54:55]
	v_mul_f32_e32 v38, 0x37800000, v37
	v_cndmask_b32_e32 v37, v37, v38, vcc
	v_fma_f32 v38, v48, s61, 0
	v_cmp_class_f32_e32 vcc, v36, v4
	v_fma_f32 v7, v7, s61, 0
	v_cndmask_b32_e32 v36, v37, v36, vcc
	v_mul_f32_e32 v37, v38, v38
	v_add_f32_e32 v35, 1.0, v5
	v_cmp_nge_f32_e32 vcc, 1.0, v36
	v_fmac_f32_e32 v37, v7, v7
	v_cndmask_b32_e32 v5, v35, v5, vcc
	v_mul_f32_e32 v7, 0x4f800000, v37
	v_cmp_gt_f32_e32 vcc, s62, v37
	v_cndmask_b32_e32 v7, v37, v7, vcc
	v_sqrt_f32_e32 v36, v7
	s_add_i32 s58, s58, -2
	v_add_f32_e32 v35, 1.0, v5
	s_cmp_lg_u32 s58, 0
	v_add_u32_e32 v37, -1, v36
	v_add_u32_e32 v38, 1, v36
	v_fma_f32 v39, -v37, v36, v7
	v_fma_f32 v48, -v38, v36, v7
	v_cmp_ge_f32_e64 s[54:55], 0, v39
	v_cndmask_b32_e64 v36, v36, v37, s[54:55]
	v_cmp_lt_f32_e64 s[54:55], 0, v48
	v_cndmask_b32_e64 v36, v36, v38, s[54:55]
	v_mul_f32_e32 v37, 0x37800000, v36
	v_cndmask_b32_e32 v36, v36, v37, vcc
	v_cmp_class_f32_e32 vcc, v7, v4
	v_cndmask_b32_e32 v7, v36, v7, vcc
	v_cmp_nge_f32_e32 vcc, 1.0, v7
	v_cndmask_b32_e32 v5, v35, v5, vcc
	s_cbranch_scc1 .LBB29_1138
; %bb.1139:
	v_mul_f32_e32 v4, 4.0, v5
	s_mov_b32 s54, 0x459c4000
	v_div_scale_f32 v5, vcc, s54, s54, v4
	v_rcp_f32_e32 v6, v5
	v_fma_f32 v7, -v5, v6, 1.0
	v_fmac_f32_e32 v6, v7, v6
	v_div_scale_f32 v7, vcc, v4, s54, v4
	v_mul_f32_e32 v35, v7, v6
	v_fma_f32 v36, -v5, v35, v7
	v_fmac_f32_e32 v35, v36, v6
	v_fma_f32 v5, -v5, v35, v7
	v_div_fmas_f32 v5, v5, v6, v35
	v_div_fixup_f32 v35, v5, s54, v4
.LBB29_1140:
	s_or_b64 exec, exec, s[56:57]
	v_or_b32_e32 v4, 0xc00, v11
	v_cmp_lt_u32_e64 s[54:55], v4, v8
                                        ; implicit-def: $vgpr36
	s_and_saveexec_b64 s[58:59], s[54:55]
	s_cbranch_execz .LBB29_1150
; %bb.1141:
	v_add_u32_e32 v4, v9, v4
	s_movk_i32 vcc_lo, 0x1388
	v_mul_lo_u32 v4, v4, vcc_lo
	v_cmp_ne_u32_e32 vcc, 0, v4
	v_mov_b32_e32 v6, 1
	s_and_saveexec_b64 s[60:61], vcc
	s_cbranch_execz .LBB29_1147
; %bb.1142:
	v_mov_b32_e32 v6, 1
	v_mov_b32_e32 v5, 0
	s_mov_b64 s[64:65], 0xbc8f
	s_mov_b64 s[62:63], 0
	v_mov_b32_e32 v7, 0
	s_brev_b32 s68, -2
	s_mov_b32 s69, 0x7ffffffe
	v_mov_b32_e32 v36, 0xfffff800
	s_movk_i32 s70, 0x401
	s_branch .LBB29_1144
.LBB29_1143:                            ;   in Loop: Header=BB29_1144 Depth=1
	s_or_b64 exec, exec, s[66:67]
	s_mul_i32 vcc_lo, s64, s65
	s_mul_hi_u32 vcc_hi, s64, s64
	s_add_i32 vcc_hi, vcc_hi, vcc_lo
	s_add_i32 s56, vcc_hi, vcc_lo
	s_add_u32 vcc_lo, 0x402, s70
	s_mul_i32 s57, s64, s64
	s_addc_u32 s64, 0, 0
	v_add_co_u32_e32 v37, vcc, vcc_lo, v36
	s_cmp_lg_u64 vcc, 0
	v_readfirstlane_b32 vcc_hi, v37
	s_addc_u32 s64, s64, 1
	s_mul_hi_u32 s65, vcc_hi, 0x80000001
	s_mul_i32 vcc_lo, s64, 0x80000001
	s_sub_i32 s65, s65, vcc_hi
	s_add_i32 s65, s65, vcc_lo
	s_mul_i32 s67, vcc_hi, 0x80000001
	s_mul_hi_u32 vcc_lo, vcc_hi, s65
	s_mul_i32 s66, vcc_hi, s65
	s_mul_hi_u32 vcc_hi, vcc_hi, s67
	s_add_u32 vcc_hi, vcc_hi, s66
	s_addc_u32 vcc_lo, 0, vcc_lo
	s_mul_hi_u32 s71, s64, s67
	s_mul_i32 s67, s64, s67
	s_add_u32 vcc_hi, vcc_hi, s67
	s_mul_hi_u32 s66, s64, s65
	s_addc_u32 vcc_lo, vcc_lo, s71
	s_addc_u32 vcc_hi, s66, 0
	s_mul_i32 s65, s64, s65
	s_add_u32 vcc_lo, vcc_lo, s65
	s_addc_u32 s65, 0, vcc_hi
	v_add_co_u32_e32 v37, vcc, vcc_lo, v37
	s_cmp_lg_u64 vcc, 0
	s_addc_u32 vcc_lo, s64, s65
	v_readfirstlane_b32 s65, v37
	s_mul_i32 s64, s57, vcc_lo
	s_mul_hi_u32 s66, s57, s65
	s_mul_hi_u32 vcc_hi, s57, vcc_lo
	s_add_u32 s64, s66, s64
	s_addc_u32 vcc_hi, 0, vcc_hi
	s_mul_hi_u32 s67, s56, s65
	s_mul_i32 s65, s56, s65
	s_add_u32 s64, s64, s65
	s_mul_hi_u32 s66, s56, vcc_lo
	s_addc_u32 vcc_hi, vcc_hi, s67
	s_addc_u32 s64, s66, 0
	s_mul_i32 vcc_lo, s56, vcc_lo
	s_add_u32 vcc_lo, vcc_hi, vcc_lo
	s_addc_u32 vcc_hi, 0, s64
	s_mul_hi_u32 s64, vcc_lo, 0x7fffffff
	s_mul_i32 vcc_lo, vcc_lo, 0x7fffffff
	s_mul_i32 vcc_hi, vcc_hi, 0x7fffffff
	v_mov_b32_e32 v37, vcc_lo
	s_add_i32 s64, s64, vcc_hi
	v_sub_co_u32_e32 v37, vcc, s57, v37
	s_cmp_lg_u64 vcc, 0
	s_subb_u32 s56, s56, s64
	v_subrev_co_u32_e32 v48, vcc, s68, v37
	s_cmp_lg_u64 vcc, 0
	s_subb_u32 s57, s56, 0
	v_subrev_co_u32_e32 v49, vcc, s68, v48
	s_cmp_lg_u64 vcc, 0
	s_subb_u32 vcc_lo, s57, 0
	v_readfirstlane_b32 vcc_hi, v48
	s_cmp_gt_u32 vcc_hi, 0x7ffffffe
	s_cselect_b32 s64, -1, 0
	s_cmp_eq_u32 s57, 0
	s_cselect_b32 s64, s64, -1
	s_cmp_lg_u32 s64, 0
	s_cselect_b32 vcc_lo, vcc_lo, s57
	v_readfirstlane_b32 s57, v49
	s_cselect_b32 vcc_hi, s57, vcc_hi
	v_readfirstlane_b32 s57, v37
	s_cmp_gt_u32 s57, 0x7ffffffe
	s_cselect_b32 s64, -1, 0
	s_cmp_eq_u32 s56, 0
	s_cselect_b32 s64, s64, -1
	s_cmp_lg_u32 s64, 0
	v_lshrrev_b64 v[38:39], 1, v[4:5]
	s_cselect_b32 s65, vcc_lo, s56
	s_cselect_b32 s64, vcc_hi, s57
	v_cmp_gt_u64_e32 vcc, 2, v[4:5]
	s_or_b64 s[62:63], vcc, s[62:63]
	v_pk_mov_b32 v[4:5], v[38:39], v[38:39] op_sel:[0,1]
	s_andn2_b64 exec, exec, s[62:63]
	s_cbranch_execz .LBB29_1146
.LBB29_1144:                            ; =>This Inner Loop Header: Depth=1
	v_and_b32_e32 v37, 1, v4
	v_cmp_eq_u32_e32 vcc, 1, v37
	s_and_saveexec_b64 s[66:67], vcc
	s_cbranch_execz .LBB29_1143
; %bb.1145:                             ;   in Loop: Header=BB29_1144 Depth=1
	v_mul_lo_u32 v37, s65, v6
	v_mul_lo_u32 v38, s64, v7
	v_mad_u64_u32 v[6:7], vcc, s64, v6, 0
	s_add_u32 vcc_lo, 0x402, s70
	v_add3_u32 v7, v7, v38, v37
	s_addc_u32 s56, 0, 0
	v_add_co_u32_e32 v37, vcc, vcc_lo, v36
	s_cmp_lg_u64 vcc, 0
	v_readfirstlane_b32 vcc_hi, v37
	s_addc_u32 s56, s56, 1
	s_mul_hi_u32 s57, vcc_hi, 0x80000001
	s_mul_i32 vcc_lo, s56, 0x80000001
	s_sub_i32 s57, s57, vcc_hi
	s_add_i32 s57, s57, vcc_lo
	s_mul_i32 s76, vcc_hi, 0x80000001
	s_mul_hi_u32 vcc_lo, vcc_hi, s57
	s_mul_i32 s71, vcc_hi, s57
	s_mul_hi_u32 vcc_hi, vcc_hi, s76
	s_add_u32 vcc_hi, vcc_hi, s71
	s_addc_u32 vcc_lo, 0, vcc_lo
	s_mul_hi_u32 s77, s56, s76
	s_mul_i32 s76, s56, s76
	s_add_u32 vcc_hi, vcc_hi, s76
	s_mul_hi_u32 s71, s56, s57
	s_addc_u32 vcc_lo, vcc_lo, s77
	s_addc_u32 vcc_hi, s71, 0
	s_mul_i32 s57, s56, s57
	s_add_u32 vcc_lo, vcc_lo, s57
	s_addc_u32 s57, 0, vcc_hi
	v_add_co_u32_e32 v37, vcc, vcc_lo, v37
	s_cmp_lg_u64 vcc, 0
	s_addc_u32 s56, s56, s57
	v_mad_u64_u32 v[38:39], vcc, v6, s56, 0
	v_mul_hi_u32 v48, v6, v37
	v_add_co_u32_e32 v50, vcc, v48, v38
	v_addc_co_u32_e32 v51, vcc, 0, v39, vcc
	v_mad_u64_u32 v[38:39], vcc, v7, s56, 0
	v_mad_u64_u32 v[48:49], vcc, v7, v37, 0
	v_add_co_u32_e32 v37, vcc, v50, v48
	v_addc_co_u32_e32 v37, vcc, v51, v49, vcc
	v_addc_co_u32_e32 v39, vcc, 0, v39, vcc
	v_add_co_u32_e32 v37, vcc, v37, v38
	v_addc_co_u32_e32 v49, vcc, 0, v39, vcc
	v_mad_u64_u32 v[38:39], vcc, v37, s68, 0
	v_mov_b32_e32 v48, v39
	v_mad_u64_u32 v[48:49], vcc, v49, s68, v[48:49]
	v_sub_co_u32_e32 v6, vcc, v6, v38
	v_subb_co_u32_e32 v7, vcc, v7, v48, vcc
	v_subrev_co_u32_e32 v37, vcc, s68, v6
	v_subbrev_co_u32_e32 v38, vcc, 0, v7, vcc
	v_subrev_co_u32_e32 v39, vcc, s68, v37
	v_subbrev_co_u32_e32 v48, vcc, 0, v38, vcc
	v_cmp_lt_u32_e32 vcc, s69, v37
	v_cndmask_b32_e64 v49, 0, -1, vcc
	v_cmp_eq_u32_e32 vcc, 0, v38
	v_cndmask_b32_e32 v49, -1, v49, vcc
	v_cmp_ne_u32_e32 vcc, 0, v49
	v_cmp_lt_u32_e64 s[56:57], s69, v6
	v_cndmask_b32_e32 v38, v38, v48, vcc
	v_cndmask_b32_e64 v48, 0, -1, s[56:57]
	v_cmp_eq_u32_e64 s[56:57], 0, v7
	v_cndmask_b32_e64 v48, -1, v48, s[56:57]
	v_cmp_ne_u32_e64 s[56:57], 0, v48
	v_cndmask_b32_e32 v37, v37, v39, vcc
	v_cndmask_b32_e64 v7, v7, v38, s[56:57]
	v_cndmask_b32_e64 v6, v6, v37, s[56:57]
	s_branch .LBB29_1143
.LBB29_1146:
	s_or_b64 exec, exec, s[62:63]
	s_movk_i32 vcc_lo, 0x401
	s_add_u32 vcc_lo, 0x402, vcc_lo
	v_mov_b32_e32 v4, 0xfffff800
	s_addc_u32 s56, 0, 0
	v_add_co_u32_e32 v4, vcc, vcc_lo, v4
	s_cmp_lg_u64 vcc, 0
	v_readfirstlane_b32 vcc_hi, v4
	s_addc_u32 s56, s56, 1
	s_mul_hi_u32 s57, vcc_hi, 0x80000001
	s_mul_i32 vcc_lo, s56, 0x80000001
	s_sub_i32 s57, s57, vcc_hi
	s_add_i32 s57, s57, vcc_lo
	s_mul_i32 s63, vcc_hi, 0x80000001
	s_mul_hi_u32 vcc_lo, vcc_hi, s57
	s_mul_i32 s62, vcc_hi, s57
	s_mul_hi_u32 vcc_hi, vcc_hi, s63
	s_add_u32 vcc_hi, vcc_hi, s62
	s_addc_u32 vcc_lo, 0, vcc_lo
	s_mul_hi_u32 s64, s56, s63
	s_mul_i32 s63, s56, s63
	s_add_u32 vcc_hi, vcc_hi, s63
	s_mul_hi_u32 s62, s56, s57
	s_addc_u32 vcc_lo, vcc_lo, s64
	s_addc_u32 vcc_hi, s62, 0
	s_mul_i32 s57, s56, s57
	s_add_u32 vcc_lo, vcc_lo, s57
	s_addc_u32 s57, 0, vcc_hi
	v_add_co_u32_e32 v36, vcc, vcc_lo, v4
	s_cmp_lg_u64 vcc, 0
	s_addc_u32 s56, s56, s57
	v_mad_u64_u32 v[4:5], vcc, v6, s56, 0
	v_mul_hi_u32 v37, v6, v36
	v_add_co_u32_e32 v38, vcc, v37, v4
	v_addc_co_u32_e32 v39, vcc, 0, v5, vcc
	v_mad_u64_u32 v[4:5], vcc, v7, s56, 0
	v_mad_u64_u32 v[36:37], vcc, v7, v36, 0
	v_add_co_u32_e32 v36, vcc, v38, v36
	v_addc_co_u32_e32 v36, vcc, v39, v37, vcc
	v_addc_co_u32_e32 v5, vcc, 0, v5, vcc
	v_add_co_u32_e32 v4, vcc, v36, v4
	s_brev_b32 s56, -2
	v_addc_co_u32_e32 v37, vcc, 0, v5, vcc
	v_mad_u64_u32 v[4:5], vcc, v4, s56, 0
	v_mov_b32_e32 v36, v5
	v_mad_u64_u32 v[36:37], vcc, v37, s56, v[36:37]
	v_sub_co_u32_e32 v4, vcc, v6, v4
	v_subb_co_u32_e32 v5, vcc, v7, v36, vcc
	v_subrev_co_u32_e32 v6, vcc, 0x7fffffff, v4
	v_subbrev_co_u32_e32 v7, vcc, 0, v5, vcc
	s_mov_b32 s56, 0x7ffffffe
	v_cmp_lt_u32_e32 vcc, s56, v6
	v_cndmask_b32_e64 v36, 0, -1, vcc
	v_cmp_eq_u32_e32 vcc, 0, v7
	v_cndmask_b32_e32 v7, -1, v36, vcc
	v_add_u32_e32 v36, 0x80000001, v6
	v_cmp_ne_u32_e32 vcc, 0, v7
	v_cndmask_b32_e32 v6, v6, v36, vcc
	v_cmp_lt_u32_e32 vcc, s56, v4
	v_cndmask_b32_e64 v7, 0, -1, vcc
	v_cmp_eq_u32_e32 vcc, 0, v5
	v_cndmask_b32_e32 v5, -1, v7, vcc
	v_cmp_ne_u32_e32 vcc, 0, v5
	v_cndmask_b32_e32 v6, v4, v6, vcc
.LBB29_1147:
	s_or_b64 exec, exec, s[60:61]
	s_movk_i32 s60, 0x1388
	v_mov_b32_e32 v5, 0
	s_mov_b32 s61, 0xbc8f1391
	s_mov_b32 s62, 0xbc8f
	s_brev_b32 s63, 12
	s_mov_b32 s64, 0xf800000
	v_mov_b32_e32 v4, 0x260
.LBB29_1148:                            ; =>This Inner Loop Header: Depth=1
	v_mul_hi_u32 v7, v6, s61
	v_lshrrev_b32_e32 v7, 15, v7
	v_mul_u32_u24_e32 v37, 0xadc8, v7
	v_sub_u32_e32 v6, v6, v37
	v_mul_u32_u24_e32 v7, 0xd47, v7
	v_mul_lo_u32 v6, v6, s62
	v_xor_b32_e32 v37, 0x7fffffff, v7
	v_sub_u32_e32 v38, 0, v7
	v_cmp_lt_u32_e32 vcc, v6, v7
	v_cndmask_b32_e32 v7, v38, v37, vcc
	v_add_u32_e32 v6, v7, v6
	v_mul_hi_u32 v37, v6, s61
	v_lshrrev_b32_e32 v37, 15, v37
	v_mul_u32_u24_e32 v38, 0xadc8, v37
	v_add_u32_e32 v7, -1, v6
	v_sub_u32_e32 v6, v6, v38
	v_mul_u32_u24_e32 v37, 0xd47, v37
	v_mul_lo_u32 v6, v6, s62
	v_xor_b32_e32 v38, 0x7fffffff, v37
	v_sub_u32_e32 v39, 0, v37
	v_cmp_lt_u32_e32 vcc, v6, v37
	v_cndmask_b32_e32 v37, v39, v38, vcc
	v_add_u32_e32 v6, v37, v6
	v_mul_hi_u32 v38, v6, s61
	v_add_u32_e32 v37, -1, v6
	v_lshrrev_b32_e32 v38, 15, v38
	v_cvt_f32_u32_e32 v37, v37
	v_mul_u32_u24_e32 v39, 0xadc8, v38
	v_cvt_f32_u32_e32 v7, v7
	v_sub_u32_e32 v6, v6, v39
	v_mul_u32_u24_e32 v38, 0xd47, v38
	v_mul_lo_u32 v6, v6, s62
	v_xor_b32_e32 v39, 0x7fffffff, v38
	v_sub_u32_e32 v48, 0, v38
	v_cmp_lt_u32_e32 vcc, v6, v38
	v_fma_f32 v37, v37, s63, 0
	v_cndmask_b32_e32 v38, v48, v39, vcc
	v_fma_f32 v7, v7, s63, 0
	v_mul_f32_e32 v37, v37, v37
	v_add_u32_e32 v6, v38, v6
	v_fmac_f32_e32 v37, v7, v7
	v_mul_hi_u32 v38, v6, s61
	v_mul_f32_e32 v39, 0x4f800000, v37
	v_lshrrev_b32_e32 v38, 15, v38
	v_cmp_gt_f32_e32 vcc, s64, v37
	v_cndmask_b32_e32 v37, v37, v39, vcc
	v_mul_u32_u24_e32 v39, 0xadc8, v38
	v_add_u32_e32 v7, -1, v6
	v_sqrt_f32_e32 v48, v37
	v_sub_u32_e32 v6, v6, v39
	v_mul_u32_u24_e32 v38, 0xd47, v38
	v_mul_lo_u32 v6, v6, s62
	v_xor_b32_e32 v39, 0x7fffffff, v38
	v_sub_u32_e32 v49, 0, v38
	v_cmp_lt_u32_e64 s[56:57], v6, v38
	v_cndmask_b32_e64 v38, v49, v39, s[56:57]
	v_add_u32_e32 v6, v38, v6
	v_add_u32_e32 v38, -1, v48
	v_add_u32_e32 v39, 1, v48
	v_add_u32_e32 v49, -1, v6
	v_fma_f32 v50, -v38, v48, v37
	v_fma_f32 v51, -v39, v48, v37
	v_cvt_f32_u32_e32 v49, v49
	v_cmp_ge_f32_e64 s[56:57], 0, v50
	v_cvt_f32_u32_e32 v7, v7
	v_cndmask_b32_e64 v38, v48, v38, s[56:57]
	v_cmp_lt_f32_e64 s[56:57], 0, v51
	v_cndmask_b32_e64 v38, v38, v39, s[56:57]
	v_mul_f32_e32 v39, 0x37800000, v38
	v_cndmask_b32_e32 v38, v38, v39, vcc
	v_fma_f32 v39, v49, s63, 0
	v_cmp_class_f32_e32 vcc, v37, v4
	v_fma_f32 v7, v7, s63, 0
	v_cndmask_b32_e32 v37, v38, v37, vcc
	v_mul_f32_e32 v38, v39, v39
	v_add_f32_e32 v36, 1.0, v5
	v_cmp_nge_f32_e32 vcc, 1.0, v37
	v_fmac_f32_e32 v38, v7, v7
	v_cndmask_b32_e32 v5, v36, v5, vcc
	v_mul_f32_e32 v7, 0x4f800000, v38
	v_cmp_gt_f32_e32 vcc, s64, v38
	v_cndmask_b32_e32 v7, v38, v7, vcc
	v_sqrt_f32_e32 v37, v7
	s_add_i32 s60, s60, -2
	v_add_f32_e32 v36, 1.0, v5
	s_cmp_lg_u32 s60, 0
	v_add_u32_e32 v38, -1, v37
	v_add_u32_e32 v39, 1, v37
	v_fma_f32 v48, -v38, v37, v7
	v_fma_f32 v49, -v39, v37, v7
	v_cmp_ge_f32_e64 s[56:57], 0, v48
	v_cndmask_b32_e64 v37, v37, v38, s[56:57]
	v_cmp_lt_f32_e64 s[56:57], 0, v49
	v_cndmask_b32_e64 v37, v37, v39, s[56:57]
	v_mul_f32_e32 v38, 0x37800000, v37
	v_cndmask_b32_e32 v37, v37, v38, vcc
	v_cmp_class_f32_e32 vcc, v7, v4
	v_cndmask_b32_e32 v7, v37, v7, vcc
	v_cmp_nge_f32_e32 vcc, 1.0, v7
	v_cndmask_b32_e32 v5, v36, v5, vcc
	s_cbranch_scc1 .LBB29_1148
; %bb.1149:
	v_mul_f32_e32 v4, 4.0, v5
	s_mov_b32 s56, 0x459c4000
	v_div_scale_f32 v5, vcc, s56, s56, v4
	v_rcp_f32_e32 v6, v5
	v_fma_f32 v7, -v5, v6, 1.0
	v_fmac_f32_e32 v6, v7, v6
	v_div_scale_f32 v7, vcc, v4, s56, v4
	v_mul_f32_e32 v36, v7, v6
	v_fma_f32 v37, -v5, v36, v7
	v_fmac_f32_e32 v36, v37, v6
	v_fma_f32 v5, -v5, v36, v7
	v_div_fmas_f32 v5, v5, v6, v36
	v_div_fixup_f32 v36, v5, s56, v4
.LBB29_1150:
	s_or_b64 exec, exec, s[58:59]
	v_add_u32_e32 v4, 0xc80, v11
	v_cmp_lt_u32_e64 s[56:57], v4, v8
                                        ; implicit-def: $vgpr37
	s_and_saveexec_b64 s[60:61], s[56:57]
	s_cbranch_execz .LBB29_1160
; %bb.1151:
	v_add_u32_e32 v4, v9, v4
	s_movk_i32 vcc_lo, 0x1388
	v_mul_lo_u32 v4, v4, vcc_lo
	v_cmp_ne_u32_e32 vcc, 0, v4
	v_mov_b32_e32 v6, 1
	s_and_saveexec_b64 s[62:63], vcc
	s_cbranch_execz .LBB29_1157
; %bb.1152:
	v_mov_b32_e32 v6, 1
	v_mov_b32_e32 v5, 0
	s_mov_b64 s[66:67], 0xbc8f
	s_mov_b64 s[64:65], 0
	v_mov_b32_e32 v7, 0
	s_brev_b32 s70, -2
	s_mov_b32 s71, 0x7ffffffe
	v_mov_b32_e32 v37, 0xfffff800
	s_movk_i32 s76, 0x401
	s_branch .LBB29_1154
.LBB29_1153:                            ;   in Loop: Header=BB29_1154 Depth=1
	s_or_b64 exec, exec, s[68:69]
	s_mul_i32 vcc_lo, s66, s67
	s_mul_hi_u32 vcc_hi, s66, s66
	s_add_i32 vcc_hi, vcc_hi, vcc_lo
	s_add_i32 s58, vcc_hi, vcc_lo
	s_add_u32 vcc_lo, 0x402, s76
	s_mul_i32 s59, s66, s66
	s_addc_u32 s66, 0, 0
	v_add_co_u32_e32 v48, vcc, vcc_lo, v37
	s_cmp_lg_u64 vcc, 0
	v_readfirstlane_b32 vcc_hi, v48
	s_addc_u32 s66, s66, 1
	s_mul_hi_u32 s67, vcc_hi, 0x80000001
	s_mul_i32 vcc_lo, s66, 0x80000001
	s_sub_i32 s67, s67, vcc_hi
	s_add_i32 s67, s67, vcc_lo
	s_mul_i32 s69, vcc_hi, 0x80000001
	s_mul_hi_u32 vcc_lo, vcc_hi, s67
	s_mul_i32 s68, vcc_hi, s67
	s_mul_hi_u32 vcc_hi, vcc_hi, s69
	s_add_u32 vcc_hi, vcc_hi, s68
	s_addc_u32 vcc_lo, 0, vcc_lo
	s_mul_hi_u32 s77, s66, s69
	s_mul_i32 s69, s66, s69
	s_add_u32 vcc_hi, vcc_hi, s69
	s_mul_hi_u32 s68, s66, s67
	s_addc_u32 vcc_lo, vcc_lo, s77
	s_addc_u32 vcc_hi, s68, 0
	s_mul_i32 s67, s66, s67
	s_add_u32 vcc_lo, vcc_lo, s67
	s_addc_u32 s67, 0, vcc_hi
	v_add_co_u32_e32 v48, vcc, vcc_lo, v48
	s_cmp_lg_u64 vcc, 0
	s_addc_u32 vcc_lo, s66, s67
	v_readfirstlane_b32 s67, v48
	s_mul_i32 s66, s59, vcc_lo
	s_mul_hi_u32 s68, s59, s67
	s_mul_hi_u32 vcc_hi, s59, vcc_lo
	s_add_u32 s66, s68, s66
	s_addc_u32 vcc_hi, 0, vcc_hi
	s_mul_hi_u32 s69, s58, s67
	s_mul_i32 s67, s58, s67
	s_add_u32 s66, s66, s67
	s_mul_hi_u32 s68, s58, vcc_lo
	s_addc_u32 vcc_hi, vcc_hi, s69
	s_addc_u32 s66, s68, 0
	s_mul_i32 vcc_lo, s58, vcc_lo
	s_add_u32 vcc_lo, vcc_hi, vcc_lo
	s_addc_u32 vcc_hi, 0, s66
	s_mul_hi_u32 s66, vcc_lo, 0x7fffffff
	s_mul_i32 vcc_lo, vcc_lo, 0x7fffffff
	s_mul_i32 vcc_hi, vcc_hi, 0x7fffffff
	v_mov_b32_e32 v48, vcc_lo
	s_add_i32 s66, s66, vcc_hi
	v_sub_co_u32_e32 v48, vcc, s59, v48
	s_cmp_lg_u64 vcc, 0
	s_subb_u32 s58, s58, s66
	v_subrev_co_u32_e32 v49, vcc, s70, v48
	s_cmp_lg_u64 vcc, 0
	s_subb_u32 s59, s58, 0
	v_subrev_co_u32_e32 v50, vcc, s70, v49
	s_cmp_lg_u64 vcc, 0
	s_subb_u32 vcc_lo, s59, 0
	v_readfirstlane_b32 vcc_hi, v49
	s_cmp_gt_u32 vcc_hi, 0x7ffffffe
	s_cselect_b32 s66, -1, 0
	s_cmp_eq_u32 s59, 0
	s_cselect_b32 s66, s66, -1
	s_cmp_lg_u32 s66, 0
	s_cselect_b32 vcc_lo, vcc_lo, s59
	v_readfirstlane_b32 s59, v50
	s_cselect_b32 vcc_hi, s59, vcc_hi
	v_readfirstlane_b32 s59, v48
	s_cmp_gt_u32 s59, 0x7ffffffe
	s_cselect_b32 s66, -1, 0
	s_cmp_eq_u32 s58, 0
	s_cselect_b32 s66, s66, -1
	s_cmp_lg_u32 s66, 0
	v_lshrrev_b64 v[38:39], 1, v[4:5]
	s_cselect_b32 s67, vcc_lo, s58
	s_cselect_b32 s66, vcc_hi, s59
	v_cmp_gt_u64_e32 vcc, 2, v[4:5]
	s_or_b64 s[64:65], vcc, s[64:65]
	v_pk_mov_b32 v[4:5], v[38:39], v[38:39] op_sel:[0,1]
	s_andn2_b64 exec, exec, s[64:65]
	s_cbranch_execz .LBB29_1156
.LBB29_1154:                            ; =>This Inner Loop Header: Depth=1
	v_and_b32_e32 v38, 1, v4
	v_cmp_eq_u32_e32 vcc, 1, v38
	s_and_saveexec_b64 s[68:69], vcc
	s_cbranch_execz .LBB29_1153
; %bb.1155:                             ;   in Loop: Header=BB29_1154 Depth=1
	v_mul_lo_u32 v38, s67, v6
	v_mul_lo_u32 v39, s66, v7
	v_mad_u64_u32 v[6:7], vcc, s66, v6, 0
	s_add_u32 vcc_lo, 0x402, s76
	v_add3_u32 v7, v7, v39, v38
	s_addc_u32 s58, 0, 0
	v_add_co_u32_e32 v38, vcc, vcc_lo, v37
	s_cmp_lg_u64 vcc, 0
	v_readfirstlane_b32 vcc_hi, v38
	s_addc_u32 s58, s58, 1
	s_mul_hi_u32 s59, vcc_hi, 0x80000001
	s_mul_i32 vcc_lo, s58, 0x80000001
	s_sub_i32 s59, s59, vcc_hi
	s_add_i32 s59, s59, vcc_lo
	s_mul_i32 s78, vcc_hi, 0x80000001
	s_mul_hi_u32 vcc_lo, vcc_hi, s59
	s_mul_i32 s77, vcc_hi, s59
	s_mul_hi_u32 vcc_hi, vcc_hi, s78
	s_add_u32 vcc_hi, vcc_hi, s77
	s_addc_u32 vcc_lo, 0, vcc_lo
	s_mul_hi_u32 s79, s58, s78
	s_mul_i32 s78, s58, s78
	s_add_u32 vcc_hi, vcc_hi, s78
	s_mul_hi_u32 s77, s58, s59
	s_addc_u32 vcc_lo, vcc_lo, s79
	s_addc_u32 vcc_hi, s77, 0
	s_mul_i32 s59, s58, s59
	s_add_u32 vcc_lo, vcc_lo, s59
	s_addc_u32 s59, 0, vcc_hi
	v_add_co_u32_e32 v48, vcc, vcc_lo, v38
	s_cmp_lg_u64 vcc, 0
	s_addc_u32 s58, s58, s59
	v_mad_u64_u32 v[38:39], vcc, v6, s58, 0
	v_mul_hi_u32 v49, v6, v48
	v_add_co_u32_e32 v50, vcc, v49, v38
	v_addc_co_u32_e32 v51, vcc, 0, v39, vcc
	v_mad_u64_u32 v[38:39], vcc, v7, s58, 0
	v_mad_u64_u32 v[48:49], vcc, v7, v48, 0
	v_add_co_u32_e32 v48, vcc, v50, v48
	v_addc_co_u32_e32 v48, vcc, v51, v49, vcc
	v_addc_co_u32_e32 v39, vcc, 0, v39, vcc
	v_add_co_u32_e32 v38, vcc, v48, v38
	v_addc_co_u32_e32 v49, vcc, 0, v39, vcc
	v_mad_u64_u32 v[38:39], vcc, v38, s70, 0
	v_mov_b32_e32 v48, v39
	v_mad_u64_u32 v[48:49], vcc, v49, s70, v[48:49]
	v_sub_co_u32_e32 v6, vcc, v6, v38
	v_subb_co_u32_e32 v7, vcc, v7, v48, vcc
	v_subrev_co_u32_e32 v38, vcc, s70, v6
	v_subbrev_co_u32_e32 v39, vcc, 0, v7, vcc
	v_subrev_co_u32_e32 v48, vcc, s70, v38
	v_subbrev_co_u32_e32 v49, vcc, 0, v39, vcc
	v_cmp_lt_u32_e32 vcc, s71, v38
	v_cndmask_b32_e64 v50, 0, -1, vcc
	v_cmp_eq_u32_e32 vcc, 0, v39
	v_cndmask_b32_e32 v50, -1, v50, vcc
	v_cmp_ne_u32_e32 vcc, 0, v50
	v_cmp_lt_u32_e64 s[58:59], s71, v6
	v_cndmask_b32_e32 v39, v39, v49, vcc
	v_cndmask_b32_e64 v49, 0, -1, s[58:59]
	v_cmp_eq_u32_e64 s[58:59], 0, v7
	v_cndmask_b32_e64 v49, -1, v49, s[58:59]
	v_cmp_ne_u32_e64 s[58:59], 0, v49
	v_cndmask_b32_e32 v38, v38, v48, vcc
	v_cndmask_b32_e64 v7, v7, v39, s[58:59]
	v_cndmask_b32_e64 v6, v6, v38, s[58:59]
	s_branch .LBB29_1153
.LBB29_1156:
	s_or_b64 exec, exec, s[64:65]
	s_movk_i32 vcc_lo, 0x401
	s_add_u32 vcc_lo, 0x402, vcc_lo
	v_mov_b32_e32 v4, 0xfffff800
	s_addc_u32 s58, 0, 0
	v_add_co_u32_e32 v4, vcc, vcc_lo, v4
	s_cmp_lg_u64 vcc, 0
	v_readfirstlane_b32 vcc_hi, v4
	s_addc_u32 s58, s58, 1
	s_mul_hi_u32 s59, vcc_hi, 0x80000001
	s_mul_i32 vcc_lo, s58, 0x80000001
	s_sub_i32 s59, s59, vcc_hi
	s_add_i32 s59, s59, vcc_lo
	s_mul_i32 s65, vcc_hi, 0x80000001
	s_mul_hi_u32 vcc_lo, vcc_hi, s59
	s_mul_i32 s64, vcc_hi, s59
	s_mul_hi_u32 vcc_hi, vcc_hi, s65
	s_add_u32 vcc_hi, vcc_hi, s64
	s_addc_u32 vcc_lo, 0, vcc_lo
	s_mul_hi_u32 s66, s58, s65
	s_mul_i32 s65, s58, s65
	s_add_u32 vcc_hi, vcc_hi, s65
	s_mul_hi_u32 s64, s58, s59
	s_addc_u32 vcc_lo, vcc_lo, s66
	s_addc_u32 vcc_hi, s64, 0
	s_mul_i32 s59, s58, s59
	s_add_u32 vcc_lo, vcc_lo, s59
	s_addc_u32 s59, 0, vcc_hi
	v_add_co_u32_e32 v37, vcc, vcc_lo, v4
	s_cmp_lg_u64 vcc, 0
	s_addc_u32 s58, s58, s59
	v_mad_u64_u32 v[4:5], vcc, v6, s58, 0
	v_mul_hi_u32 v38, v6, v37
	v_add_co_u32_e32 v48, vcc, v38, v4
	v_addc_co_u32_e32 v49, vcc, 0, v5, vcc
	v_mad_u64_u32 v[4:5], vcc, v7, s58, 0
	v_mad_u64_u32 v[38:39], vcc, v7, v37, 0
	v_add_co_u32_e32 v37, vcc, v48, v38
	v_addc_co_u32_e32 v37, vcc, v49, v39, vcc
	v_addc_co_u32_e32 v5, vcc, 0, v5, vcc
	v_add_co_u32_e32 v4, vcc, v37, v4
	s_brev_b32 s58, -2
	v_addc_co_u32_e32 v37, vcc, 0, v5, vcc
	v_mad_u64_u32 v[4:5], vcc, v4, s58, 0
	v_mov_b32_e32 v38, v5
	v_mad_u64_u32 v[38:39], vcc, v37, s58, v[38:39]
	v_sub_co_u32_e32 v4, vcc, v6, v4
	v_subb_co_u32_e32 v5, vcc, v7, v38, vcc
	v_subrev_co_u32_e32 v6, vcc, 0x7fffffff, v4
	v_subbrev_co_u32_e32 v7, vcc, 0, v5, vcc
	s_mov_b32 s58, 0x7ffffffe
	v_cmp_lt_u32_e32 vcc, s58, v6
	v_cndmask_b32_e64 v37, 0, -1, vcc
	v_cmp_eq_u32_e32 vcc, 0, v7
	v_cndmask_b32_e32 v7, -1, v37, vcc
	v_add_u32_e32 v37, 0x80000001, v6
	v_cmp_ne_u32_e32 vcc, 0, v7
	v_cndmask_b32_e32 v6, v6, v37, vcc
	v_cmp_lt_u32_e32 vcc, s58, v4
	v_cndmask_b32_e64 v7, 0, -1, vcc
	v_cmp_eq_u32_e32 vcc, 0, v5
	v_cndmask_b32_e32 v5, -1, v7, vcc
	v_cmp_ne_u32_e32 vcc, 0, v5
	v_cndmask_b32_e32 v6, v4, v6, vcc
.LBB29_1157:
	s_or_b64 exec, exec, s[62:63]
	s_movk_i32 s62, 0x1388
	v_mov_b32_e32 v5, 0
	s_mov_b32 s63, 0xbc8f1391
	s_mov_b32 s64, 0xbc8f
	s_brev_b32 s65, 12
	s_mov_b32 s66, 0xf800000
	v_mov_b32_e32 v4, 0x260
.LBB29_1158:                            ; =>This Inner Loop Header: Depth=1
	v_mul_hi_u32 v7, v6, s63
	v_lshrrev_b32_e32 v7, 15, v7
	v_mul_u32_u24_e32 v38, 0xadc8, v7
	v_sub_u32_e32 v6, v6, v38
	v_mul_u32_u24_e32 v7, 0xd47, v7
	v_mul_lo_u32 v6, v6, s64
	v_xor_b32_e32 v38, 0x7fffffff, v7
	v_sub_u32_e32 v39, 0, v7
	v_cmp_lt_u32_e32 vcc, v6, v7
	v_cndmask_b32_e32 v7, v39, v38, vcc
	v_add_u32_e32 v6, v7, v6
	v_mul_hi_u32 v38, v6, s63
	v_lshrrev_b32_e32 v38, 15, v38
	v_mul_u32_u24_e32 v39, 0xadc8, v38
	v_add_u32_e32 v7, -1, v6
	v_sub_u32_e32 v6, v6, v39
	v_mul_u32_u24_e32 v38, 0xd47, v38
	v_mul_lo_u32 v6, v6, s64
	v_xor_b32_e32 v39, 0x7fffffff, v38
	v_sub_u32_e32 v48, 0, v38
	v_cmp_lt_u32_e32 vcc, v6, v38
	v_cndmask_b32_e32 v38, v48, v39, vcc
	v_add_u32_e32 v6, v38, v6
	v_mul_hi_u32 v39, v6, s63
	v_add_u32_e32 v38, -1, v6
	v_lshrrev_b32_e32 v39, 15, v39
	v_cvt_f32_u32_e32 v38, v38
	v_mul_u32_u24_e32 v48, 0xadc8, v39
	v_cvt_f32_u32_e32 v7, v7
	v_sub_u32_e32 v6, v6, v48
	v_mul_u32_u24_e32 v39, 0xd47, v39
	v_mul_lo_u32 v6, v6, s64
	v_xor_b32_e32 v48, 0x7fffffff, v39
	v_sub_u32_e32 v49, 0, v39
	v_cmp_lt_u32_e32 vcc, v6, v39
	v_fma_f32 v38, v38, s65, 0
	v_cndmask_b32_e32 v39, v49, v48, vcc
	v_fma_f32 v7, v7, s65, 0
	v_mul_f32_e32 v38, v38, v38
	v_add_u32_e32 v6, v39, v6
	v_fmac_f32_e32 v38, v7, v7
	v_mul_hi_u32 v39, v6, s63
	v_mul_f32_e32 v48, 0x4f800000, v38
	v_lshrrev_b32_e32 v39, 15, v39
	v_cmp_gt_f32_e32 vcc, s66, v38
	v_cndmask_b32_e32 v38, v38, v48, vcc
	v_mul_u32_u24_e32 v48, 0xadc8, v39
	v_add_u32_e32 v7, -1, v6
	v_sqrt_f32_e32 v49, v38
	v_sub_u32_e32 v6, v6, v48
	v_mul_u32_u24_e32 v39, 0xd47, v39
	v_mul_lo_u32 v6, v6, s64
	v_xor_b32_e32 v48, 0x7fffffff, v39
	v_sub_u32_e32 v50, 0, v39
	v_cmp_lt_u32_e64 s[58:59], v6, v39
	v_cndmask_b32_e64 v39, v50, v48, s[58:59]
	v_add_u32_e32 v6, v39, v6
	v_add_u32_e32 v39, -1, v49
	v_add_u32_e32 v48, 1, v49
	v_add_u32_e32 v50, -1, v6
	v_fma_f32 v51, -v39, v49, v38
	v_fma_f32 v52, -v48, v49, v38
	v_cvt_f32_u32_e32 v50, v50
	v_cmp_ge_f32_e64 s[58:59], 0, v51
	v_cvt_f32_u32_e32 v7, v7
	v_cndmask_b32_e64 v39, v49, v39, s[58:59]
	v_cmp_lt_f32_e64 s[58:59], 0, v52
	v_cndmask_b32_e64 v39, v39, v48, s[58:59]
	v_mul_f32_e32 v48, 0x37800000, v39
	v_cndmask_b32_e32 v39, v39, v48, vcc
	v_fma_f32 v48, v50, s65, 0
	v_cmp_class_f32_e32 vcc, v38, v4
	v_fma_f32 v7, v7, s65, 0
	v_cndmask_b32_e32 v38, v39, v38, vcc
	v_mul_f32_e32 v39, v48, v48
	v_add_f32_e32 v37, 1.0, v5
	v_cmp_nge_f32_e32 vcc, 1.0, v38
	v_fmac_f32_e32 v39, v7, v7
	v_cndmask_b32_e32 v5, v37, v5, vcc
	v_mul_f32_e32 v7, 0x4f800000, v39
	v_cmp_gt_f32_e32 vcc, s66, v39
	v_cndmask_b32_e32 v7, v39, v7, vcc
	v_sqrt_f32_e32 v38, v7
	s_add_i32 s62, s62, -2
	v_add_f32_e32 v37, 1.0, v5
	s_cmp_lg_u32 s62, 0
	v_add_u32_e32 v39, -1, v38
	v_add_u32_e32 v48, 1, v38
	v_fma_f32 v49, -v39, v38, v7
	v_fma_f32 v50, -v48, v38, v7
	v_cmp_ge_f32_e64 s[58:59], 0, v49
	v_cndmask_b32_e64 v38, v38, v39, s[58:59]
	v_cmp_lt_f32_e64 s[58:59], 0, v50
	v_cndmask_b32_e64 v38, v38, v48, s[58:59]
	v_mul_f32_e32 v39, 0x37800000, v38
	v_cndmask_b32_e32 v38, v38, v39, vcc
	v_cmp_class_f32_e32 vcc, v7, v4
	v_cndmask_b32_e32 v7, v38, v7, vcc
	v_cmp_nge_f32_e32 vcc, 1.0, v7
	v_cndmask_b32_e32 v5, v37, v5, vcc
	s_cbranch_scc1 .LBB29_1158
; %bb.1159:
	v_mul_f32_e32 v4, 4.0, v5
	s_mov_b32 s58, 0x459c4000
	v_div_scale_f32 v5, vcc, s58, s58, v4
	v_rcp_f32_e32 v6, v5
	v_fma_f32 v7, -v5, v6, 1.0
	v_fmac_f32_e32 v6, v7, v6
	v_div_scale_f32 v7, vcc, v4, s58, v4
	v_mul_f32_e32 v37, v7, v6
	v_fma_f32 v38, -v5, v37, v7
	v_fmac_f32_e32 v37, v38, v6
	v_fma_f32 v5, -v5, v37, v7
	v_div_fmas_f32 v5, v5, v6, v37
	v_div_fixup_f32 v37, v5, s58, v4
.LBB29_1160:
	s_or_b64 exec, exec, s[60:61]
	v_add_u32_e32 v4, 0xd00, v11
	v_cmp_lt_u32_e64 s[58:59], v4, v8
                                        ; implicit-def: $vgpr38
	s_and_saveexec_b64 s[62:63], s[58:59]
	s_cbranch_execz .LBB29_1170
; %bb.1161:
	v_add_u32_e32 v4, v9, v4
	s_movk_i32 vcc_lo, 0x1388
	v_mul_lo_u32 v4, v4, vcc_lo
	v_cmp_ne_u32_e32 vcc, 0, v4
	v_mov_b32_e32 v6, 1
	s_and_saveexec_b64 s[64:65], vcc
	s_cbranch_execz .LBB29_1167
; %bb.1162:
	v_mov_b32_e32 v6, 1
	v_mov_b32_e32 v5, 0
	s_mov_b64 s[68:69], 0xbc8f
	s_mov_b64 s[66:67], 0
	v_mov_b32_e32 v7, 0
	s_brev_b32 s76, -2
	s_mov_b32 s77, 0x7ffffffe
	v_mov_b32_e32 v38, 0xfffff800
	s_movk_i32 s78, 0x401
	s_branch .LBB29_1164
.LBB29_1163:                            ;   in Loop: Header=BB29_1164 Depth=1
	s_or_b64 exec, exec, s[70:71]
	s_mul_i32 vcc_lo, s68, s69
	s_mul_hi_u32 vcc_hi, s68, s68
	s_add_i32 vcc_hi, vcc_hi, vcc_lo
	s_add_i32 s60, vcc_hi, vcc_lo
	s_add_u32 vcc_lo, 0x402, s78
	s_mul_i32 s61, s68, s68
	s_addc_u32 s68, 0, 0
	v_add_co_u32_e32 v39, vcc, vcc_lo, v38
	s_cmp_lg_u64 vcc, 0
	v_readfirstlane_b32 vcc_hi, v39
	s_addc_u32 s68, s68, 1
	s_mul_hi_u32 s69, vcc_hi, 0x80000001
	s_mul_i32 vcc_lo, s68, 0x80000001
	s_sub_i32 s69, s69, vcc_hi
	s_add_i32 s69, s69, vcc_lo
	s_mul_i32 s71, vcc_hi, 0x80000001
	s_mul_hi_u32 vcc_lo, vcc_hi, s69
	s_mul_i32 s70, vcc_hi, s69
	s_mul_hi_u32 vcc_hi, vcc_hi, s71
	s_add_u32 vcc_hi, vcc_hi, s70
	s_addc_u32 vcc_lo, 0, vcc_lo
	s_mul_hi_u32 s79, s68, s71
	s_mul_i32 s71, s68, s71
	s_add_u32 vcc_hi, vcc_hi, s71
	s_mul_hi_u32 s70, s68, s69
	s_addc_u32 vcc_lo, vcc_lo, s79
	s_addc_u32 vcc_hi, s70, 0
	s_mul_i32 s69, s68, s69
	s_add_u32 vcc_lo, vcc_lo, s69
	s_addc_u32 s69, 0, vcc_hi
	v_add_co_u32_e32 v39, vcc, vcc_lo, v39
	s_cmp_lg_u64 vcc, 0
	s_addc_u32 vcc_lo, s68, s69
	v_readfirstlane_b32 s69, v39
	s_mul_i32 s68, s61, vcc_lo
	s_mul_hi_u32 s70, s61, s69
	s_mul_hi_u32 vcc_hi, s61, vcc_lo
	s_add_u32 s68, s70, s68
	s_addc_u32 vcc_hi, 0, vcc_hi
	s_mul_hi_u32 s71, s60, s69
	s_mul_i32 s69, s60, s69
	s_add_u32 s68, s68, s69
	s_mul_hi_u32 s70, s60, vcc_lo
	s_addc_u32 vcc_hi, vcc_hi, s71
	s_addc_u32 s68, s70, 0
	s_mul_i32 vcc_lo, s60, vcc_lo
	s_add_u32 vcc_lo, vcc_hi, vcc_lo
	s_addc_u32 vcc_hi, 0, s68
	s_mul_hi_u32 s68, vcc_lo, 0x7fffffff
	s_mul_i32 vcc_lo, vcc_lo, 0x7fffffff
	s_mul_i32 vcc_hi, vcc_hi, 0x7fffffff
	v_mov_b32_e32 v39, vcc_lo
	s_add_i32 s68, s68, vcc_hi
	v_sub_co_u32_e32 v39, vcc, s61, v39
	s_cmp_lg_u64 vcc, 0
	s_subb_u32 s60, s60, s68
	v_subrev_co_u32_e32 v50, vcc, s76, v39
	s_cmp_lg_u64 vcc, 0
	s_subb_u32 s61, s60, 0
	v_subrev_co_u32_e32 v51, vcc, s76, v50
	s_cmp_lg_u64 vcc, 0
	s_subb_u32 vcc_lo, s61, 0
	v_readfirstlane_b32 vcc_hi, v50
	s_cmp_gt_u32 vcc_hi, 0x7ffffffe
	s_cselect_b32 s68, -1, 0
	s_cmp_eq_u32 s61, 0
	s_cselect_b32 s68, s68, -1
	s_cmp_lg_u32 s68, 0
	s_cselect_b32 vcc_lo, vcc_lo, s61
	v_readfirstlane_b32 s61, v51
	s_cselect_b32 vcc_hi, s61, vcc_hi
	v_readfirstlane_b32 s61, v39
	s_cmp_gt_u32 s61, 0x7ffffffe
	s_cselect_b32 s68, -1, 0
	s_cmp_eq_u32 s60, 0
	s_cselect_b32 s68, s68, -1
	s_cmp_lg_u32 s68, 0
	v_lshrrev_b64 v[48:49], 1, v[4:5]
	s_cselect_b32 s69, vcc_lo, s60
	s_cselect_b32 s68, vcc_hi, s61
	v_cmp_gt_u64_e32 vcc, 2, v[4:5]
	s_or_b64 s[66:67], vcc, s[66:67]
	v_pk_mov_b32 v[4:5], v[48:49], v[48:49] op_sel:[0,1]
	s_andn2_b64 exec, exec, s[66:67]
	s_cbranch_execz .LBB29_1166
.LBB29_1164:                            ; =>This Inner Loop Header: Depth=1
	v_and_b32_e32 v39, 1, v4
	v_cmp_eq_u32_e32 vcc, 1, v39
	s_and_saveexec_b64 s[70:71], vcc
	s_cbranch_execz .LBB29_1163
; %bb.1165:                             ;   in Loop: Header=BB29_1164 Depth=1
	v_mul_lo_u32 v39, s69, v6
	v_mul_lo_u32 v48, s68, v7
	v_mad_u64_u32 v[6:7], vcc, s68, v6, 0
	s_add_u32 vcc_lo, 0x402, s78
	v_add3_u32 v7, v7, v48, v39
	s_addc_u32 s60, 0, 0
	v_add_co_u32_e32 v39, vcc, vcc_lo, v38
	s_cmp_lg_u64 vcc, 0
	v_readfirstlane_b32 vcc_hi, v39
	s_addc_u32 s60, s60, 1
	s_mul_hi_u32 s61, vcc_hi, 0x80000001
	s_mul_i32 vcc_lo, s60, 0x80000001
	s_sub_i32 s61, s61, vcc_hi
	s_add_i32 s61, s61, vcc_lo
	s_mul_i32 s80, vcc_hi, 0x80000001
	s_mul_hi_u32 vcc_lo, vcc_hi, s61
	s_mul_i32 s79, vcc_hi, s61
	s_mul_hi_u32 vcc_hi, vcc_hi, s80
	s_add_u32 vcc_hi, vcc_hi, s79
	s_addc_u32 vcc_lo, 0, vcc_lo
	s_mul_hi_u32 s81, s60, s80
	s_mul_i32 s80, s60, s80
	s_add_u32 vcc_hi, vcc_hi, s80
	s_mul_hi_u32 s79, s60, s61
	s_addc_u32 vcc_lo, vcc_lo, s81
	s_addc_u32 vcc_hi, s79, 0
	s_mul_i32 s61, s60, s61
	s_add_u32 vcc_lo, vcc_lo, s61
	s_addc_u32 s61, 0, vcc_hi
	v_add_co_u32_e32 v39, vcc, vcc_lo, v39
	s_cmp_lg_u64 vcc, 0
	s_addc_u32 s60, s60, s61
	v_mad_u64_u32 v[48:49], vcc, v6, s60, 0
	v_mul_hi_u32 v50, v6, v39
	v_add_co_u32_e32 v52, vcc, v50, v48
	v_addc_co_u32_e32 v53, vcc, 0, v49, vcc
	v_mad_u64_u32 v[48:49], vcc, v7, s60, 0
	v_mad_u64_u32 v[50:51], vcc, v7, v39, 0
	v_add_co_u32_e32 v39, vcc, v52, v50
	v_addc_co_u32_e32 v39, vcc, v53, v51, vcc
	v_addc_co_u32_e32 v49, vcc, 0, v49, vcc
	v_add_co_u32_e32 v39, vcc, v39, v48
	v_addc_co_u32_e32 v51, vcc, 0, v49, vcc
	v_mad_u64_u32 v[48:49], vcc, v39, s76, 0
	v_mov_b32_e32 v50, v49
	v_mad_u64_u32 v[50:51], vcc, v51, s76, v[50:51]
	v_sub_co_u32_e32 v6, vcc, v6, v48
	v_subb_co_u32_e32 v7, vcc, v7, v50, vcc
	v_subrev_co_u32_e32 v39, vcc, s76, v6
	v_subbrev_co_u32_e32 v48, vcc, 0, v7, vcc
	v_subrev_co_u32_e32 v49, vcc, s76, v39
	v_subbrev_co_u32_e32 v50, vcc, 0, v48, vcc
	v_cmp_lt_u32_e32 vcc, s77, v39
	v_cndmask_b32_e64 v51, 0, -1, vcc
	v_cmp_eq_u32_e32 vcc, 0, v48
	v_cndmask_b32_e32 v51, -1, v51, vcc
	v_cmp_ne_u32_e32 vcc, 0, v51
	v_cmp_lt_u32_e64 s[60:61], s77, v6
	v_cndmask_b32_e32 v48, v48, v50, vcc
	v_cndmask_b32_e64 v50, 0, -1, s[60:61]
	v_cmp_eq_u32_e64 s[60:61], 0, v7
	v_cndmask_b32_e64 v50, -1, v50, s[60:61]
	v_cmp_ne_u32_e64 s[60:61], 0, v50
	v_cndmask_b32_e32 v39, v39, v49, vcc
	v_cndmask_b32_e64 v7, v7, v48, s[60:61]
	v_cndmask_b32_e64 v6, v6, v39, s[60:61]
	s_branch .LBB29_1163
.LBB29_1166:
	s_or_b64 exec, exec, s[66:67]
	s_movk_i32 vcc_lo, 0x401
	s_add_u32 vcc_lo, 0x402, vcc_lo
	v_mov_b32_e32 v4, 0xfffff800
	s_addc_u32 s60, 0, 0
	v_add_co_u32_e32 v4, vcc, vcc_lo, v4
	s_cmp_lg_u64 vcc, 0
	v_readfirstlane_b32 vcc_hi, v4
	s_addc_u32 s60, s60, 1
	s_mul_hi_u32 s61, vcc_hi, 0x80000001
	s_mul_i32 vcc_lo, s60, 0x80000001
	s_sub_i32 s61, s61, vcc_hi
	s_add_i32 s61, s61, vcc_lo
	s_mul_i32 s67, vcc_hi, 0x80000001
	s_mul_hi_u32 vcc_lo, vcc_hi, s61
	s_mul_i32 s66, vcc_hi, s61
	s_mul_hi_u32 vcc_hi, vcc_hi, s67
	s_add_u32 vcc_hi, vcc_hi, s66
	s_addc_u32 vcc_lo, 0, vcc_lo
	s_mul_hi_u32 s68, s60, s67
	s_mul_i32 s67, s60, s67
	s_add_u32 vcc_hi, vcc_hi, s67
	s_mul_hi_u32 s66, s60, s61
	s_addc_u32 vcc_lo, vcc_lo, s68
	s_addc_u32 vcc_hi, s66, 0
	s_mul_i32 s61, s60, s61
	s_add_u32 vcc_lo, vcc_lo, s61
	s_addc_u32 s61, 0, vcc_hi
	v_add_co_u32_e32 v38, vcc, vcc_lo, v4
	s_cmp_lg_u64 vcc, 0
	s_addc_u32 s60, s60, s61
	v_mad_u64_u32 v[4:5], vcc, v6, s60, 0
	v_mul_hi_u32 v39, v6, v38
	v_add_co_u32_e32 v48, vcc, v39, v4
	v_addc_co_u32_e32 v49, vcc, 0, v5, vcc
	v_mad_u64_u32 v[4:5], vcc, v7, s60, 0
	v_mad_u64_u32 v[38:39], vcc, v7, v38, 0
	v_add_co_u32_e32 v38, vcc, v48, v38
	v_addc_co_u32_e32 v38, vcc, v49, v39, vcc
	v_addc_co_u32_e32 v5, vcc, 0, v5, vcc
	v_add_co_u32_e32 v4, vcc, v38, v4
	s_brev_b32 s60, -2
	v_addc_co_u32_e32 v39, vcc, 0, v5, vcc
	v_mad_u64_u32 v[4:5], vcc, v4, s60, 0
	v_mov_b32_e32 v38, v5
	v_mad_u64_u32 v[38:39], vcc, v39, s60, v[38:39]
	v_sub_co_u32_e32 v4, vcc, v6, v4
	v_subb_co_u32_e32 v5, vcc, v7, v38, vcc
	v_subrev_co_u32_e32 v6, vcc, 0x7fffffff, v4
	v_subbrev_co_u32_e32 v7, vcc, 0, v5, vcc
	s_mov_b32 s60, 0x7ffffffe
	v_cmp_lt_u32_e32 vcc, s60, v6
	v_cndmask_b32_e64 v38, 0, -1, vcc
	v_cmp_eq_u32_e32 vcc, 0, v7
	v_cndmask_b32_e32 v7, -1, v38, vcc
	v_add_u32_e32 v38, 0x80000001, v6
	v_cmp_ne_u32_e32 vcc, 0, v7
	v_cndmask_b32_e32 v6, v6, v38, vcc
	v_cmp_lt_u32_e32 vcc, s60, v4
	v_cndmask_b32_e64 v7, 0, -1, vcc
	v_cmp_eq_u32_e32 vcc, 0, v5
	v_cndmask_b32_e32 v5, -1, v7, vcc
	v_cmp_ne_u32_e32 vcc, 0, v5
	v_cndmask_b32_e32 v6, v4, v6, vcc
.LBB29_1167:
	s_or_b64 exec, exec, s[64:65]
	s_movk_i32 s64, 0x1388
	v_mov_b32_e32 v5, 0
	s_mov_b32 s65, 0xbc8f1391
	s_mov_b32 s66, 0xbc8f
	s_brev_b32 s67, 12
	s_mov_b32 s68, 0xf800000
	v_mov_b32_e32 v4, 0x260
.LBB29_1168:                            ; =>This Inner Loop Header: Depth=1
	v_mul_hi_u32 v7, v6, s65
	v_lshrrev_b32_e32 v7, 15, v7
	v_mul_u32_u24_e32 v39, 0xadc8, v7
	v_sub_u32_e32 v6, v6, v39
	v_mul_u32_u24_e32 v7, 0xd47, v7
	v_mul_lo_u32 v6, v6, s66
	v_xor_b32_e32 v39, 0x7fffffff, v7
	v_sub_u32_e32 v48, 0, v7
	v_cmp_lt_u32_e32 vcc, v6, v7
	v_cndmask_b32_e32 v7, v48, v39, vcc
	v_add_u32_e32 v6, v7, v6
	v_mul_hi_u32 v39, v6, s65
	v_lshrrev_b32_e32 v39, 15, v39
	v_mul_u32_u24_e32 v48, 0xadc8, v39
	v_add_u32_e32 v7, -1, v6
	v_sub_u32_e32 v6, v6, v48
	v_mul_u32_u24_e32 v39, 0xd47, v39
	v_mul_lo_u32 v6, v6, s66
	v_xor_b32_e32 v48, 0x7fffffff, v39
	v_sub_u32_e32 v49, 0, v39
	v_cmp_lt_u32_e32 vcc, v6, v39
	v_cndmask_b32_e32 v39, v49, v48, vcc
	v_add_u32_e32 v6, v39, v6
	v_mul_hi_u32 v48, v6, s65
	v_add_u32_e32 v39, -1, v6
	v_lshrrev_b32_e32 v48, 15, v48
	v_cvt_f32_u32_e32 v39, v39
	v_mul_u32_u24_e32 v49, 0xadc8, v48
	v_cvt_f32_u32_e32 v7, v7
	v_sub_u32_e32 v6, v6, v49
	v_mul_u32_u24_e32 v48, 0xd47, v48
	v_mul_lo_u32 v6, v6, s66
	v_xor_b32_e32 v49, 0x7fffffff, v48
	v_sub_u32_e32 v50, 0, v48
	v_cmp_lt_u32_e32 vcc, v6, v48
	v_fma_f32 v39, v39, s67, 0
	v_cndmask_b32_e32 v48, v50, v49, vcc
	v_fma_f32 v7, v7, s67, 0
	v_mul_f32_e32 v39, v39, v39
	v_add_u32_e32 v6, v48, v6
	v_fmac_f32_e32 v39, v7, v7
	v_mul_hi_u32 v48, v6, s65
	v_mul_f32_e32 v49, 0x4f800000, v39
	v_lshrrev_b32_e32 v48, 15, v48
	v_cmp_gt_f32_e32 vcc, s68, v39
	v_cndmask_b32_e32 v39, v39, v49, vcc
	v_mul_u32_u24_e32 v49, 0xadc8, v48
	v_add_u32_e32 v7, -1, v6
	v_sqrt_f32_e32 v50, v39
	v_sub_u32_e32 v6, v6, v49
	v_mul_u32_u24_e32 v48, 0xd47, v48
	v_mul_lo_u32 v6, v6, s66
	v_xor_b32_e32 v49, 0x7fffffff, v48
	v_sub_u32_e32 v51, 0, v48
	v_cmp_lt_u32_e64 s[60:61], v6, v48
	v_cndmask_b32_e64 v48, v51, v49, s[60:61]
	v_add_u32_e32 v6, v48, v6
	v_add_u32_e32 v48, -1, v50
	v_add_u32_e32 v49, 1, v50
	v_add_u32_e32 v51, -1, v6
	v_fma_f32 v52, -v48, v50, v39
	v_fma_f32 v53, -v49, v50, v39
	v_cvt_f32_u32_e32 v51, v51
	v_cmp_ge_f32_e64 s[60:61], 0, v52
	v_cvt_f32_u32_e32 v7, v7
	v_cndmask_b32_e64 v48, v50, v48, s[60:61]
	v_cmp_lt_f32_e64 s[60:61], 0, v53
	v_cndmask_b32_e64 v48, v48, v49, s[60:61]
	v_mul_f32_e32 v49, 0x37800000, v48
	v_cndmask_b32_e32 v48, v48, v49, vcc
	v_fma_f32 v49, v51, s67, 0
	v_cmp_class_f32_e32 vcc, v39, v4
	v_fma_f32 v7, v7, s67, 0
	v_cndmask_b32_e32 v39, v48, v39, vcc
	v_mul_f32_e32 v48, v49, v49
	v_add_f32_e32 v38, 1.0, v5
	v_cmp_nge_f32_e32 vcc, 1.0, v39
	v_fmac_f32_e32 v48, v7, v7
	v_cndmask_b32_e32 v5, v38, v5, vcc
	v_mul_f32_e32 v7, 0x4f800000, v48
	v_cmp_gt_f32_e32 vcc, s68, v48
	v_cndmask_b32_e32 v7, v48, v7, vcc
	v_sqrt_f32_e32 v39, v7
	s_add_i32 s64, s64, -2
	v_add_f32_e32 v38, 1.0, v5
	s_cmp_lg_u32 s64, 0
	v_add_u32_e32 v48, -1, v39
	v_add_u32_e32 v49, 1, v39
	v_fma_f32 v50, -v48, v39, v7
	v_fma_f32 v51, -v49, v39, v7
	v_cmp_ge_f32_e64 s[60:61], 0, v50
	v_cndmask_b32_e64 v39, v39, v48, s[60:61]
	v_cmp_lt_f32_e64 s[60:61], 0, v51
	v_cndmask_b32_e64 v39, v39, v49, s[60:61]
	v_mul_f32_e32 v48, 0x37800000, v39
	v_cndmask_b32_e32 v39, v39, v48, vcc
	v_cmp_class_f32_e32 vcc, v7, v4
	v_cndmask_b32_e32 v7, v39, v7, vcc
	v_cmp_nge_f32_e32 vcc, 1.0, v7
	v_cndmask_b32_e32 v5, v38, v5, vcc
	s_cbranch_scc1 .LBB29_1168
; %bb.1169:
	v_mul_f32_e32 v4, 4.0, v5
	s_mov_b32 s60, 0x459c4000
	v_div_scale_f32 v5, vcc, s60, s60, v4
	v_rcp_f32_e32 v6, v5
	v_fma_f32 v7, -v5, v6, 1.0
	v_fmac_f32_e32 v6, v7, v6
	v_div_scale_f32 v7, vcc, v4, s60, v4
	v_mul_f32_e32 v38, v7, v6
	v_fma_f32 v39, -v5, v38, v7
	v_fmac_f32_e32 v38, v39, v6
	v_fma_f32 v5, -v5, v38, v7
	v_div_fmas_f32 v5, v5, v6, v38
	v_div_fixup_f32 v38, v5, s60, v4
.LBB29_1170:
	s_or_b64 exec, exec, s[62:63]
	v_add_u32_e32 v4, 0xd80, v11
	v_cmp_lt_u32_e64 s[60:61], v4, v8
                                        ; implicit-def: $vgpr39
	s_and_saveexec_b64 s[64:65], s[60:61]
	s_cbranch_execz .LBB29_1180
; %bb.1171:
	v_add_u32_e32 v4, v9, v4
	s_movk_i32 vcc_lo, 0x1388
	v_mul_lo_u32 v4, v4, vcc_lo
	v_cmp_ne_u32_e32 vcc, 0, v4
	v_mov_b32_e32 v6, 1
	s_and_saveexec_b64 s[66:67], vcc
	s_cbranch_execz .LBB29_1177
; %bb.1172:
	v_mov_b32_e32 v6, 1
	v_mov_b32_e32 v5, 0
	s_mov_b64 s[70:71], 0xbc8f
	s_mov_b64 s[68:69], 0
	v_mov_b32_e32 v7, 0
	s_brev_b32 s78, -2
	s_mov_b32 s79, 0x7ffffffe
	v_mov_b32_e32 v39, 0xfffff800
	s_movk_i32 s80, 0x401
	s_branch .LBB29_1174
.LBB29_1173:                            ;   in Loop: Header=BB29_1174 Depth=1
	s_or_b64 exec, exec, s[76:77]
	s_mul_i32 vcc_lo, s70, s71
	s_mul_hi_u32 vcc_hi, s70, s70
	s_add_i32 vcc_hi, vcc_hi, vcc_lo
	s_add_i32 s62, vcc_hi, vcc_lo
	s_add_u32 vcc_lo, 0x402, s80
	s_mul_i32 s63, s70, s70
	s_addc_u32 s70, 0, 0
	v_add_co_u32_e32 v50, vcc, vcc_lo, v39
	s_cmp_lg_u64 vcc, 0
	v_readfirstlane_b32 vcc_hi, v50
	s_addc_u32 s70, s70, 1
	s_mul_hi_u32 s71, vcc_hi, 0x80000001
	s_mul_i32 vcc_lo, s70, 0x80000001
	s_sub_i32 s71, s71, vcc_hi
	s_add_i32 s71, s71, vcc_lo
	s_mul_i32 s77, vcc_hi, 0x80000001
	s_mul_hi_u32 vcc_lo, vcc_hi, s71
	s_mul_i32 s76, vcc_hi, s71
	s_mul_hi_u32 vcc_hi, vcc_hi, s77
	s_add_u32 vcc_hi, vcc_hi, s76
	s_addc_u32 vcc_lo, 0, vcc_lo
	s_mul_hi_u32 s81, s70, s77
	s_mul_i32 s77, s70, s77
	s_add_u32 vcc_hi, vcc_hi, s77
	s_mul_hi_u32 s76, s70, s71
	s_addc_u32 vcc_lo, vcc_lo, s81
	s_addc_u32 vcc_hi, s76, 0
	s_mul_i32 s71, s70, s71
	s_add_u32 vcc_lo, vcc_lo, s71
	s_addc_u32 s71, 0, vcc_hi
	v_add_co_u32_e32 v50, vcc, vcc_lo, v50
	s_cmp_lg_u64 vcc, 0
	s_addc_u32 vcc_lo, s70, s71
	v_readfirstlane_b32 s71, v50
	s_mul_i32 s70, s63, vcc_lo
	s_mul_hi_u32 s76, s63, s71
	s_mul_hi_u32 vcc_hi, s63, vcc_lo
	s_add_u32 s70, s76, s70
	s_addc_u32 vcc_hi, 0, vcc_hi
	s_mul_hi_u32 s77, s62, s71
	s_mul_i32 s71, s62, s71
	s_add_u32 s70, s70, s71
	s_mul_hi_u32 s76, s62, vcc_lo
	s_addc_u32 vcc_hi, vcc_hi, s77
	s_addc_u32 s70, s76, 0
	s_mul_i32 vcc_lo, s62, vcc_lo
	s_add_u32 vcc_lo, vcc_hi, vcc_lo
	s_addc_u32 vcc_hi, 0, s70
	s_mul_hi_u32 s70, vcc_lo, 0x7fffffff
	s_mul_i32 vcc_lo, vcc_lo, 0x7fffffff
	s_mul_i32 vcc_hi, vcc_hi, 0x7fffffff
	v_mov_b32_e32 v50, vcc_lo
	s_add_i32 s70, s70, vcc_hi
	v_sub_co_u32_e32 v50, vcc, s63, v50
	s_cmp_lg_u64 vcc, 0
	s_subb_u32 s62, s62, s70
	v_subrev_co_u32_e32 v51, vcc, s78, v50
	s_cmp_lg_u64 vcc, 0
	s_subb_u32 s63, s62, 0
	v_subrev_co_u32_e32 v52, vcc, s78, v51
	s_cmp_lg_u64 vcc, 0
	s_subb_u32 vcc_lo, s63, 0
	v_readfirstlane_b32 vcc_hi, v51
	s_cmp_gt_u32 vcc_hi, 0x7ffffffe
	s_cselect_b32 s70, -1, 0
	s_cmp_eq_u32 s63, 0
	s_cselect_b32 s70, s70, -1
	s_cmp_lg_u32 s70, 0
	s_cselect_b32 vcc_lo, vcc_lo, s63
	v_readfirstlane_b32 s63, v52
	s_cselect_b32 vcc_hi, s63, vcc_hi
	v_readfirstlane_b32 s63, v50
	s_cmp_gt_u32 s63, 0x7ffffffe
	s_cselect_b32 s70, -1, 0
	s_cmp_eq_u32 s62, 0
	s_cselect_b32 s70, s70, -1
	s_cmp_lg_u32 s70, 0
	v_lshrrev_b64 v[48:49], 1, v[4:5]
	s_cselect_b32 s71, vcc_lo, s62
	s_cselect_b32 s70, vcc_hi, s63
	v_cmp_gt_u64_e32 vcc, 2, v[4:5]
	s_or_b64 s[68:69], vcc, s[68:69]
	v_pk_mov_b32 v[4:5], v[48:49], v[48:49] op_sel:[0,1]
	s_andn2_b64 exec, exec, s[68:69]
	s_cbranch_execz .LBB29_1176
.LBB29_1174:                            ; =>This Inner Loop Header: Depth=1
	v_and_b32_e32 v48, 1, v4
	v_cmp_eq_u32_e32 vcc, 1, v48
	s_and_saveexec_b64 s[76:77], vcc
	s_cbranch_execz .LBB29_1173
; %bb.1175:                             ;   in Loop: Header=BB29_1174 Depth=1
	v_mul_lo_u32 v48, s71, v6
	v_mul_lo_u32 v49, s70, v7
	v_mad_u64_u32 v[6:7], vcc, s70, v6, 0
	s_add_u32 vcc_lo, 0x402, s80
	v_add3_u32 v7, v7, v49, v48
	s_addc_u32 s62, 0, 0
	v_add_co_u32_e32 v48, vcc, vcc_lo, v39
	s_cmp_lg_u64 vcc, 0
	v_readfirstlane_b32 vcc_hi, v48
	s_addc_u32 s62, s62, 1
	s_mul_hi_u32 s63, vcc_hi, 0x80000001
	s_mul_i32 vcc_lo, s62, 0x80000001
	s_sub_i32 s63, s63, vcc_hi
	s_add_i32 s63, s63, vcc_lo
	s_mul_i32 s82, vcc_hi, 0x80000001
	s_mul_hi_u32 vcc_lo, vcc_hi, s63
	s_mul_i32 s81, vcc_hi, s63
	s_mul_hi_u32 vcc_hi, vcc_hi, s82
	s_add_u32 vcc_hi, vcc_hi, s81
	s_addc_u32 vcc_lo, 0, vcc_lo
	s_mul_hi_u32 s83, s62, s82
	s_mul_i32 s82, s62, s82
	s_add_u32 vcc_hi, vcc_hi, s82
	s_mul_hi_u32 s81, s62, s63
	s_addc_u32 vcc_lo, vcc_lo, s83
	s_addc_u32 vcc_hi, s81, 0
	s_mul_i32 s63, s62, s63
	s_add_u32 vcc_lo, vcc_lo, s63
	s_addc_u32 s63, 0, vcc_hi
	v_add_co_u32_e32 v50, vcc, vcc_lo, v48
	s_cmp_lg_u64 vcc, 0
	s_addc_u32 s62, s62, s63
	v_mad_u64_u32 v[48:49], vcc, v6, s62, 0
	v_mul_hi_u32 v51, v6, v50
	v_add_co_u32_e32 v52, vcc, v51, v48
	v_addc_co_u32_e32 v53, vcc, 0, v49, vcc
	v_mad_u64_u32 v[48:49], vcc, v7, s62, 0
	v_mad_u64_u32 v[50:51], vcc, v7, v50, 0
	v_add_co_u32_e32 v50, vcc, v52, v50
	v_addc_co_u32_e32 v50, vcc, v53, v51, vcc
	v_addc_co_u32_e32 v49, vcc, 0, v49, vcc
	v_add_co_u32_e32 v48, vcc, v50, v48
	v_addc_co_u32_e32 v51, vcc, 0, v49, vcc
	v_mad_u64_u32 v[48:49], vcc, v48, s78, 0
	v_mov_b32_e32 v50, v49
	v_mad_u64_u32 v[50:51], vcc, v51, s78, v[50:51]
	v_sub_co_u32_e32 v6, vcc, v6, v48
	v_subb_co_u32_e32 v7, vcc, v7, v50, vcc
	v_subrev_co_u32_e32 v48, vcc, s78, v6
	v_subbrev_co_u32_e32 v49, vcc, 0, v7, vcc
	v_subrev_co_u32_e32 v50, vcc, s78, v48
	v_subbrev_co_u32_e32 v51, vcc, 0, v49, vcc
	v_cmp_lt_u32_e32 vcc, s79, v48
	v_cndmask_b32_e64 v52, 0, -1, vcc
	v_cmp_eq_u32_e32 vcc, 0, v49
	v_cndmask_b32_e32 v52, -1, v52, vcc
	v_cmp_ne_u32_e32 vcc, 0, v52
	v_cmp_lt_u32_e64 s[62:63], s79, v6
	v_cndmask_b32_e32 v49, v49, v51, vcc
	v_cndmask_b32_e64 v51, 0, -1, s[62:63]
	v_cmp_eq_u32_e64 s[62:63], 0, v7
	v_cndmask_b32_e64 v51, -1, v51, s[62:63]
	v_cmp_ne_u32_e64 s[62:63], 0, v51
	v_cndmask_b32_e32 v48, v48, v50, vcc
	v_cndmask_b32_e64 v7, v7, v49, s[62:63]
	v_cndmask_b32_e64 v6, v6, v48, s[62:63]
	s_branch .LBB29_1173
.LBB29_1176:
	s_or_b64 exec, exec, s[68:69]
	s_movk_i32 vcc_lo, 0x401
	s_add_u32 vcc_lo, 0x402, vcc_lo
	v_mov_b32_e32 v4, 0xfffff800
	s_addc_u32 s62, 0, 0
	v_add_co_u32_e32 v4, vcc, vcc_lo, v4
	s_cmp_lg_u64 vcc, 0
	v_readfirstlane_b32 vcc_hi, v4
	s_addc_u32 s62, s62, 1
	s_mul_hi_u32 s63, vcc_hi, 0x80000001
	s_mul_i32 vcc_lo, s62, 0x80000001
	s_sub_i32 s63, s63, vcc_hi
	s_add_i32 s63, s63, vcc_lo
	s_mul_i32 s69, vcc_hi, 0x80000001
	s_mul_hi_u32 vcc_lo, vcc_hi, s63
	s_mul_i32 s68, vcc_hi, s63
	s_mul_hi_u32 vcc_hi, vcc_hi, s69
	s_add_u32 vcc_hi, vcc_hi, s68
	s_addc_u32 vcc_lo, 0, vcc_lo
	s_mul_hi_u32 s70, s62, s69
	s_mul_i32 s69, s62, s69
	s_add_u32 vcc_hi, vcc_hi, s69
	s_mul_hi_u32 s68, s62, s63
	s_addc_u32 vcc_lo, vcc_lo, s70
	s_addc_u32 vcc_hi, s68, 0
	s_mul_i32 s63, s62, s63
	s_add_u32 vcc_lo, vcc_lo, s63
	s_addc_u32 s63, 0, vcc_hi
	v_add_co_u32_e32 v39, vcc, vcc_lo, v4
	s_cmp_lg_u64 vcc, 0
	s_addc_u32 s62, s62, s63
	v_mad_u64_u32 v[4:5], vcc, v6, s62, 0
	v_mul_hi_u32 v48, v6, v39
	v_add_co_u32_e32 v50, vcc, v48, v4
	v_addc_co_u32_e32 v51, vcc, 0, v5, vcc
	v_mad_u64_u32 v[4:5], vcc, v7, s62, 0
	v_mad_u64_u32 v[48:49], vcc, v7, v39, 0
	v_add_co_u32_e32 v39, vcc, v50, v48
	v_addc_co_u32_e32 v39, vcc, v51, v49, vcc
	v_addc_co_u32_e32 v5, vcc, 0, v5, vcc
	v_add_co_u32_e32 v4, vcc, v39, v4
	s_brev_b32 s62, -2
	v_addc_co_u32_e32 v39, vcc, 0, v5, vcc
	v_mad_u64_u32 v[4:5], vcc, v4, s62, 0
	v_mov_b32_e32 v48, v5
	v_mad_u64_u32 v[48:49], vcc, v39, s62, v[48:49]
	v_sub_co_u32_e32 v4, vcc, v6, v4
	v_subb_co_u32_e32 v5, vcc, v7, v48, vcc
	v_subrev_co_u32_e32 v6, vcc, 0x7fffffff, v4
	v_subbrev_co_u32_e32 v7, vcc, 0, v5, vcc
	s_mov_b32 s62, 0x7ffffffe
	v_cmp_lt_u32_e32 vcc, s62, v6
	v_cndmask_b32_e64 v39, 0, -1, vcc
	v_cmp_eq_u32_e32 vcc, 0, v7
	v_cndmask_b32_e32 v7, -1, v39, vcc
	v_add_u32_e32 v39, 0x80000001, v6
	v_cmp_ne_u32_e32 vcc, 0, v7
	v_cndmask_b32_e32 v6, v6, v39, vcc
	v_cmp_lt_u32_e32 vcc, s62, v4
	v_cndmask_b32_e64 v7, 0, -1, vcc
	v_cmp_eq_u32_e32 vcc, 0, v5
	v_cndmask_b32_e32 v5, -1, v7, vcc
	v_cmp_ne_u32_e32 vcc, 0, v5
	v_cndmask_b32_e32 v6, v4, v6, vcc
.LBB29_1177:
	s_or_b64 exec, exec, s[66:67]
	s_movk_i32 s66, 0x1388
	v_mov_b32_e32 v5, 0
	s_mov_b32 s67, 0xbc8f1391
	s_mov_b32 s68, 0xbc8f
	s_brev_b32 s69, 12
	s_mov_b32 s70, 0xf800000
	v_mov_b32_e32 v4, 0x260
.LBB29_1178:                            ; =>This Inner Loop Header: Depth=1
	v_mul_hi_u32 v7, v6, s67
	v_lshrrev_b32_e32 v7, 15, v7
	v_mul_u32_u24_e32 v48, 0xadc8, v7
	v_sub_u32_e32 v6, v6, v48
	v_mul_u32_u24_e32 v7, 0xd47, v7
	v_mul_lo_u32 v6, v6, s68
	v_xor_b32_e32 v48, 0x7fffffff, v7
	v_sub_u32_e32 v49, 0, v7
	v_cmp_lt_u32_e32 vcc, v6, v7
	v_cndmask_b32_e32 v7, v49, v48, vcc
	v_add_u32_e32 v6, v7, v6
	v_mul_hi_u32 v48, v6, s67
	v_lshrrev_b32_e32 v48, 15, v48
	v_mul_u32_u24_e32 v49, 0xadc8, v48
	v_add_u32_e32 v7, -1, v6
	v_sub_u32_e32 v6, v6, v49
	v_mul_u32_u24_e32 v48, 0xd47, v48
	v_mul_lo_u32 v6, v6, s68
	v_xor_b32_e32 v49, 0x7fffffff, v48
	v_sub_u32_e32 v50, 0, v48
	v_cmp_lt_u32_e32 vcc, v6, v48
	v_cndmask_b32_e32 v48, v50, v49, vcc
	v_add_u32_e32 v6, v48, v6
	v_mul_hi_u32 v49, v6, s67
	v_add_u32_e32 v48, -1, v6
	v_lshrrev_b32_e32 v49, 15, v49
	v_cvt_f32_u32_e32 v48, v48
	v_mul_u32_u24_e32 v50, 0xadc8, v49
	v_cvt_f32_u32_e32 v7, v7
	v_sub_u32_e32 v6, v6, v50
	v_mul_u32_u24_e32 v49, 0xd47, v49
	v_mul_lo_u32 v6, v6, s68
	v_xor_b32_e32 v50, 0x7fffffff, v49
	v_sub_u32_e32 v51, 0, v49
	v_cmp_lt_u32_e32 vcc, v6, v49
	v_fma_f32 v48, v48, s69, 0
	v_cndmask_b32_e32 v49, v51, v50, vcc
	v_fma_f32 v7, v7, s69, 0
	v_mul_f32_e32 v48, v48, v48
	v_add_u32_e32 v6, v49, v6
	v_fmac_f32_e32 v48, v7, v7
	v_mul_hi_u32 v49, v6, s67
	v_mul_f32_e32 v50, 0x4f800000, v48
	v_lshrrev_b32_e32 v49, 15, v49
	v_cmp_gt_f32_e32 vcc, s70, v48
	v_cndmask_b32_e32 v48, v48, v50, vcc
	v_mul_u32_u24_e32 v50, 0xadc8, v49
	v_add_u32_e32 v7, -1, v6
	v_sqrt_f32_e32 v51, v48
	v_sub_u32_e32 v6, v6, v50
	v_mul_u32_u24_e32 v49, 0xd47, v49
	v_mul_lo_u32 v6, v6, s68
	v_xor_b32_e32 v50, 0x7fffffff, v49
	v_sub_u32_e32 v52, 0, v49
	v_cmp_lt_u32_e64 s[62:63], v6, v49
	v_cndmask_b32_e64 v49, v52, v50, s[62:63]
	v_add_u32_e32 v6, v49, v6
	v_add_u32_e32 v49, -1, v51
	v_add_u32_e32 v50, 1, v51
	v_add_u32_e32 v52, -1, v6
	v_fma_f32 v53, -v49, v51, v48
	v_fma_f32 v54, -v50, v51, v48
	v_cvt_f32_u32_e32 v52, v52
	v_cmp_ge_f32_e64 s[62:63], 0, v53
	v_cvt_f32_u32_e32 v7, v7
	v_cndmask_b32_e64 v49, v51, v49, s[62:63]
	v_cmp_lt_f32_e64 s[62:63], 0, v54
	v_cndmask_b32_e64 v49, v49, v50, s[62:63]
	v_mul_f32_e32 v50, 0x37800000, v49
	v_cndmask_b32_e32 v49, v49, v50, vcc
	v_fma_f32 v50, v52, s69, 0
	v_cmp_class_f32_e32 vcc, v48, v4
	v_fma_f32 v7, v7, s69, 0
	v_cndmask_b32_e32 v48, v49, v48, vcc
	v_mul_f32_e32 v49, v50, v50
	v_add_f32_e32 v39, 1.0, v5
	v_cmp_nge_f32_e32 vcc, 1.0, v48
	v_fmac_f32_e32 v49, v7, v7
	v_cndmask_b32_e32 v5, v39, v5, vcc
	v_mul_f32_e32 v7, 0x4f800000, v49
	v_cmp_gt_f32_e32 vcc, s70, v49
	v_cndmask_b32_e32 v7, v49, v7, vcc
	v_sqrt_f32_e32 v48, v7
	s_add_i32 s66, s66, -2
	v_add_f32_e32 v39, 1.0, v5
	s_cmp_lg_u32 s66, 0
	v_add_u32_e32 v49, -1, v48
	v_add_u32_e32 v50, 1, v48
	v_fma_f32 v51, -v49, v48, v7
	v_fma_f32 v52, -v50, v48, v7
	v_cmp_ge_f32_e64 s[62:63], 0, v51
	v_cndmask_b32_e64 v48, v48, v49, s[62:63]
	v_cmp_lt_f32_e64 s[62:63], 0, v52
	v_cndmask_b32_e64 v48, v48, v50, s[62:63]
	v_mul_f32_e32 v49, 0x37800000, v48
	v_cndmask_b32_e32 v48, v48, v49, vcc
	v_cmp_class_f32_e32 vcc, v7, v4
	v_cndmask_b32_e32 v7, v48, v7, vcc
	v_cmp_nge_f32_e32 vcc, 1.0, v7
	v_cndmask_b32_e32 v5, v39, v5, vcc
	s_cbranch_scc1 .LBB29_1178
; %bb.1179:
	v_mul_f32_e32 v4, 4.0, v5
	s_mov_b32 s62, 0x459c4000
	v_div_scale_f32 v5, vcc, s62, s62, v4
	v_rcp_f32_e32 v6, v5
	v_fma_f32 v7, -v5, v6, 1.0
	v_fmac_f32_e32 v6, v7, v6
	v_div_scale_f32 v7, vcc, v4, s62, v4
	v_mul_f32_e32 v39, v7, v6
	v_fma_f32 v48, -v5, v39, v7
	v_fmac_f32_e32 v39, v48, v6
	v_fma_f32 v5, -v5, v39, v7
	v_div_fmas_f32 v5, v5, v6, v39
	v_div_fixup_f32 v39, v5, s62, v4
.LBB29_1180:
	s_or_b64 exec, exec, s[64:65]
	v_add_u32_e32 v4, 0xe00, v11
	v_cmp_lt_u32_e64 s[62:63], v4, v8
                                        ; implicit-def: $vgpr48
	s_and_saveexec_b64 s[66:67], s[62:63]
	s_cbranch_execz .LBB29_1190
; %bb.1181:
	v_add_u32_e32 v4, v9, v4
	s_movk_i32 vcc_lo, 0x1388
	v_mul_lo_u32 v4, v4, vcc_lo
	v_cmp_ne_u32_e32 vcc, 0, v4
	v_mov_b32_e32 v6, 1
	s_and_saveexec_b64 s[68:69], vcc
	s_cbranch_execz .LBB29_1187
; %bb.1182:
	v_mov_b32_e32 v6, 1
	v_mov_b32_e32 v5, 0
	s_mov_b64 s[76:77], 0xbc8f
	s_mov_b64 s[70:71], 0
	v_mov_b32_e32 v7, 0
	s_brev_b32 s80, -2
	s_mov_b32 s81, 0x7ffffffe
	v_mov_b32_e32 v48, 0xfffff800
	s_movk_i32 s82, 0x401
	s_branch .LBB29_1184
.LBB29_1183:                            ;   in Loop: Header=BB29_1184 Depth=1
	s_or_b64 exec, exec, s[78:79]
	s_mul_i32 vcc_lo, s76, s77
	s_mul_hi_u32 vcc_hi, s76, s76
	s_add_i32 vcc_hi, vcc_hi, vcc_lo
	s_add_i32 s64, vcc_hi, vcc_lo
	s_add_u32 vcc_lo, 0x402, s82
	s_mul_i32 s65, s76, s76
	s_addc_u32 s76, 0, 0
	v_add_co_u32_e32 v49, vcc, vcc_lo, v48
	s_cmp_lg_u64 vcc, 0
	v_readfirstlane_b32 vcc_hi, v49
	s_addc_u32 s76, s76, 1
	s_mul_hi_u32 s77, vcc_hi, 0x80000001
	s_mul_i32 vcc_lo, s76, 0x80000001
	s_sub_i32 s77, s77, vcc_hi
	s_add_i32 s77, s77, vcc_lo
	s_mul_i32 s79, vcc_hi, 0x80000001
	s_mul_hi_u32 vcc_lo, vcc_hi, s77
	s_mul_i32 s78, vcc_hi, s77
	s_mul_hi_u32 vcc_hi, vcc_hi, s79
	s_add_u32 vcc_hi, vcc_hi, s78
	s_addc_u32 vcc_lo, 0, vcc_lo
	s_mul_hi_u32 s83, s76, s79
	s_mul_i32 s79, s76, s79
	s_add_u32 vcc_hi, vcc_hi, s79
	s_mul_hi_u32 s78, s76, s77
	s_addc_u32 vcc_lo, vcc_lo, s83
	s_addc_u32 vcc_hi, s78, 0
	s_mul_i32 s77, s76, s77
	s_add_u32 vcc_lo, vcc_lo, s77
	s_addc_u32 s77, 0, vcc_hi
	v_add_co_u32_e32 v49, vcc, vcc_lo, v49
	s_cmp_lg_u64 vcc, 0
	s_addc_u32 vcc_lo, s76, s77
	v_readfirstlane_b32 s77, v49
	s_mul_i32 s76, s65, vcc_lo
	s_mul_hi_u32 s78, s65, s77
	s_mul_hi_u32 vcc_hi, s65, vcc_lo
	s_add_u32 s76, s78, s76
	s_addc_u32 vcc_hi, 0, vcc_hi
	s_mul_hi_u32 s79, s64, s77
	s_mul_i32 s77, s64, s77
	s_add_u32 s76, s76, s77
	s_mul_hi_u32 s78, s64, vcc_lo
	s_addc_u32 vcc_hi, vcc_hi, s79
	s_addc_u32 s76, s78, 0
	s_mul_i32 vcc_lo, s64, vcc_lo
	s_add_u32 vcc_lo, vcc_hi, vcc_lo
	s_addc_u32 vcc_hi, 0, s76
	s_mul_hi_u32 s76, vcc_lo, 0x7fffffff
	s_mul_i32 vcc_lo, vcc_lo, 0x7fffffff
	s_mul_i32 vcc_hi, vcc_hi, 0x7fffffff
	v_mov_b32_e32 v49, vcc_lo
	s_add_i32 s76, s76, vcc_hi
	v_sub_co_u32_e32 v49, vcc, s65, v49
	s_cmp_lg_u64 vcc, 0
	s_subb_u32 s64, s64, s76
	v_subrev_co_u32_e32 v52, vcc, s80, v49
	s_cmp_lg_u64 vcc, 0
	s_subb_u32 s65, s64, 0
	v_subrev_co_u32_e32 v53, vcc, s80, v52
	s_cmp_lg_u64 vcc, 0
	s_subb_u32 vcc_lo, s65, 0
	v_readfirstlane_b32 vcc_hi, v52
	s_cmp_gt_u32 vcc_hi, 0x7ffffffe
	s_cselect_b32 s76, -1, 0
	s_cmp_eq_u32 s65, 0
	s_cselect_b32 s76, s76, -1
	s_cmp_lg_u32 s76, 0
	s_cselect_b32 vcc_lo, vcc_lo, s65
	v_readfirstlane_b32 s65, v53
	s_cselect_b32 vcc_hi, s65, vcc_hi
	v_readfirstlane_b32 s65, v49
	s_cmp_gt_u32 s65, 0x7ffffffe
	s_cselect_b32 s76, -1, 0
	s_cmp_eq_u32 s64, 0
	s_cselect_b32 s76, s76, -1
	s_cmp_lg_u32 s76, 0
	v_lshrrev_b64 v[50:51], 1, v[4:5]
	s_cselect_b32 s77, vcc_lo, s64
	s_cselect_b32 s76, vcc_hi, s65
	v_cmp_gt_u64_e32 vcc, 2, v[4:5]
	s_or_b64 s[70:71], vcc, s[70:71]
	v_pk_mov_b32 v[4:5], v[50:51], v[50:51] op_sel:[0,1]
	s_andn2_b64 exec, exec, s[70:71]
	s_cbranch_execz .LBB29_1186
.LBB29_1184:                            ; =>This Inner Loop Header: Depth=1
	v_and_b32_e32 v49, 1, v4
	v_cmp_eq_u32_e32 vcc, 1, v49
	s_and_saveexec_b64 s[78:79], vcc
	s_cbranch_execz .LBB29_1183
; %bb.1185:                             ;   in Loop: Header=BB29_1184 Depth=1
	v_mul_lo_u32 v49, s77, v6
	v_mul_lo_u32 v50, s76, v7
	v_mad_u64_u32 v[6:7], vcc, s76, v6, 0
	s_add_u32 vcc_lo, 0x402, s82
	v_add3_u32 v7, v7, v50, v49
	s_addc_u32 s64, 0, 0
	v_add_co_u32_e32 v49, vcc, vcc_lo, v48
	s_cmp_lg_u64 vcc, 0
	v_readfirstlane_b32 vcc_hi, v49
	s_addc_u32 s64, s64, 1
	s_mul_hi_u32 s65, vcc_hi, 0x80000001
	s_mul_i32 vcc_lo, s64, 0x80000001
	s_sub_i32 s65, s65, vcc_hi
	s_add_i32 s65, s65, vcc_lo
	s_mul_i32 s84, vcc_hi, 0x80000001
	s_mul_hi_u32 vcc_lo, vcc_hi, s65
	s_mul_i32 s83, vcc_hi, s65
	s_mul_hi_u32 vcc_hi, vcc_hi, s84
	s_add_u32 vcc_hi, vcc_hi, s83
	s_addc_u32 vcc_lo, 0, vcc_lo
	s_mul_hi_u32 s85, s64, s84
	s_mul_i32 s84, s64, s84
	s_add_u32 vcc_hi, vcc_hi, s84
	s_mul_hi_u32 s83, s64, s65
	s_addc_u32 vcc_lo, vcc_lo, s85
	s_addc_u32 vcc_hi, s83, 0
	s_mul_i32 s65, s64, s65
	s_add_u32 vcc_lo, vcc_lo, s65
	s_addc_u32 s65, 0, vcc_hi
	v_add_co_u32_e32 v49, vcc, vcc_lo, v49
	s_cmp_lg_u64 vcc, 0
	s_addc_u32 s64, s64, s65
	v_mad_u64_u32 v[50:51], vcc, v6, s64, 0
	v_mul_hi_u32 v52, v6, v49
	v_add_co_u32_e32 v54, vcc, v52, v50
	v_addc_co_u32_e32 v55, vcc, 0, v51, vcc
	v_mad_u64_u32 v[50:51], vcc, v7, s64, 0
	v_mad_u64_u32 v[52:53], vcc, v7, v49, 0
	v_add_co_u32_e32 v49, vcc, v54, v52
	v_addc_co_u32_e32 v49, vcc, v55, v53, vcc
	v_addc_co_u32_e32 v51, vcc, 0, v51, vcc
	v_add_co_u32_e32 v49, vcc, v49, v50
	v_addc_co_u32_e32 v53, vcc, 0, v51, vcc
	v_mad_u64_u32 v[50:51], vcc, v49, s80, 0
	v_mov_b32_e32 v52, v51
	v_mad_u64_u32 v[52:53], vcc, v53, s80, v[52:53]
	v_sub_co_u32_e32 v6, vcc, v6, v50
	v_subb_co_u32_e32 v7, vcc, v7, v52, vcc
	v_subrev_co_u32_e32 v49, vcc, s80, v6
	v_subbrev_co_u32_e32 v50, vcc, 0, v7, vcc
	v_subrev_co_u32_e32 v51, vcc, s80, v49
	v_subbrev_co_u32_e32 v52, vcc, 0, v50, vcc
	v_cmp_lt_u32_e32 vcc, s81, v49
	v_cndmask_b32_e64 v53, 0, -1, vcc
	v_cmp_eq_u32_e32 vcc, 0, v50
	v_cndmask_b32_e32 v53, -1, v53, vcc
	v_cmp_ne_u32_e32 vcc, 0, v53
	v_cmp_lt_u32_e64 s[64:65], s81, v6
	v_cndmask_b32_e32 v50, v50, v52, vcc
	v_cndmask_b32_e64 v52, 0, -1, s[64:65]
	v_cmp_eq_u32_e64 s[64:65], 0, v7
	v_cndmask_b32_e64 v52, -1, v52, s[64:65]
	v_cmp_ne_u32_e64 s[64:65], 0, v52
	v_cndmask_b32_e32 v49, v49, v51, vcc
	v_cndmask_b32_e64 v7, v7, v50, s[64:65]
	v_cndmask_b32_e64 v6, v6, v49, s[64:65]
	s_branch .LBB29_1183
.LBB29_1186:
	s_or_b64 exec, exec, s[70:71]
	s_movk_i32 vcc_lo, 0x401
	s_add_u32 vcc_lo, 0x402, vcc_lo
	v_mov_b32_e32 v4, 0xfffff800
	s_addc_u32 s64, 0, 0
	v_add_co_u32_e32 v4, vcc, vcc_lo, v4
	s_cmp_lg_u64 vcc, 0
	v_readfirstlane_b32 vcc_hi, v4
	s_addc_u32 s64, s64, 1
	s_mul_hi_u32 s65, vcc_hi, 0x80000001
	s_mul_i32 vcc_lo, s64, 0x80000001
	s_sub_i32 s65, s65, vcc_hi
	s_add_i32 s65, s65, vcc_lo
	s_mul_i32 s71, vcc_hi, 0x80000001
	s_mul_hi_u32 vcc_lo, vcc_hi, s65
	s_mul_i32 s70, vcc_hi, s65
	s_mul_hi_u32 vcc_hi, vcc_hi, s71
	s_add_u32 vcc_hi, vcc_hi, s70
	s_addc_u32 vcc_lo, 0, vcc_lo
	s_mul_hi_u32 s76, s64, s71
	s_mul_i32 s71, s64, s71
	s_add_u32 vcc_hi, vcc_hi, s71
	s_mul_hi_u32 s70, s64, s65
	s_addc_u32 vcc_lo, vcc_lo, s76
	s_addc_u32 vcc_hi, s70, 0
	s_mul_i32 s65, s64, s65
	s_add_u32 vcc_lo, vcc_lo, s65
	s_addc_u32 s65, 0, vcc_hi
	v_add_co_u32_e32 v48, vcc, vcc_lo, v4
	s_cmp_lg_u64 vcc, 0
	s_addc_u32 s64, s64, s65
	v_mad_u64_u32 v[4:5], vcc, v6, s64, 0
	v_mul_hi_u32 v49, v6, v48
	v_add_co_u32_e32 v50, vcc, v49, v4
	v_addc_co_u32_e32 v51, vcc, 0, v5, vcc
	v_mad_u64_u32 v[4:5], vcc, v7, s64, 0
	v_mad_u64_u32 v[48:49], vcc, v7, v48, 0
	v_add_co_u32_e32 v48, vcc, v50, v48
	v_addc_co_u32_e32 v48, vcc, v51, v49, vcc
	v_addc_co_u32_e32 v5, vcc, 0, v5, vcc
	v_add_co_u32_e32 v4, vcc, v48, v4
	s_brev_b32 s64, -2
	v_addc_co_u32_e32 v49, vcc, 0, v5, vcc
	v_mad_u64_u32 v[4:5], vcc, v4, s64, 0
	v_mov_b32_e32 v48, v5
	v_mad_u64_u32 v[48:49], vcc, v49, s64, v[48:49]
	v_sub_co_u32_e32 v4, vcc, v6, v4
	v_subb_co_u32_e32 v5, vcc, v7, v48, vcc
	v_subrev_co_u32_e32 v6, vcc, 0x7fffffff, v4
	v_subbrev_co_u32_e32 v7, vcc, 0, v5, vcc
	s_mov_b32 s64, 0x7ffffffe
	v_cmp_lt_u32_e32 vcc, s64, v6
	v_cndmask_b32_e64 v48, 0, -1, vcc
	v_cmp_eq_u32_e32 vcc, 0, v7
	v_cndmask_b32_e32 v7, -1, v48, vcc
	v_add_u32_e32 v48, 0x80000001, v6
	v_cmp_ne_u32_e32 vcc, 0, v7
	v_cndmask_b32_e32 v6, v6, v48, vcc
	v_cmp_lt_u32_e32 vcc, s64, v4
	v_cndmask_b32_e64 v7, 0, -1, vcc
	v_cmp_eq_u32_e32 vcc, 0, v5
	v_cndmask_b32_e32 v5, -1, v7, vcc
	v_cmp_ne_u32_e32 vcc, 0, v5
	v_cndmask_b32_e32 v6, v4, v6, vcc
.LBB29_1187:
	s_or_b64 exec, exec, s[68:69]
	s_movk_i32 s68, 0x1388
	v_mov_b32_e32 v5, 0
	s_mov_b32 s69, 0xbc8f1391
	s_mov_b32 s70, 0xbc8f
	s_brev_b32 s71, 12
	s_mov_b32 s76, 0xf800000
	v_mov_b32_e32 v4, 0x260
.LBB29_1188:                            ; =>This Inner Loop Header: Depth=1
	v_mul_hi_u32 v7, v6, s69
	v_lshrrev_b32_e32 v7, 15, v7
	v_mul_u32_u24_e32 v49, 0xadc8, v7
	v_sub_u32_e32 v6, v6, v49
	v_mul_u32_u24_e32 v7, 0xd47, v7
	v_mul_lo_u32 v6, v6, s70
	v_xor_b32_e32 v49, 0x7fffffff, v7
	v_sub_u32_e32 v50, 0, v7
	v_cmp_lt_u32_e32 vcc, v6, v7
	v_cndmask_b32_e32 v7, v50, v49, vcc
	v_add_u32_e32 v6, v7, v6
	v_mul_hi_u32 v49, v6, s69
	v_lshrrev_b32_e32 v49, 15, v49
	v_mul_u32_u24_e32 v50, 0xadc8, v49
	v_add_u32_e32 v7, -1, v6
	v_sub_u32_e32 v6, v6, v50
	v_mul_u32_u24_e32 v49, 0xd47, v49
	v_mul_lo_u32 v6, v6, s70
	v_xor_b32_e32 v50, 0x7fffffff, v49
	v_sub_u32_e32 v51, 0, v49
	v_cmp_lt_u32_e32 vcc, v6, v49
	v_cndmask_b32_e32 v49, v51, v50, vcc
	v_add_u32_e32 v6, v49, v6
	v_mul_hi_u32 v50, v6, s69
	v_add_u32_e32 v49, -1, v6
	v_lshrrev_b32_e32 v50, 15, v50
	v_cvt_f32_u32_e32 v49, v49
	v_mul_u32_u24_e32 v51, 0xadc8, v50
	v_cvt_f32_u32_e32 v7, v7
	v_sub_u32_e32 v6, v6, v51
	v_mul_u32_u24_e32 v50, 0xd47, v50
	v_mul_lo_u32 v6, v6, s70
	v_xor_b32_e32 v51, 0x7fffffff, v50
	v_sub_u32_e32 v52, 0, v50
	v_cmp_lt_u32_e32 vcc, v6, v50
	v_fma_f32 v49, v49, s71, 0
	v_cndmask_b32_e32 v50, v52, v51, vcc
	v_fma_f32 v7, v7, s71, 0
	v_mul_f32_e32 v49, v49, v49
	v_add_u32_e32 v6, v50, v6
	v_fmac_f32_e32 v49, v7, v7
	v_mul_hi_u32 v50, v6, s69
	v_mul_f32_e32 v51, 0x4f800000, v49
	v_lshrrev_b32_e32 v50, 15, v50
	v_cmp_gt_f32_e32 vcc, s76, v49
	v_cndmask_b32_e32 v49, v49, v51, vcc
	v_mul_u32_u24_e32 v51, 0xadc8, v50
	v_add_u32_e32 v7, -1, v6
	v_sqrt_f32_e32 v52, v49
	v_sub_u32_e32 v6, v6, v51
	v_mul_u32_u24_e32 v50, 0xd47, v50
	v_mul_lo_u32 v6, v6, s70
	v_xor_b32_e32 v51, 0x7fffffff, v50
	v_sub_u32_e32 v53, 0, v50
	v_cmp_lt_u32_e64 s[64:65], v6, v50
	v_cndmask_b32_e64 v50, v53, v51, s[64:65]
	v_add_u32_e32 v6, v50, v6
	v_add_u32_e32 v50, -1, v52
	v_add_u32_e32 v51, 1, v52
	v_add_u32_e32 v53, -1, v6
	v_fma_f32 v54, -v50, v52, v49
	v_fma_f32 v55, -v51, v52, v49
	v_cvt_f32_u32_e32 v53, v53
	v_cmp_ge_f32_e64 s[64:65], 0, v54
	v_cvt_f32_u32_e32 v7, v7
	v_cndmask_b32_e64 v50, v52, v50, s[64:65]
	v_cmp_lt_f32_e64 s[64:65], 0, v55
	v_cndmask_b32_e64 v50, v50, v51, s[64:65]
	v_mul_f32_e32 v51, 0x37800000, v50
	v_cndmask_b32_e32 v50, v50, v51, vcc
	v_fma_f32 v51, v53, s71, 0
	v_cmp_class_f32_e32 vcc, v49, v4
	v_fma_f32 v7, v7, s71, 0
	v_cndmask_b32_e32 v49, v50, v49, vcc
	v_mul_f32_e32 v50, v51, v51
	v_add_f32_e32 v48, 1.0, v5
	v_cmp_nge_f32_e32 vcc, 1.0, v49
	v_fmac_f32_e32 v50, v7, v7
	v_cndmask_b32_e32 v5, v48, v5, vcc
	v_mul_f32_e32 v7, 0x4f800000, v50
	v_cmp_gt_f32_e32 vcc, s76, v50
	v_cndmask_b32_e32 v7, v50, v7, vcc
	v_sqrt_f32_e32 v49, v7
	s_add_i32 s68, s68, -2
	v_add_f32_e32 v48, 1.0, v5
	s_cmp_lg_u32 s68, 0
	v_add_u32_e32 v50, -1, v49
	v_add_u32_e32 v51, 1, v49
	v_fma_f32 v52, -v50, v49, v7
	v_fma_f32 v53, -v51, v49, v7
	v_cmp_ge_f32_e64 s[64:65], 0, v52
	v_cndmask_b32_e64 v49, v49, v50, s[64:65]
	v_cmp_lt_f32_e64 s[64:65], 0, v53
	v_cndmask_b32_e64 v49, v49, v51, s[64:65]
	v_mul_f32_e32 v50, 0x37800000, v49
	v_cndmask_b32_e32 v49, v49, v50, vcc
	v_cmp_class_f32_e32 vcc, v7, v4
	v_cndmask_b32_e32 v7, v49, v7, vcc
	v_cmp_nge_f32_e32 vcc, 1.0, v7
	v_cndmask_b32_e32 v5, v48, v5, vcc
	s_cbranch_scc1 .LBB29_1188
; %bb.1189:
	v_mul_f32_e32 v4, 4.0, v5
	s_mov_b32 s64, 0x459c4000
	v_div_scale_f32 v5, vcc, s64, s64, v4
	v_rcp_f32_e32 v6, v5
	v_fma_f32 v7, -v5, v6, 1.0
	v_fmac_f32_e32 v6, v7, v6
	v_div_scale_f32 v7, vcc, v4, s64, v4
	v_mul_f32_e32 v48, v7, v6
	v_fma_f32 v49, -v5, v48, v7
	v_fmac_f32_e32 v48, v49, v6
	v_fma_f32 v5, -v5, v48, v7
	v_div_fmas_f32 v5, v5, v6, v48
	v_div_fixup_f32 v48, v5, s64, v4
.LBB29_1190:
	s_or_b64 exec, exec, s[66:67]
	v_add_u32_e32 v4, 0xe80, v11
	v_cmp_lt_u32_e64 s[64:65], v4, v8
                                        ; implicit-def: $vgpr49
	s_and_saveexec_b64 s[68:69], s[64:65]
	s_cbranch_execz .LBB29_1200
; %bb.1191:
	v_add_u32_e32 v4, v9, v4
	s_movk_i32 vcc_lo, 0x1388
	v_mul_lo_u32 v4, v4, vcc_lo
	v_cmp_ne_u32_e32 vcc, 0, v4
	v_mov_b32_e32 v6, 1
	s_and_saveexec_b64 s[70:71], vcc
	s_cbranch_execz .LBB29_1197
; %bb.1192:
	v_mov_b32_e32 v6, 1
	v_mov_b32_e32 v5, 0
	s_mov_b64 s[78:79], 0xbc8f
	s_mov_b64 s[76:77], 0
	v_mov_b32_e32 v7, 0
	s_brev_b32 s82, -2
	s_mov_b32 s83, 0x7ffffffe
	v_mov_b32_e32 v49, 0xfffff800
	s_movk_i32 s84, 0x401
	s_branch .LBB29_1194
.LBB29_1193:                            ;   in Loop: Header=BB29_1194 Depth=1
	s_or_b64 exec, exec, s[80:81]
	s_mul_i32 vcc_lo, s78, s79
	s_mul_hi_u32 vcc_hi, s78, s78
	s_add_i32 vcc_hi, vcc_hi, vcc_lo
	s_add_i32 s66, vcc_hi, vcc_lo
	s_add_u32 vcc_lo, 0x402, s84
	s_mul_i32 s67, s78, s78
	s_addc_u32 s78, 0, 0
	v_add_co_u32_e32 v52, vcc, vcc_lo, v49
	s_cmp_lg_u64 vcc, 0
	v_readfirstlane_b32 vcc_hi, v52
	s_addc_u32 s78, s78, 1
	s_mul_hi_u32 s79, vcc_hi, 0x80000001
	s_mul_i32 vcc_lo, s78, 0x80000001
	s_sub_i32 s79, s79, vcc_hi
	s_add_i32 s79, s79, vcc_lo
	s_mul_i32 s81, vcc_hi, 0x80000001
	s_mul_hi_u32 vcc_lo, vcc_hi, s79
	s_mul_i32 s80, vcc_hi, s79
	s_mul_hi_u32 vcc_hi, vcc_hi, s81
	s_add_u32 vcc_hi, vcc_hi, s80
	s_addc_u32 vcc_lo, 0, vcc_lo
	s_mul_hi_u32 s85, s78, s81
	s_mul_i32 s81, s78, s81
	s_add_u32 vcc_hi, vcc_hi, s81
	s_mul_hi_u32 s80, s78, s79
	s_addc_u32 vcc_lo, vcc_lo, s85
	s_addc_u32 vcc_hi, s80, 0
	s_mul_i32 s79, s78, s79
	s_add_u32 vcc_lo, vcc_lo, s79
	s_addc_u32 s79, 0, vcc_hi
	v_add_co_u32_e32 v52, vcc, vcc_lo, v52
	s_cmp_lg_u64 vcc, 0
	s_addc_u32 vcc_lo, s78, s79
	v_readfirstlane_b32 s79, v52
	s_mul_i32 s78, s67, vcc_lo
	s_mul_hi_u32 s80, s67, s79
	s_mul_hi_u32 vcc_hi, s67, vcc_lo
	s_add_u32 s78, s80, s78
	s_addc_u32 vcc_hi, 0, vcc_hi
	s_mul_hi_u32 s81, s66, s79
	s_mul_i32 s79, s66, s79
	s_add_u32 s78, s78, s79
	s_mul_hi_u32 s80, s66, vcc_lo
	s_addc_u32 vcc_hi, vcc_hi, s81
	s_addc_u32 s78, s80, 0
	s_mul_i32 vcc_lo, s66, vcc_lo
	s_add_u32 vcc_lo, vcc_hi, vcc_lo
	s_addc_u32 vcc_hi, 0, s78
	s_mul_hi_u32 s78, vcc_lo, 0x7fffffff
	s_mul_i32 vcc_lo, vcc_lo, 0x7fffffff
	s_mul_i32 vcc_hi, vcc_hi, 0x7fffffff
	v_mov_b32_e32 v52, vcc_lo
	s_add_i32 s78, s78, vcc_hi
	v_sub_co_u32_e32 v52, vcc, s67, v52
	s_cmp_lg_u64 vcc, 0
	s_subb_u32 s66, s66, s78
	v_subrev_co_u32_e32 v53, vcc, s82, v52
	s_cmp_lg_u64 vcc, 0
	s_subb_u32 s67, s66, 0
	v_subrev_co_u32_e32 v54, vcc, s82, v53
	s_cmp_lg_u64 vcc, 0
	s_subb_u32 vcc_lo, s67, 0
	v_readfirstlane_b32 vcc_hi, v53
	s_cmp_gt_u32 vcc_hi, 0x7ffffffe
	s_cselect_b32 s78, -1, 0
	s_cmp_eq_u32 s67, 0
	s_cselect_b32 s78, s78, -1
	s_cmp_lg_u32 s78, 0
	s_cselect_b32 vcc_lo, vcc_lo, s67
	v_readfirstlane_b32 s67, v54
	s_cselect_b32 vcc_hi, s67, vcc_hi
	v_readfirstlane_b32 s67, v52
	s_cmp_gt_u32 s67, 0x7ffffffe
	s_cselect_b32 s78, -1, 0
	s_cmp_eq_u32 s66, 0
	s_cselect_b32 s78, s78, -1
	s_cmp_lg_u32 s78, 0
	v_lshrrev_b64 v[50:51], 1, v[4:5]
	s_cselect_b32 s79, vcc_lo, s66
	s_cselect_b32 s78, vcc_hi, s67
	v_cmp_gt_u64_e32 vcc, 2, v[4:5]
	s_or_b64 s[76:77], vcc, s[76:77]
	v_pk_mov_b32 v[4:5], v[50:51], v[50:51] op_sel:[0,1]
	s_andn2_b64 exec, exec, s[76:77]
	s_cbranch_execz .LBB29_1196
.LBB29_1194:                            ; =>This Inner Loop Header: Depth=1
	v_and_b32_e32 v50, 1, v4
	v_cmp_eq_u32_e32 vcc, 1, v50
	s_and_saveexec_b64 s[80:81], vcc
	s_cbranch_execz .LBB29_1193
; %bb.1195:                             ;   in Loop: Header=BB29_1194 Depth=1
	v_mul_lo_u32 v50, s79, v6
	v_mul_lo_u32 v51, s78, v7
	v_mad_u64_u32 v[6:7], vcc, s78, v6, 0
	s_add_u32 vcc_lo, 0x402, s84
	v_add3_u32 v7, v7, v51, v50
	s_addc_u32 s66, 0, 0
	v_add_co_u32_e32 v50, vcc, vcc_lo, v49
	s_cmp_lg_u64 vcc, 0
	v_readfirstlane_b32 vcc_hi, v50
	s_addc_u32 s66, s66, 1
	s_mul_hi_u32 s67, vcc_hi, 0x80000001
	s_mul_i32 vcc_lo, s66, 0x80000001
	s_sub_i32 s67, s67, vcc_hi
	s_add_i32 s67, s67, vcc_lo
	s_mul_i32 s86, vcc_hi, 0x80000001
	s_mul_hi_u32 vcc_lo, vcc_hi, s67
	s_mul_i32 s85, vcc_hi, s67
	s_mul_hi_u32 vcc_hi, vcc_hi, s86
	s_add_u32 vcc_hi, vcc_hi, s85
	s_addc_u32 vcc_lo, 0, vcc_lo
	s_mul_hi_u32 s87, s66, s86
	s_mul_i32 s86, s66, s86
	s_add_u32 vcc_hi, vcc_hi, s86
	s_mul_hi_u32 s85, s66, s67
	s_addc_u32 vcc_lo, vcc_lo, s87
	s_addc_u32 vcc_hi, s85, 0
	s_mul_i32 s67, s66, s67
	s_add_u32 vcc_lo, vcc_lo, s67
	s_addc_u32 s67, 0, vcc_hi
	v_add_co_u32_e32 v52, vcc, vcc_lo, v50
	s_cmp_lg_u64 vcc, 0
	s_addc_u32 s66, s66, s67
	v_mad_u64_u32 v[50:51], vcc, v6, s66, 0
	v_mul_hi_u32 v53, v6, v52
	v_add_co_u32_e32 v54, vcc, v53, v50
	v_addc_co_u32_e32 v55, vcc, 0, v51, vcc
	v_mad_u64_u32 v[50:51], vcc, v7, s66, 0
	v_mad_u64_u32 v[52:53], vcc, v7, v52, 0
	v_add_co_u32_e32 v52, vcc, v54, v52
	v_addc_co_u32_e32 v52, vcc, v55, v53, vcc
	v_addc_co_u32_e32 v51, vcc, 0, v51, vcc
	v_add_co_u32_e32 v50, vcc, v52, v50
	v_addc_co_u32_e32 v53, vcc, 0, v51, vcc
	v_mad_u64_u32 v[50:51], vcc, v50, s82, 0
	v_mov_b32_e32 v52, v51
	v_mad_u64_u32 v[52:53], vcc, v53, s82, v[52:53]
	v_sub_co_u32_e32 v6, vcc, v6, v50
	v_subb_co_u32_e32 v7, vcc, v7, v52, vcc
	v_subrev_co_u32_e32 v50, vcc, s82, v6
	v_subbrev_co_u32_e32 v51, vcc, 0, v7, vcc
	v_subrev_co_u32_e32 v52, vcc, s82, v50
	v_subbrev_co_u32_e32 v53, vcc, 0, v51, vcc
	v_cmp_lt_u32_e32 vcc, s83, v50
	v_cndmask_b32_e64 v54, 0, -1, vcc
	v_cmp_eq_u32_e32 vcc, 0, v51
	v_cndmask_b32_e32 v54, -1, v54, vcc
	v_cmp_ne_u32_e32 vcc, 0, v54
	v_cmp_lt_u32_e64 s[66:67], s83, v6
	v_cndmask_b32_e32 v51, v51, v53, vcc
	v_cndmask_b32_e64 v53, 0, -1, s[66:67]
	v_cmp_eq_u32_e64 s[66:67], 0, v7
	v_cndmask_b32_e64 v53, -1, v53, s[66:67]
	v_cmp_ne_u32_e64 s[66:67], 0, v53
	v_cndmask_b32_e32 v50, v50, v52, vcc
	v_cndmask_b32_e64 v7, v7, v51, s[66:67]
	v_cndmask_b32_e64 v6, v6, v50, s[66:67]
	s_branch .LBB29_1193
.LBB29_1196:
	s_or_b64 exec, exec, s[76:77]
	s_movk_i32 vcc_lo, 0x401
	s_add_u32 vcc_lo, 0x402, vcc_lo
	v_mov_b32_e32 v4, 0xfffff800
	s_addc_u32 s66, 0, 0
	v_add_co_u32_e32 v4, vcc, vcc_lo, v4
	s_cmp_lg_u64 vcc, 0
	v_readfirstlane_b32 vcc_hi, v4
	s_addc_u32 s66, s66, 1
	s_mul_hi_u32 s67, vcc_hi, 0x80000001
	s_mul_i32 vcc_lo, s66, 0x80000001
	s_sub_i32 s67, s67, vcc_hi
	s_add_i32 s67, s67, vcc_lo
	s_mul_i32 s77, vcc_hi, 0x80000001
	s_mul_hi_u32 vcc_lo, vcc_hi, s67
	s_mul_i32 s76, vcc_hi, s67
	s_mul_hi_u32 vcc_hi, vcc_hi, s77
	s_add_u32 vcc_hi, vcc_hi, s76
	s_addc_u32 vcc_lo, 0, vcc_lo
	s_mul_hi_u32 s78, s66, s77
	s_mul_i32 s77, s66, s77
	s_add_u32 vcc_hi, vcc_hi, s77
	s_mul_hi_u32 s76, s66, s67
	s_addc_u32 vcc_lo, vcc_lo, s78
	s_addc_u32 vcc_hi, s76, 0
	s_mul_i32 s67, s66, s67
	s_add_u32 vcc_lo, vcc_lo, s67
	s_addc_u32 s67, 0, vcc_hi
	v_add_co_u32_e32 v49, vcc, vcc_lo, v4
	s_cmp_lg_u64 vcc, 0
	s_addc_u32 s66, s66, s67
	v_mad_u64_u32 v[4:5], vcc, v6, s66, 0
	v_mul_hi_u32 v50, v6, v49
	v_add_co_u32_e32 v52, vcc, v50, v4
	v_addc_co_u32_e32 v53, vcc, 0, v5, vcc
	v_mad_u64_u32 v[4:5], vcc, v7, s66, 0
	v_mad_u64_u32 v[50:51], vcc, v7, v49, 0
	v_add_co_u32_e32 v49, vcc, v52, v50
	v_addc_co_u32_e32 v49, vcc, v53, v51, vcc
	v_addc_co_u32_e32 v5, vcc, 0, v5, vcc
	v_add_co_u32_e32 v4, vcc, v49, v4
	s_brev_b32 s66, -2
	v_addc_co_u32_e32 v49, vcc, 0, v5, vcc
	v_mad_u64_u32 v[4:5], vcc, v4, s66, 0
	v_mov_b32_e32 v50, v5
	v_mad_u64_u32 v[50:51], vcc, v49, s66, v[50:51]
	v_sub_co_u32_e32 v4, vcc, v6, v4
	v_subb_co_u32_e32 v5, vcc, v7, v50, vcc
	v_subrev_co_u32_e32 v6, vcc, 0x7fffffff, v4
	v_subbrev_co_u32_e32 v7, vcc, 0, v5, vcc
	s_mov_b32 s66, 0x7ffffffe
	v_cmp_lt_u32_e32 vcc, s66, v6
	v_cndmask_b32_e64 v49, 0, -1, vcc
	v_cmp_eq_u32_e32 vcc, 0, v7
	v_cndmask_b32_e32 v7, -1, v49, vcc
	v_add_u32_e32 v49, 0x80000001, v6
	v_cmp_ne_u32_e32 vcc, 0, v7
	v_cndmask_b32_e32 v6, v6, v49, vcc
	v_cmp_lt_u32_e32 vcc, s66, v4
	v_cndmask_b32_e64 v7, 0, -1, vcc
	v_cmp_eq_u32_e32 vcc, 0, v5
	v_cndmask_b32_e32 v5, -1, v7, vcc
	v_cmp_ne_u32_e32 vcc, 0, v5
	v_cndmask_b32_e32 v6, v4, v6, vcc
.LBB29_1197:
	s_or_b64 exec, exec, s[70:71]
	s_movk_i32 s70, 0x1388
	v_mov_b32_e32 v5, 0
	s_mov_b32 s71, 0xbc8f1391
	s_mov_b32 s76, 0xbc8f
	s_brev_b32 s77, 12
	s_mov_b32 s78, 0xf800000
	v_mov_b32_e32 v4, 0x260
.LBB29_1198:                            ; =>This Inner Loop Header: Depth=1
	v_mul_hi_u32 v7, v6, s71
	v_lshrrev_b32_e32 v7, 15, v7
	v_mul_u32_u24_e32 v50, 0xadc8, v7
	v_sub_u32_e32 v6, v6, v50
	v_mul_u32_u24_e32 v7, 0xd47, v7
	v_mul_lo_u32 v6, v6, s76
	v_xor_b32_e32 v50, 0x7fffffff, v7
	v_sub_u32_e32 v51, 0, v7
	v_cmp_lt_u32_e32 vcc, v6, v7
	v_cndmask_b32_e32 v7, v51, v50, vcc
	v_add_u32_e32 v6, v7, v6
	v_mul_hi_u32 v50, v6, s71
	v_lshrrev_b32_e32 v50, 15, v50
	v_mul_u32_u24_e32 v51, 0xadc8, v50
	v_add_u32_e32 v7, -1, v6
	v_sub_u32_e32 v6, v6, v51
	v_mul_u32_u24_e32 v50, 0xd47, v50
	v_mul_lo_u32 v6, v6, s76
	v_xor_b32_e32 v51, 0x7fffffff, v50
	v_sub_u32_e32 v52, 0, v50
	v_cmp_lt_u32_e32 vcc, v6, v50
	v_cndmask_b32_e32 v50, v52, v51, vcc
	v_add_u32_e32 v6, v50, v6
	v_mul_hi_u32 v51, v6, s71
	v_add_u32_e32 v50, -1, v6
	v_lshrrev_b32_e32 v51, 15, v51
	v_cvt_f32_u32_e32 v50, v50
	v_mul_u32_u24_e32 v52, 0xadc8, v51
	v_cvt_f32_u32_e32 v7, v7
	v_sub_u32_e32 v6, v6, v52
	v_mul_u32_u24_e32 v51, 0xd47, v51
	v_mul_lo_u32 v6, v6, s76
	v_xor_b32_e32 v52, 0x7fffffff, v51
	v_sub_u32_e32 v53, 0, v51
	v_cmp_lt_u32_e32 vcc, v6, v51
	v_fma_f32 v50, v50, s77, 0
	v_cndmask_b32_e32 v51, v53, v52, vcc
	v_fma_f32 v7, v7, s77, 0
	v_mul_f32_e32 v50, v50, v50
	v_add_u32_e32 v6, v51, v6
	v_fmac_f32_e32 v50, v7, v7
	v_mul_hi_u32 v51, v6, s71
	v_mul_f32_e32 v52, 0x4f800000, v50
	v_lshrrev_b32_e32 v51, 15, v51
	v_cmp_gt_f32_e32 vcc, s78, v50
	v_cndmask_b32_e32 v50, v50, v52, vcc
	v_mul_u32_u24_e32 v52, 0xadc8, v51
	v_add_u32_e32 v7, -1, v6
	v_sqrt_f32_e32 v53, v50
	v_sub_u32_e32 v6, v6, v52
	v_mul_u32_u24_e32 v51, 0xd47, v51
	v_mul_lo_u32 v6, v6, s76
	v_xor_b32_e32 v52, 0x7fffffff, v51
	v_sub_u32_e32 v54, 0, v51
	v_cmp_lt_u32_e64 s[66:67], v6, v51
	v_cndmask_b32_e64 v51, v54, v52, s[66:67]
	v_add_u32_e32 v6, v51, v6
	v_add_u32_e32 v51, -1, v53
	v_add_u32_e32 v52, 1, v53
	v_add_u32_e32 v54, -1, v6
	v_fma_f32 v55, -v51, v53, v50
	v_fma_f32 v64, -v52, v53, v50
	v_cvt_f32_u32_e32 v54, v54
	v_cmp_ge_f32_e64 s[66:67], 0, v55
	v_cvt_f32_u32_e32 v7, v7
	v_cndmask_b32_e64 v51, v53, v51, s[66:67]
	v_cmp_lt_f32_e64 s[66:67], 0, v64
	v_cndmask_b32_e64 v51, v51, v52, s[66:67]
	v_mul_f32_e32 v52, 0x37800000, v51
	v_cndmask_b32_e32 v51, v51, v52, vcc
	v_fma_f32 v52, v54, s77, 0
	v_cmp_class_f32_e32 vcc, v50, v4
	v_fma_f32 v7, v7, s77, 0
	v_cndmask_b32_e32 v50, v51, v50, vcc
	v_mul_f32_e32 v51, v52, v52
	v_add_f32_e32 v49, 1.0, v5
	v_cmp_nge_f32_e32 vcc, 1.0, v50
	v_fmac_f32_e32 v51, v7, v7
	v_cndmask_b32_e32 v5, v49, v5, vcc
	v_mul_f32_e32 v7, 0x4f800000, v51
	v_cmp_gt_f32_e32 vcc, s78, v51
	v_cndmask_b32_e32 v7, v51, v7, vcc
	v_sqrt_f32_e32 v50, v7
	s_add_i32 s70, s70, -2
	v_add_f32_e32 v49, 1.0, v5
	s_cmp_lg_u32 s70, 0
	v_add_u32_e32 v51, -1, v50
	v_add_u32_e32 v52, 1, v50
	v_fma_f32 v53, -v51, v50, v7
	v_fma_f32 v54, -v52, v50, v7
	v_cmp_ge_f32_e64 s[66:67], 0, v53
	v_cndmask_b32_e64 v50, v50, v51, s[66:67]
	v_cmp_lt_f32_e64 s[66:67], 0, v54
	v_cndmask_b32_e64 v50, v50, v52, s[66:67]
	v_mul_f32_e32 v51, 0x37800000, v50
	v_cndmask_b32_e32 v50, v50, v51, vcc
	v_cmp_class_f32_e32 vcc, v7, v4
	v_cndmask_b32_e32 v7, v50, v7, vcc
	v_cmp_nge_f32_e32 vcc, 1.0, v7
	v_cndmask_b32_e32 v5, v49, v5, vcc
	s_cbranch_scc1 .LBB29_1198
; %bb.1199:
	v_mul_f32_e32 v4, 4.0, v5
	s_mov_b32 s66, 0x459c4000
	v_div_scale_f32 v5, vcc, s66, s66, v4
	v_rcp_f32_e32 v6, v5
	v_fma_f32 v7, -v5, v6, 1.0
	v_fmac_f32_e32 v6, v7, v6
	v_div_scale_f32 v7, vcc, v4, s66, v4
	v_mul_f32_e32 v49, v7, v6
	v_fma_f32 v50, -v5, v49, v7
	v_fmac_f32_e32 v49, v50, v6
	v_fma_f32 v5, -v5, v49, v7
	v_div_fmas_f32 v5, v5, v6, v49
	v_div_fixup_f32 v49, v5, s66, v4
.LBB29_1200:
	s_or_b64 exec, exec, s[68:69]
	v_add_u32_e32 v4, 0xf00, v11
	v_cmp_lt_u32_e64 s[66:67], v4, v8
                                        ; implicit-def: $vgpr50
	s_and_saveexec_b64 s[70:71], s[66:67]
	s_cbranch_execz .LBB29_1210
; %bb.1201:
	v_add_u32_e32 v4, v9, v4
	s_movk_i32 vcc_lo, 0x1388
	v_mul_lo_u32 v4, v4, vcc_lo
	v_cmp_ne_u32_e32 vcc, 0, v4
	v_mov_b32_e32 v6, 1
	s_and_saveexec_b64 s[76:77], vcc
	s_cbranch_execz .LBB29_1207
; %bb.1202:
	v_mov_b32_e32 v6, 1
	v_mov_b32_e32 v5, 0
	s_mov_b64 s[80:81], 0xbc8f
	s_mov_b64 s[78:79], 0
	v_mov_b32_e32 v7, 0
	s_brev_b32 s84, -2
	s_mov_b32 s85, 0x7ffffffe
	v_mov_b32_e32 v50, 0xfffff800
	s_movk_i32 s86, 0x401
	s_branch .LBB29_1204
.LBB29_1203:                            ;   in Loop: Header=BB29_1204 Depth=1
	s_or_b64 exec, exec, s[82:83]
	s_mul_i32 vcc_lo, s80, s81
	s_mul_hi_u32 vcc_hi, s80, s80
	s_add_i32 vcc_hi, vcc_hi, vcc_lo
	s_add_i32 s68, vcc_hi, vcc_lo
	s_add_u32 vcc_lo, 0x402, s86
	s_mul_i32 s69, s80, s80
	s_addc_u32 s80, 0, 0
	v_add_co_u32_e32 v51, vcc, vcc_lo, v50
	s_cmp_lg_u64 vcc, 0
	v_readfirstlane_b32 vcc_hi, v51
	s_addc_u32 s80, s80, 1
	s_mul_hi_u32 s81, vcc_hi, 0x80000001
	s_mul_i32 vcc_lo, s80, 0x80000001
	s_sub_i32 s81, s81, vcc_hi
	s_add_i32 s81, s81, vcc_lo
	s_mul_i32 s83, vcc_hi, 0x80000001
	s_mul_hi_u32 vcc_lo, vcc_hi, s81
	s_mul_i32 s82, vcc_hi, s81
	s_mul_hi_u32 vcc_hi, vcc_hi, s83
	s_add_u32 vcc_hi, vcc_hi, s82
	s_addc_u32 vcc_lo, 0, vcc_lo
	s_mul_hi_u32 s87, s80, s83
	s_mul_i32 s83, s80, s83
	s_add_u32 vcc_hi, vcc_hi, s83
	s_mul_hi_u32 s82, s80, s81
	s_addc_u32 vcc_lo, vcc_lo, s87
	s_addc_u32 vcc_hi, s82, 0
	s_mul_i32 s81, s80, s81
	s_add_u32 vcc_lo, vcc_lo, s81
	s_addc_u32 s81, 0, vcc_hi
	v_add_co_u32_e32 v51, vcc, vcc_lo, v51
	s_cmp_lg_u64 vcc, 0
	s_addc_u32 vcc_lo, s80, s81
	v_readfirstlane_b32 s81, v51
	s_mul_i32 s80, s69, vcc_lo
	s_mul_hi_u32 s82, s69, s81
	s_mul_hi_u32 vcc_hi, s69, vcc_lo
	s_add_u32 s80, s82, s80
	s_addc_u32 vcc_hi, 0, vcc_hi
	s_mul_hi_u32 s83, s68, s81
	s_mul_i32 s81, s68, s81
	s_add_u32 s80, s80, s81
	s_mul_hi_u32 s82, s68, vcc_lo
	s_addc_u32 vcc_hi, vcc_hi, s83
	s_addc_u32 s80, s82, 0
	s_mul_i32 vcc_lo, s68, vcc_lo
	s_add_u32 vcc_lo, vcc_hi, vcc_lo
	s_addc_u32 vcc_hi, 0, s80
	s_mul_hi_u32 s80, vcc_lo, 0x7fffffff
	s_mul_i32 vcc_lo, vcc_lo, 0x7fffffff
	s_mul_i32 vcc_hi, vcc_hi, 0x7fffffff
	v_mov_b32_e32 v51, vcc_lo
	s_add_i32 s80, s80, vcc_hi
	v_sub_co_u32_e32 v51, vcc, s69, v51
	s_cmp_lg_u64 vcc, 0
	s_subb_u32 s68, s68, s80
	v_subrev_co_u32_e32 v54, vcc, s84, v51
	s_cmp_lg_u64 vcc, 0
	s_subb_u32 s69, s68, 0
	v_subrev_co_u32_e32 v55, vcc, s84, v54
	s_cmp_lg_u64 vcc, 0
	s_subb_u32 vcc_lo, s69, 0
	v_readfirstlane_b32 vcc_hi, v54
	s_cmp_gt_u32 vcc_hi, 0x7ffffffe
	s_cselect_b32 s80, -1, 0
	s_cmp_eq_u32 s69, 0
	s_cselect_b32 s80, s80, -1
	s_cmp_lg_u32 s80, 0
	s_cselect_b32 vcc_lo, vcc_lo, s69
	v_readfirstlane_b32 s69, v55
	s_cselect_b32 vcc_hi, s69, vcc_hi
	v_readfirstlane_b32 s69, v51
	s_cmp_gt_u32 s69, 0x7ffffffe
	s_cselect_b32 s80, -1, 0
	s_cmp_eq_u32 s68, 0
	s_cselect_b32 s80, s80, -1
	s_cmp_lg_u32 s80, 0
	v_lshrrev_b64 v[52:53], 1, v[4:5]
	s_cselect_b32 s81, vcc_lo, s68
	s_cselect_b32 s80, vcc_hi, s69
	v_cmp_gt_u64_e32 vcc, 2, v[4:5]
	s_or_b64 s[78:79], vcc, s[78:79]
	v_pk_mov_b32 v[4:5], v[52:53], v[52:53] op_sel:[0,1]
	s_andn2_b64 exec, exec, s[78:79]
	s_cbranch_execz .LBB29_1206
.LBB29_1204:                            ; =>This Inner Loop Header: Depth=1
	v_and_b32_e32 v51, 1, v4
	v_cmp_eq_u32_e32 vcc, 1, v51
	s_and_saveexec_b64 s[82:83], vcc
	s_cbranch_execz .LBB29_1203
; %bb.1205:                             ;   in Loop: Header=BB29_1204 Depth=1
	v_mul_lo_u32 v51, s81, v6
	v_mul_lo_u32 v52, s80, v7
	v_mad_u64_u32 v[6:7], vcc, s80, v6, 0
	s_add_u32 vcc_lo, 0x402, s86
	v_add3_u32 v7, v7, v52, v51
	s_addc_u32 s68, 0, 0
	v_add_co_u32_e32 v51, vcc, vcc_lo, v50
	s_cmp_lg_u64 vcc, 0
	v_readfirstlane_b32 vcc_hi, v51
	s_addc_u32 s68, s68, 1
	s_mul_hi_u32 s69, vcc_hi, 0x80000001
	s_mul_i32 vcc_lo, s68, 0x80000001
	s_sub_i32 s69, s69, vcc_hi
	s_add_i32 s69, s69, vcc_lo
	s_mul_i32 s88, vcc_hi, 0x80000001
	s_mul_hi_u32 vcc_lo, vcc_hi, s69
	s_mul_i32 s87, vcc_hi, s69
	s_mul_hi_u32 vcc_hi, vcc_hi, s88
	s_add_u32 vcc_hi, vcc_hi, s87
	s_addc_u32 vcc_lo, 0, vcc_lo
	s_mul_hi_u32 s89, s68, s88
	s_mul_i32 s88, s68, s88
	s_add_u32 vcc_hi, vcc_hi, s88
	s_mul_hi_u32 s87, s68, s69
	s_addc_u32 vcc_lo, vcc_lo, s89
	s_addc_u32 vcc_hi, s87, 0
	s_mul_i32 s69, s68, s69
	s_add_u32 vcc_lo, vcc_lo, s69
	s_addc_u32 s69, 0, vcc_hi
	v_add_co_u32_e32 v51, vcc, vcc_lo, v51
	s_cmp_lg_u64 vcc, 0
	s_addc_u32 s68, s68, s69
	v_mad_u64_u32 v[52:53], vcc, v6, s68, 0
	v_mul_hi_u32 v54, v6, v51
	v_add_co_u32_e32 v64, vcc, v54, v52
	v_addc_co_u32_e32 v65, vcc, 0, v53, vcc
	v_mad_u64_u32 v[52:53], vcc, v7, s68, 0
	v_mad_u64_u32 v[54:55], vcc, v7, v51, 0
	v_add_co_u32_e32 v51, vcc, v64, v54
	v_addc_co_u32_e32 v51, vcc, v65, v55, vcc
	v_addc_co_u32_e32 v53, vcc, 0, v53, vcc
	v_add_co_u32_e32 v51, vcc, v51, v52
	v_addc_co_u32_e32 v55, vcc, 0, v53, vcc
	v_mad_u64_u32 v[52:53], vcc, v51, s84, 0
	v_mov_b32_e32 v54, v53
	v_mad_u64_u32 v[54:55], vcc, v55, s84, v[54:55]
	v_sub_co_u32_e32 v6, vcc, v6, v52
	v_subb_co_u32_e32 v7, vcc, v7, v54, vcc
	v_subrev_co_u32_e32 v51, vcc, s84, v6
	v_subbrev_co_u32_e32 v52, vcc, 0, v7, vcc
	v_subrev_co_u32_e32 v53, vcc, s84, v51
	v_subbrev_co_u32_e32 v54, vcc, 0, v52, vcc
	v_cmp_lt_u32_e32 vcc, s85, v51
	v_cndmask_b32_e64 v55, 0, -1, vcc
	v_cmp_eq_u32_e32 vcc, 0, v52
	v_cndmask_b32_e32 v55, -1, v55, vcc
	v_cmp_ne_u32_e32 vcc, 0, v55
	v_cmp_lt_u32_e64 s[68:69], s85, v6
	v_cndmask_b32_e32 v52, v52, v54, vcc
	v_cndmask_b32_e64 v54, 0, -1, s[68:69]
	v_cmp_eq_u32_e64 s[68:69], 0, v7
	v_cndmask_b32_e64 v54, -1, v54, s[68:69]
	v_cmp_ne_u32_e64 s[68:69], 0, v54
	v_cndmask_b32_e32 v51, v51, v53, vcc
	v_cndmask_b32_e64 v7, v7, v52, s[68:69]
	v_cndmask_b32_e64 v6, v6, v51, s[68:69]
	s_branch .LBB29_1203
.LBB29_1206:
	s_or_b64 exec, exec, s[78:79]
	s_movk_i32 vcc_lo, 0x401
	s_add_u32 vcc_lo, 0x402, vcc_lo
	v_mov_b32_e32 v4, 0xfffff800
	s_addc_u32 s68, 0, 0
	v_add_co_u32_e32 v4, vcc, vcc_lo, v4
	s_cmp_lg_u64 vcc, 0
	v_readfirstlane_b32 vcc_hi, v4
	s_addc_u32 s68, s68, 1
	s_mul_hi_u32 s69, vcc_hi, 0x80000001
	s_mul_i32 vcc_lo, s68, 0x80000001
	s_sub_i32 s69, s69, vcc_hi
	s_add_i32 s69, s69, vcc_lo
	s_mul_i32 s79, vcc_hi, 0x80000001
	s_mul_hi_u32 vcc_lo, vcc_hi, s69
	s_mul_i32 s78, vcc_hi, s69
	s_mul_hi_u32 vcc_hi, vcc_hi, s79
	s_add_u32 vcc_hi, vcc_hi, s78
	s_addc_u32 vcc_lo, 0, vcc_lo
	s_mul_hi_u32 s80, s68, s79
	s_mul_i32 s79, s68, s79
	s_add_u32 vcc_hi, vcc_hi, s79
	s_mul_hi_u32 s78, s68, s69
	s_addc_u32 vcc_lo, vcc_lo, s80
	s_addc_u32 vcc_hi, s78, 0
	s_mul_i32 s69, s68, s69
	s_add_u32 vcc_lo, vcc_lo, s69
	s_addc_u32 s69, 0, vcc_hi
	v_add_co_u32_e32 v50, vcc, vcc_lo, v4
	s_cmp_lg_u64 vcc, 0
	s_addc_u32 s68, s68, s69
	v_mad_u64_u32 v[4:5], vcc, v6, s68, 0
	v_mul_hi_u32 v51, v6, v50
	v_add_co_u32_e32 v52, vcc, v51, v4
	v_addc_co_u32_e32 v53, vcc, 0, v5, vcc
	v_mad_u64_u32 v[4:5], vcc, v7, s68, 0
	v_mad_u64_u32 v[50:51], vcc, v7, v50, 0
	v_add_co_u32_e32 v50, vcc, v52, v50
	v_addc_co_u32_e32 v50, vcc, v53, v51, vcc
	v_addc_co_u32_e32 v5, vcc, 0, v5, vcc
	v_add_co_u32_e32 v4, vcc, v50, v4
	s_brev_b32 s68, -2
	v_addc_co_u32_e32 v51, vcc, 0, v5, vcc
	v_mad_u64_u32 v[4:5], vcc, v4, s68, 0
	v_mov_b32_e32 v50, v5
	v_mad_u64_u32 v[50:51], vcc, v51, s68, v[50:51]
	v_sub_co_u32_e32 v4, vcc, v6, v4
	v_subb_co_u32_e32 v5, vcc, v7, v50, vcc
	v_subrev_co_u32_e32 v6, vcc, 0x7fffffff, v4
	v_subbrev_co_u32_e32 v7, vcc, 0, v5, vcc
	s_mov_b32 s68, 0x7ffffffe
	v_cmp_lt_u32_e32 vcc, s68, v6
	v_cndmask_b32_e64 v50, 0, -1, vcc
	v_cmp_eq_u32_e32 vcc, 0, v7
	v_cndmask_b32_e32 v7, -1, v50, vcc
	v_add_u32_e32 v50, 0x80000001, v6
	v_cmp_ne_u32_e32 vcc, 0, v7
	v_cndmask_b32_e32 v6, v6, v50, vcc
	v_cmp_lt_u32_e32 vcc, s68, v4
	v_cndmask_b32_e64 v7, 0, -1, vcc
	v_cmp_eq_u32_e32 vcc, 0, v5
	v_cndmask_b32_e32 v5, -1, v7, vcc
	v_cmp_ne_u32_e32 vcc, 0, v5
	v_cndmask_b32_e32 v6, v4, v6, vcc
.LBB29_1207:
	s_or_b64 exec, exec, s[76:77]
	s_movk_i32 s76, 0x1388
	v_mov_b32_e32 v5, 0
	s_mov_b32 s77, 0xbc8f1391
	s_mov_b32 s78, 0xbc8f
	s_brev_b32 s79, 12
	s_mov_b32 s80, 0xf800000
	v_mov_b32_e32 v4, 0x260
.LBB29_1208:                            ; =>This Inner Loop Header: Depth=1
	v_mul_hi_u32 v7, v6, s77
	v_lshrrev_b32_e32 v7, 15, v7
	v_mul_u32_u24_e32 v51, 0xadc8, v7
	v_sub_u32_e32 v6, v6, v51
	v_mul_u32_u24_e32 v7, 0xd47, v7
	v_mul_lo_u32 v6, v6, s78
	v_xor_b32_e32 v51, 0x7fffffff, v7
	v_sub_u32_e32 v52, 0, v7
	v_cmp_lt_u32_e32 vcc, v6, v7
	v_cndmask_b32_e32 v7, v52, v51, vcc
	v_add_u32_e32 v6, v7, v6
	v_mul_hi_u32 v51, v6, s77
	v_lshrrev_b32_e32 v51, 15, v51
	v_mul_u32_u24_e32 v52, 0xadc8, v51
	v_add_u32_e32 v7, -1, v6
	v_sub_u32_e32 v6, v6, v52
	v_mul_u32_u24_e32 v51, 0xd47, v51
	v_mul_lo_u32 v6, v6, s78
	v_xor_b32_e32 v52, 0x7fffffff, v51
	v_sub_u32_e32 v53, 0, v51
	v_cmp_lt_u32_e32 vcc, v6, v51
	v_cndmask_b32_e32 v51, v53, v52, vcc
	v_add_u32_e32 v6, v51, v6
	v_mul_hi_u32 v52, v6, s77
	v_add_u32_e32 v51, -1, v6
	v_lshrrev_b32_e32 v52, 15, v52
	v_cvt_f32_u32_e32 v51, v51
	v_mul_u32_u24_e32 v53, 0xadc8, v52
	v_cvt_f32_u32_e32 v7, v7
	v_sub_u32_e32 v6, v6, v53
	v_mul_u32_u24_e32 v52, 0xd47, v52
	v_mul_lo_u32 v6, v6, s78
	v_xor_b32_e32 v53, 0x7fffffff, v52
	v_sub_u32_e32 v54, 0, v52
	v_cmp_lt_u32_e32 vcc, v6, v52
	v_fma_f32 v51, v51, s79, 0
	v_cndmask_b32_e32 v52, v54, v53, vcc
	v_fma_f32 v7, v7, s79, 0
	v_mul_f32_e32 v51, v51, v51
	v_add_u32_e32 v6, v52, v6
	v_fmac_f32_e32 v51, v7, v7
	v_mul_hi_u32 v52, v6, s77
	v_mul_f32_e32 v53, 0x4f800000, v51
	v_lshrrev_b32_e32 v52, 15, v52
	v_cmp_gt_f32_e32 vcc, s80, v51
	v_cndmask_b32_e32 v51, v51, v53, vcc
	v_mul_u32_u24_e32 v53, 0xadc8, v52
	v_add_u32_e32 v7, -1, v6
	v_sqrt_f32_e32 v54, v51
	v_sub_u32_e32 v6, v6, v53
	v_mul_u32_u24_e32 v52, 0xd47, v52
	v_mul_lo_u32 v6, v6, s78
	v_xor_b32_e32 v53, 0x7fffffff, v52
	v_sub_u32_e32 v55, 0, v52
	v_cmp_lt_u32_e64 s[68:69], v6, v52
	v_cndmask_b32_e64 v52, v55, v53, s[68:69]
	v_add_u32_e32 v6, v52, v6
	v_add_u32_e32 v52, -1, v54
	v_add_u32_e32 v53, 1, v54
	v_add_u32_e32 v55, -1, v6
	v_fma_f32 v64, -v52, v54, v51
	v_fma_f32 v65, -v53, v54, v51
	v_cvt_f32_u32_e32 v55, v55
	v_cmp_ge_f32_e64 s[68:69], 0, v64
	v_cvt_f32_u32_e32 v7, v7
	v_cndmask_b32_e64 v52, v54, v52, s[68:69]
	v_cmp_lt_f32_e64 s[68:69], 0, v65
	v_cndmask_b32_e64 v52, v52, v53, s[68:69]
	v_mul_f32_e32 v53, 0x37800000, v52
	v_cndmask_b32_e32 v52, v52, v53, vcc
	v_fma_f32 v53, v55, s79, 0
	v_cmp_class_f32_e32 vcc, v51, v4
	v_fma_f32 v7, v7, s79, 0
	v_cndmask_b32_e32 v51, v52, v51, vcc
	v_mul_f32_e32 v52, v53, v53
	v_add_f32_e32 v50, 1.0, v5
	v_cmp_nge_f32_e32 vcc, 1.0, v51
	v_fmac_f32_e32 v52, v7, v7
	v_cndmask_b32_e32 v5, v50, v5, vcc
	v_mul_f32_e32 v7, 0x4f800000, v52
	v_cmp_gt_f32_e32 vcc, s80, v52
	v_cndmask_b32_e32 v7, v52, v7, vcc
	v_sqrt_f32_e32 v51, v7
	s_add_i32 s76, s76, -2
	v_add_f32_e32 v50, 1.0, v5
	s_cmp_lg_u32 s76, 0
	v_add_u32_e32 v52, -1, v51
	v_add_u32_e32 v53, 1, v51
	v_fma_f32 v54, -v52, v51, v7
	v_fma_f32 v55, -v53, v51, v7
	v_cmp_ge_f32_e64 s[68:69], 0, v54
	v_cndmask_b32_e64 v51, v51, v52, s[68:69]
	v_cmp_lt_f32_e64 s[68:69], 0, v55
	v_cndmask_b32_e64 v51, v51, v53, s[68:69]
	v_mul_f32_e32 v52, 0x37800000, v51
	v_cndmask_b32_e32 v51, v51, v52, vcc
	v_cmp_class_f32_e32 vcc, v7, v4
	v_cndmask_b32_e32 v7, v51, v7, vcc
	v_cmp_nge_f32_e32 vcc, 1.0, v7
	v_cndmask_b32_e32 v5, v50, v5, vcc
	s_cbranch_scc1 .LBB29_1208
; %bb.1209:
	v_mul_f32_e32 v4, 4.0, v5
	s_mov_b32 s68, 0x459c4000
	v_div_scale_f32 v5, vcc, s68, s68, v4
	v_rcp_f32_e32 v6, v5
	v_fma_f32 v7, -v5, v6, 1.0
	v_fmac_f32_e32 v6, v7, v6
	v_div_scale_f32 v7, vcc, v4, s68, v4
	v_mul_f32_e32 v50, v7, v6
	v_fma_f32 v51, -v5, v50, v7
	v_fmac_f32_e32 v50, v51, v6
	v_fma_f32 v5, -v5, v50, v7
	v_div_fmas_f32 v5, v5, v6, v50
	v_div_fixup_f32 v50, v5, s68, v4
.LBB29_1210:
	s_or_b64 exec, exec, s[70:71]
	v_add_u32_e32 v5, 0xf80, v11
	v_cmp_lt_u32_e64 s[68:69], v5, v8
                                        ; implicit-def: $vgpr4
	s_and_saveexec_b64 s[76:77], s[68:69]
	s_cbranch_execz .LBB29_1220
; %bb.1211:
	v_add_u32_e32 v4, v9, v5
	s_movk_i32 vcc_lo, 0x1388
	v_mul_lo_u32 v4, v4, vcc_lo
	v_cmp_ne_u32_e32 vcc, 0, v4
	v_mov_b32_e32 v6, 1
	s_and_saveexec_b64 s[78:79], vcc
	s_cbranch_execz .LBB29_1217
; %bb.1212:
	v_mov_b32_e32 v6, 1
	v_mov_b32_e32 v5, 0
	s_mov_b64 s[82:83], 0xbc8f
	s_mov_b64 s[80:81], 0
	v_mov_b32_e32 v7, 0
	s_brev_b32 s86, -2
	s_mov_b32 s87, 0x7ffffffe
	v_mov_b32_e32 v9, 0xfffff800
	s_movk_i32 s88, 0x401
	s_branch .LBB29_1214
.LBB29_1213:                            ;   in Loop: Header=BB29_1214 Depth=1
	s_or_b64 exec, exec, s[84:85]
	s_mul_i32 vcc_lo, s82, s83
	s_mul_hi_u32 vcc_hi, s82, s82
	s_add_i32 vcc_hi, vcc_hi, vcc_lo
	s_add_i32 s70, vcc_hi, vcc_lo
	s_add_u32 vcc_lo, 0x402, s88
	s_mul_i32 s71, s82, s82
	s_addc_u32 s82, 0, 0
	v_add_co_u32_e32 v51, vcc, vcc_lo, v9
	s_cmp_lg_u64 vcc, 0
	v_readfirstlane_b32 vcc_hi, v51
	s_addc_u32 s82, s82, 1
	s_mul_hi_u32 s83, vcc_hi, 0x80000001
	s_mul_i32 vcc_lo, s82, 0x80000001
	s_sub_i32 s83, s83, vcc_hi
	s_add_i32 s83, s83, vcc_lo
	s_mul_i32 s85, vcc_hi, 0x80000001
	s_mul_hi_u32 vcc_lo, vcc_hi, s83
	s_mul_i32 s84, vcc_hi, s83
	s_mul_hi_u32 vcc_hi, vcc_hi, s85
	s_add_u32 vcc_hi, vcc_hi, s84
	s_addc_u32 vcc_lo, 0, vcc_lo
	s_mul_hi_u32 s89, s82, s85
	s_mul_i32 s85, s82, s85
	s_add_u32 vcc_hi, vcc_hi, s85
	s_mul_hi_u32 s84, s82, s83
	s_addc_u32 vcc_lo, vcc_lo, s89
	s_addc_u32 vcc_hi, s84, 0
	s_mul_i32 s83, s82, s83
	s_add_u32 vcc_lo, vcc_lo, s83
	s_addc_u32 s83, 0, vcc_hi
	v_add_co_u32_e32 v51, vcc, vcc_lo, v51
	s_cmp_lg_u64 vcc, 0
	s_addc_u32 vcc_lo, s82, s83
	v_readfirstlane_b32 s83, v51
	s_mul_i32 s82, s71, vcc_lo
	s_mul_hi_u32 s84, s71, s83
	s_mul_hi_u32 vcc_hi, s71, vcc_lo
	s_add_u32 s82, s84, s82
	s_addc_u32 vcc_hi, 0, vcc_hi
	s_mul_hi_u32 s85, s70, s83
	s_mul_i32 s83, s70, s83
	s_add_u32 s82, s82, s83
	s_mul_hi_u32 s84, s70, vcc_lo
	s_addc_u32 vcc_hi, vcc_hi, s85
	s_addc_u32 s82, s84, 0
	s_mul_i32 vcc_lo, s70, vcc_lo
	s_add_u32 vcc_lo, vcc_hi, vcc_lo
	s_addc_u32 vcc_hi, 0, s82
	s_mul_hi_u32 s82, vcc_lo, 0x7fffffff
	s_mul_i32 vcc_lo, vcc_lo, 0x7fffffff
	s_mul_i32 vcc_hi, vcc_hi, 0x7fffffff
	v_mov_b32_e32 v51, vcc_lo
	s_add_i32 s82, s82, vcc_hi
	v_sub_co_u32_e32 v51, vcc, s71, v51
	s_cmp_lg_u64 vcc, 0
	s_subb_u32 s70, s70, s82
	v_subrev_co_u32_e32 v54, vcc, s86, v51
	s_cmp_lg_u64 vcc, 0
	s_subb_u32 s71, s70, 0
	v_subrev_co_u32_e32 v55, vcc, s86, v54
	s_cmp_lg_u64 vcc, 0
	s_subb_u32 vcc_lo, s71, 0
	v_readfirstlane_b32 vcc_hi, v54
	s_cmp_gt_u32 vcc_hi, 0x7ffffffe
	s_cselect_b32 s82, -1, 0
	s_cmp_eq_u32 s71, 0
	s_cselect_b32 s82, s82, -1
	s_cmp_lg_u32 s82, 0
	s_cselect_b32 vcc_lo, vcc_lo, s71
	v_readfirstlane_b32 s71, v55
	s_cselect_b32 vcc_hi, s71, vcc_hi
	v_readfirstlane_b32 s71, v51
	s_cmp_gt_u32 s71, 0x7ffffffe
	s_cselect_b32 s82, -1, 0
	s_cmp_eq_u32 s70, 0
	s_cselect_b32 s82, s82, -1
	s_cmp_lg_u32 s82, 0
	v_lshrrev_b64 v[52:53], 1, v[4:5]
	s_cselect_b32 s83, vcc_lo, s70
	s_cselect_b32 s82, vcc_hi, s71
	v_cmp_gt_u64_e32 vcc, 2, v[4:5]
	s_or_b64 s[80:81], vcc, s[80:81]
	v_pk_mov_b32 v[4:5], v[52:53], v[52:53] op_sel:[0,1]
	s_andn2_b64 exec, exec, s[80:81]
	s_cbranch_execz .LBB29_1216
.LBB29_1214:                            ; =>This Inner Loop Header: Depth=1
	v_and_b32_e32 v51, 1, v4
	v_cmp_eq_u32_e32 vcc, 1, v51
	s_and_saveexec_b64 s[84:85], vcc
	s_cbranch_execz .LBB29_1213
; %bb.1215:                             ;   in Loop: Header=BB29_1214 Depth=1
	v_mul_lo_u32 v51, s83, v6
	v_mul_lo_u32 v52, s82, v7
	v_mad_u64_u32 v[6:7], vcc, s82, v6, 0
	s_add_u32 vcc_lo, 0x402, s88
	v_add3_u32 v7, v7, v52, v51
	s_addc_u32 s70, 0, 0
	v_add_co_u32_e32 v51, vcc, vcc_lo, v9
	s_cmp_lg_u64 vcc, 0
	v_readfirstlane_b32 vcc_hi, v51
	s_addc_u32 s70, s70, 1
	s_mul_hi_u32 s71, vcc_hi, 0x80000001
	s_mul_i32 vcc_lo, s70, 0x80000001
	s_sub_i32 s71, s71, vcc_hi
	s_add_i32 s71, s71, vcc_lo
	s_mul_i32 s90, vcc_hi, 0x80000001
	s_mul_hi_u32 vcc_lo, vcc_hi, s71
	s_mul_i32 s89, vcc_hi, s71
	s_mul_hi_u32 vcc_hi, vcc_hi, s90
	s_add_u32 vcc_hi, vcc_hi, s89
	s_addc_u32 vcc_lo, 0, vcc_lo
	s_mul_hi_u32 s91, s70, s90
	s_mul_i32 s90, s70, s90
	s_add_u32 vcc_hi, vcc_hi, s90
	s_mul_hi_u32 s89, s70, s71
	s_addc_u32 vcc_lo, vcc_lo, s91
	s_addc_u32 vcc_hi, s89, 0
	s_mul_i32 s71, s70, s71
	s_add_u32 vcc_lo, vcc_lo, s71
	s_addc_u32 s71, 0, vcc_hi
	v_add_co_u32_e32 v51, vcc, vcc_lo, v51
	s_cmp_lg_u64 vcc, 0
	s_addc_u32 s70, s70, s71
	v_mad_u64_u32 v[52:53], vcc, v6, s70, 0
	v_mul_hi_u32 v54, v6, v51
	v_add_co_u32_e32 v64, vcc, v54, v52
	v_addc_co_u32_e32 v65, vcc, 0, v53, vcc
	v_mad_u64_u32 v[52:53], vcc, v7, s70, 0
	v_mad_u64_u32 v[54:55], vcc, v7, v51, 0
	v_add_co_u32_e32 v51, vcc, v64, v54
	v_addc_co_u32_e32 v51, vcc, v65, v55, vcc
	v_addc_co_u32_e32 v53, vcc, 0, v53, vcc
	v_add_co_u32_e32 v51, vcc, v51, v52
	v_addc_co_u32_e32 v55, vcc, 0, v53, vcc
	v_mad_u64_u32 v[52:53], vcc, v51, s86, 0
	v_mov_b32_e32 v54, v53
	v_mad_u64_u32 v[54:55], vcc, v55, s86, v[54:55]
	v_sub_co_u32_e32 v6, vcc, v6, v52
	v_subb_co_u32_e32 v7, vcc, v7, v54, vcc
	v_subrev_co_u32_e32 v51, vcc, s86, v6
	v_subbrev_co_u32_e32 v52, vcc, 0, v7, vcc
	v_subrev_co_u32_e32 v53, vcc, s86, v51
	v_subbrev_co_u32_e32 v54, vcc, 0, v52, vcc
	v_cmp_lt_u32_e32 vcc, s87, v51
	v_cndmask_b32_e64 v55, 0, -1, vcc
	v_cmp_eq_u32_e32 vcc, 0, v52
	v_cndmask_b32_e32 v55, -1, v55, vcc
	v_cmp_ne_u32_e32 vcc, 0, v55
	v_cmp_lt_u32_e64 s[70:71], s87, v6
	v_cndmask_b32_e32 v52, v52, v54, vcc
	v_cndmask_b32_e64 v54, 0, -1, s[70:71]
	v_cmp_eq_u32_e64 s[70:71], 0, v7
	v_cndmask_b32_e64 v54, -1, v54, s[70:71]
	v_cmp_ne_u32_e64 s[70:71], 0, v54
	v_cndmask_b32_e32 v51, v51, v53, vcc
	v_cndmask_b32_e64 v7, v7, v52, s[70:71]
	v_cndmask_b32_e64 v6, v6, v51, s[70:71]
	s_branch .LBB29_1213
.LBB29_1216:
	s_or_b64 exec, exec, s[80:81]
	s_movk_i32 vcc_lo, 0x401
	s_add_u32 vcc_lo, 0x402, vcc_lo
	v_mov_b32_e32 v4, 0xfffff800
	s_addc_u32 s70, 0, 0
	v_add_co_u32_e32 v4, vcc, vcc_lo, v4
	s_cmp_lg_u64 vcc, 0
	v_readfirstlane_b32 vcc_hi, v4
	s_addc_u32 s70, s70, 1
	s_mul_hi_u32 s71, vcc_hi, 0x80000001
	s_mul_i32 vcc_lo, s70, 0x80000001
	s_sub_i32 s71, s71, vcc_hi
	s_add_i32 s71, s71, vcc_lo
	s_mul_i32 s81, vcc_hi, 0x80000001
	s_mul_hi_u32 vcc_lo, vcc_hi, s71
	s_mul_i32 s80, vcc_hi, s71
	s_mul_hi_u32 vcc_hi, vcc_hi, s81
	s_add_u32 vcc_hi, vcc_hi, s80
	s_addc_u32 vcc_lo, 0, vcc_lo
	s_mul_hi_u32 s82, s70, s81
	s_mul_i32 s81, s70, s81
	s_add_u32 vcc_hi, vcc_hi, s81
	s_mul_hi_u32 s80, s70, s71
	s_addc_u32 vcc_lo, vcc_lo, s82
	s_addc_u32 vcc_hi, s80, 0
	s_mul_i32 s71, s70, s71
	s_add_u32 vcc_lo, vcc_lo, s71
	s_addc_u32 s71, 0, vcc_hi
	v_add_co_u32_e32 v9, vcc, vcc_lo, v4
	s_cmp_lg_u64 vcc, 0
	s_addc_u32 s70, s70, s71
	v_mad_u64_u32 v[4:5], vcc, v6, s70, 0
	v_mul_hi_u32 v51, v6, v9
	v_add_co_u32_e32 v51, vcc, v51, v4
	v_addc_co_u32_e32 v54, vcc, 0, v5, vcc
	v_mad_u64_u32 v[4:5], vcc, v7, s70, 0
	v_mad_u64_u32 v[52:53], vcc, v7, v9, 0
	v_add_co_u32_e32 v9, vcc, v51, v52
	v_addc_co_u32_e32 v9, vcc, v54, v53, vcc
	v_addc_co_u32_e32 v5, vcc, 0, v5, vcc
	v_add_co_u32_e32 v4, vcc, v9, v4
	s_brev_b32 s70, -2
	v_addc_co_u32_e32 v9, vcc, 0, v5, vcc
	v_mad_u64_u32 v[4:5], vcc, v4, s70, 0
	v_mov_b32_e32 v52, v5
	v_mad_u64_u32 v[52:53], vcc, v9, s70, v[52:53]
	v_sub_co_u32_e32 v4, vcc, v6, v4
	v_subb_co_u32_e32 v5, vcc, v7, v52, vcc
	v_subrev_co_u32_e32 v6, vcc, 0x7fffffff, v4
	v_subbrev_co_u32_e32 v7, vcc, 0, v5, vcc
	s_mov_b32 s70, 0x7ffffffe
	v_cmp_lt_u32_e32 vcc, s70, v6
	v_cndmask_b32_e64 v9, 0, -1, vcc
	v_cmp_eq_u32_e32 vcc, 0, v7
	v_cndmask_b32_e32 v7, -1, v9, vcc
	v_add_u32_e32 v9, 0x80000001, v6
	v_cmp_ne_u32_e32 vcc, 0, v7
	v_cndmask_b32_e32 v6, v6, v9, vcc
	v_cmp_lt_u32_e32 vcc, s70, v4
	v_cndmask_b32_e64 v7, 0, -1, vcc
	v_cmp_eq_u32_e32 vcc, 0, v5
	v_cndmask_b32_e32 v5, -1, v7, vcc
	v_cmp_ne_u32_e32 vcc, 0, v5
	v_cndmask_b32_e32 v6, v4, v6, vcc
.LBB29_1217:
	s_or_b64 exec, exec, s[78:79]
	s_movk_i32 s78, 0x1388
	v_mov_b32_e32 v5, 0
	s_mov_b32 s79, 0xbc8f1391
	s_mov_b32 s80, 0xbc8f
	s_brev_b32 s81, 12
	s_mov_b32 s82, 0xf800000
	v_mov_b32_e32 v4, 0x260
.LBB29_1218:                            ; =>This Inner Loop Header: Depth=1
	v_mul_hi_u32 v7, v6, s79
	v_lshrrev_b32_e32 v7, 15, v7
	v_mul_u32_u24_e32 v51, 0xadc8, v7
	v_sub_u32_e32 v6, v6, v51
	v_mul_u32_u24_e32 v7, 0xd47, v7
	v_mul_lo_u32 v6, v6, s80
	v_xor_b32_e32 v51, 0x7fffffff, v7
	v_sub_u32_e32 v52, 0, v7
	v_cmp_lt_u32_e32 vcc, v6, v7
	v_cndmask_b32_e32 v7, v52, v51, vcc
	v_add_u32_e32 v6, v7, v6
	v_mul_hi_u32 v51, v6, s79
	v_lshrrev_b32_e32 v51, 15, v51
	v_mul_u32_u24_e32 v52, 0xadc8, v51
	v_add_u32_e32 v7, -1, v6
	v_sub_u32_e32 v6, v6, v52
	v_mul_u32_u24_e32 v51, 0xd47, v51
	v_mul_lo_u32 v6, v6, s80
	v_xor_b32_e32 v52, 0x7fffffff, v51
	v_sub_u32_e32 v53, 0, v51
	v_cmp_lt_u32_e32 vcc, v6, v51
	v_cndmask_b32_e32 v51, v53, v52, vcc
	v_add_u32_e32 v6, v51, v6
	v_mul_hi_u32 v52, v6, s79
	v_add_u32_e32 v51, -1, v6
	v_lshrrev_b32_e32 v52, 15, v52
	v_cvt_f32_u32_e32 v51, v51
	v_mul_u32_u24_e32 v53, 0xadc8, v52
	v_cvt_f32_u32_e32 v7, v7
	v_sub_u32_e32 v6, v6, v53
	v_mul_u32_u24_e32 v52, 0xd47, v52
	v_mul_lo_u32 v6, v6, s80
	v_xor_b32_e32 v53, 0x7fffffff, v52
	v_sub_u32_e32 v54, 0, v52
	v_cmp_lt_u32_e32 vcc, v6, v52
	v_fma_f32 v51, v51, s81, 0
	v_cndmask_b32_e32 v52, v54, v53, vcc
	v_fma_f32 v7, v7, s81, 0
	v_mul_f32_e32 v51, v51, v51
	v_add_u32_e32 v6, v52, v6
	v_fmac_f32_e32 v51, v7, v7
	v_mul_hi_u32 v52, v6, s79
	v_mul_f32_e32 v53, 0x4f800000, v51
	v_lshrrev_b32_e32 v52, 15, v52
	v_cmp_gt_f32_e32 vcc, s82, v51
	v_cndmask_b32_e32 v51, v51, v53, vcc
	v_mul_u32_u24_e32 v53, 0xadc8, v52
	v_add_u32_e32 v7, -1, v6
	v_sqrt_f32_e32 v54, v51
	v_sub_u32_e32 v6, v6, v53
	v_mul_u32_u24_e32 v52, 0xd47, v52
	v_mul_lo_u32 v6, v6, s80
	v_xor_b32_e32 v53, 0x7fffffff, v52
	v_sub_u32_e32 v55, 0, v52
	v_cmp_lt_u32_e64 s[70:71], v6, v52
	v_cndmask_b32_e64 v52, v55, v53, s[70:71]
	v_add_u32_e32 v6, v52, v6
	v_add_u32_e32 v52, -1, v54
	v_add_u32_e32 v53, 1, v54
	v_add_u32_e32 v55, -1, v6
	v_fma_f32 v64, -v52, v54, v51
	v_fma_f32 v65, -v53, v54, v51
	v_cvt_f32_u32_e32 v55, v55
	v_cmp_ge_f32_e64 s[70:71], 0, v64
	v_cvt_f32_u32_e32 v7, v7
	v_cndmask_b32_e64 v52, v54, v52, s[70:71]
	v_cmp_lt_f32_e64 s[70:71], 0, v65
	v_cndmask_b32_e64 v52, v52, v53, s[70:71]
	v_mul_f32_e32 v53, 0x37800000, v52
	v_cndmask_b32_e32 v52, v52, v53, vcc
	v_fma_f32 v53, v55, s81, 0
	v_cmp_class_f32_e32 vcc, v51, v4
	v_fma_f32 v7, v7, s81, 0
	v_cndmask_b32_e32 v51, v52, v51, vcc
	v_mul_f32_e32 v52, v53, v53
	v_add_f32_e32 v9, 1.0, v5
	v_cmp_nge_f32_e32 vcc, 1.0, v51
	v_fmac_f32_e32 v52, v7, v7
	v_cndmask_b32_e32 v5, v9, v5, vcc
	v_mul_f32_e32 v7, 0x4f800000, v52
	v_cmp_gt_f32_e32 vcc, s82, v52
	v_cndmask_b32_e32 v7, v52, v7, vcc
	v_sqrt_f32_e32 v51, v7
	s_add_i32 s78, s78, -2
	v_add_f32_e32 v9, 1.0, v5
	s_cmp_lg_u32 s78, 0
	v_add_u32_e32 v52, -1, v51
	v_add_u32_e32 v53, 1, v51
	v_fma_f32 v54, -v52, v51, v7
	v_fma_f32 v55, -v53, v51, v7
	v_cmp_ge_f32_e64 s[70:71], 0, v54
	v_cndmask_b32_e64 v51, v51, v52, s[70:71]
	v_cmp_lt_f32_e64 s[70:71], 0, v55
	v_cndmask_b32_e64 v51, v51, v53, s[70:71]
	v_mul_f32_e32 v52, 0x37800000, v51
	v_cndmask_b32_e32 v51, v51, v52, vcc
	v_cmp_class_f32_e32 vcc, v7, v4
	v_cndmask_b32_e32 v7, v51, v7, vcc
	v_cmp_nge_f32_e32 vcc, 1.0, v7
	v_cndmask_b32_e32 v5, v9, v5, vcc
	s_cbranch_scc1 .LBB29_1218
; %bb.1219:
	v_mul_f32_e32 v4, 4.0, v5
	s_mov_b32 s70, 0x459c4000
	v_div_scale_f32 v5, vcc, s70, s70, v4
	v_rcp_f32_e32 v6, v5
	v_fma_f32 v7, -v5, v6, 1.0
	v_fmac_f32_e32 v6, v7, v6
	v_div_scale_f32 v7, vcc, v4, s70, v4
	v_mul_f32_e32 v9, v7, v6
	v_fma_f32 v51, -v5, v9, v7
	v_fmac_f32_e32 v9, v51, v6
	v_fma_f32 v5, -v5, v9, v7
	v_div_fmas_f32 v5, v5, v6, v9
	v_div_fixup_f32 v4, v5, s70, v4
.LBB29_1220:
	s_or_b64 exec, exec, s[76:77]
	v_add_f32_e32 v5, v12, v13
	v_cndmask_b32_e64 v5, v12, v5, s[4:5]
	v_add_f32_e32 v6, v5, v14
	v_cndmask_b32_e64 v5, v5, v6, s[6:7]
	;; [unrolled: 2-line block ×31, first 2 shown]
	v_mbcnt_lo_u32_b32 v4, -1, 0
	v_mbcnt_hi_u32_b32 v4, -1, v4
	v_and_b32_e32 v7, 63, v4
	v_cmp_ne_u32_e32 vcc, 63, v7
	v_addc_co_u32_e32 v5, vcc, 0, v4, vcc
	v_lshlrev_b32_e32 v5, 2, v5
	ds_bpermute_b32 v9, v5, v6
	v_min_u32_e32 v5, 0x80, v8
	v_and_b32_e32 v8, 0x3c0, v11
	v_sub_u32_e64 v8, v5, v8 clamp
	v_add_u32_e32 v12, 1, v7
	v_cmp_gt_u32_e64 s[4:5], 62, v7
	v_cmp_lt_u32_e32 vcc, v12, v8
	v_cndmask_b32_e64 v12, 0, 1, s[4:5]
	s_waitcnt lgkmcnt(0)
	v_add_f32_e32 v9, v6, v9
	v_lshlrev_b32_e32 v12, 1, v12
	v_cndmask_b32_e32 v9, v6, v9, vcc
	v_add_lshl_u32 v12, v12, v4, 2
	ds_bpermute_b32 v12, v12, v9
	v_add_u32_e32 v13, 2, v7
	v_cmp_lt_u32_e64 s[4:5], v13, v8
	v_add_u32_e32 v13, 4, v7
	s_waitcnt lgkmcnt(0)
	v_add_f32_e32 v12, v9, v12
	v_cndmask_b32_e64 v9, v9, v12, s[4:5]
	v_cmp_gt_u32_e64 s[4:5], 60, v7
	v_cndmask_b32_e64 v12, 0, 1, s[4:5]
	v_lshlrev_b32_e32 v12, 2, v12
	v_add_lshl_u32 v12, v12, v4, 2
	ds_bpermute_b32 v12, v12, v9
	v_cmp_lt_u32_e64 s[4:5], v13, v8
	v_add_u32_e32 v13, 8, v7
	s_waitcnt lgkmcnt(0)
	v_add_f32_e32 v12, v9, v12
	v_cndmask_b32_e64 v9, v9, v12, s[4:5]
	v_cmp_gt_u32_e64 s[4:5], 56, v7
	v_cndmask_b32_e64 v12, 0, 1, s[4:5]
	v_lshlrev_b32_e32 v12, 3, v12
	v_add_lshl_u32 v12, v12, v4, 2
	ds_bpermute_b32 v12, v12, v9
	;; [unrolled: 10-line block ×3, first 2 shown]
	v_cmp_lt_u32_e64 s[4:5], v13, v8
	s_waitcnt lgkmcnt(0)
	v_add_f32_e32 v12, v9, v12
	v_cndmask_b32_e64 v9, v9, v12, s[4:5]
	v_cmp_gt_u32_e64 s[4:5], 32, v7
	v_cndmask_b32_e64 v12, 0, 1, s[4:5]
	v_lshlrev_b32_e32 v12, 5, v12
	v_add_lshl_u32 v12, v12, v4, 2
	ds_bpermute_b32 v12, v12, v9
	v_add_u32_e32 v7, 32, v7
	v_cmp_lt_u32_e64 s[4:5], v7, v8
	s_waitcnt lgkmcnt(0)
	v_add_f32_e32 v12, v9, v12
	v_cndmask_b32_e64 v7, v9, v12, s[4:5]
	v_cndmask_b32_e32 v6, v6, v7, vcc
	v_cmp_eq_u32_e32 vcc, 0, v4
	s_and_saveexec_b64 s[4:5], vcc
	s_cbranch_execz .LBB29_1222
; %bb.1221:
	v_lshrrev_b32_e32 v7, 4, v11
	v_and_b32_e32 v7, 60, v7
	ds_write_b32 v7, v6 offset:48
.LBB29_1222:
	s_or_b64 exec, exec, s[4:5]
	v_cmp_gt_u32_e32 vcc, 2, v11
	s_waitcnt lgkmcnt(0)
	s_barrier
	s_and_saveexec_b64 s[4:5], vcc
	s_cbranch_execz .LBB29_1224
; %bb.1223:
	v_lshlrev_b32_e32 v6, 2, v4
	ds_read_b32 v7, v6 offset:48
	v_or_b32_e32 v6, 4, v6
	v_add_u32_e32 v5, 63, v5
	v_and_b32_e32 v4, 1, v4
	v_lshrrev_b32_e32 v5, 6, v5
	s_waitcnt lgkmcnt(0)
	ds_bpermute_b32 v6, v6, v7
	v_add_u32_e32 v4, 1, v4
	v_cmp_lt_u32_e32 vcc, v4, v5
	s_waitcnt lgkmcnt(0)
	v_add_f32_e32 v6, v7, v6
	v_cndmask_b32_e32 v6, v7, v6, vcc
.LBB29_1224:
	s_or_b64 exec, exec, s[4:5]
	s_or_b64 exec, exec, s[74:75]
	v_cmp_eq_u32_e32 vcc, 0, v11
	s_and_b64 exec, exec, vcc
	s_cbranch_execz .LBB29_1233
; %bb.1243:
	s_getpc_b64 s[92:93]
.Lpost_getpc9:
	s_add_u32 s92, s92, (.LBB29_29-.Lpost_getpc9)&4294967295
	s_addc_u32 s93, s93, (.LBB29_29-.Lpost_getpc9)>>32
	s_setpc_b64 s[92:93]
.LBB29_1233:
	s_getpc_b64 s[92:93]
.Lpost_getpc4:
	s_add_u32 s92, s92, (.LBB29_30-.Lpost_getpc4)&4294967295
	s_addc_u32 s93, s93, (.LBB29_30-.Lpost_getpc4)>>32
	s_setpc_b64 s[92:93]
.Lfunc_end29:
	.size	_ZN7rocprim17ROCPRIM_400000_NS6detail18constexpr_for_implIZZNS1_11reduce_implILb1ENS0_14default_configEN6thrust23THRUST_200600_302600_NS11hip_rocprim26transform_input_iterator_tIfNS6_17counting_iteratorIiNS6_11use_defaultESA_SA_EE11estimate_piEEPffNS6_4plusIfEEEE10hipError_tPvRmT1_T2_T3_mT4_P12ihipStream_tbENUlT_E1_clINS1_13target_configIS4_NS1_22reduce_config_selectorIfEENS1_11comp_targetILNS1_3genE4ELNS1_11target_archE910ELNS1_3gpuE8ELNS1_3repE0EEELNS0_4arch9wavefront6targetE1EEEEEDaSQ_EUlSQ_E_TnDaLi0ETnDaLi1EJLm0ELm1ELm2ELm3ELm4ELm5EEEEvOSQ_St16integer_sequenceImJXspT2_EEE, .Lfunc_end29-_ZN7rocprim17ROCPRIM_400000_NS6detail18constexpr_for_implIZZNS1_11reduce_implILb1ENS0_14default_configEN6thrust23THRUST_200600_302600_NS11hip_rocprim26transform_input_iterator_tIfNS6_17counting_iteratorIiNS6_11use_defaultESA_SA_EE11estimate_piEEPffNS6_4plusIfEEEE10hipError_tPvRmT1_T2_T3_mT4_P12ihipStream_tbENUlT_E1_clINS1_13target_configIS4_NS1_22reduce_config_selectorIfEENS1_11comp_targetILNS1_3genE4ELNS1_11target_archE910ELNS1_3gpuE8ELNS1_3repE0EEELNS0_4arch9wavefront6targetE1EEEEEDaSQ_EUlSQ_E_TnDaLi0ETnDaLi1EJLm0ELm1ELm2ELm3ELm4ELm5EEEEvOSQ_St16integer_sequenceImJXspT2_EEE
                                        ; -- End function
	.section	.AMDGPU.csdata,"",@progbits
; Function info:
; codeLenInByte = 243160
; NumSgprs: 98
; NumVgprs: 66
; NumAgprs: 0
; TotalNumVgprs: 66
; ScratchSize: 8
; MemoryBound: 0
	.section	.text._ZN7rocprim17ROCPRIM_400000_NS6detail17trampoline_kernelINS0_14default_configENS1_22reduce_config_selectorIfEEZNS1_11reduce_implILb1ES3_N6thrust23THRUST_200600_302600_NS11hip_rocprim26transform_input_iterator_tIfNS8_17counting_iteratorIiNS8_11use_defaultESC_SC_EE11estimate_piEEPffNS8_4plusIfEEEE10hipError_tPvRmT1_T2_T3_mT4_P12ihipStream_tbEUlT_E1_NS1_11comp_targetILNS1_3genE4ELNS1_11target_archE910ELNS1_3gpuE8ELNS1_3repE0EEENS1_30default_config_static_selectorELNS0_4arch9wavefront6targetE1EEEvSM_,"axG",@progbits,_ZN7rocprim17ROCPRIM_400000_NS6detail17trampoline_kernelINS0_14default_configENS1_22reduce_config_selectorIfEEZNS1_11reduce_implILb1ES3_N6thrust23THRUST_200600_302600_NS11hip_rocprim26transform_input_iterator_tIfNS8_17counting_iteratorIiNS8_11use_defaultESC_SC_EE11estimate_piEEPffNS8_4plusIfEEEE10hipError_tPvRmT1_T2_T3_mT4_P12ihipStream_tbEUlT_E1_NS1_11comp_targetILNS1_3genE4ELNS1_11target_archE910ELNS1_3gpuE8ELNS1_3repE0EEENS1_30default_config_static_selectorELNS0_4arch9wavefront6targetE1EEEvSM_,comdat
	.protected	_ZN7rocprim17ROCPRIM_400000_NS6detail17trampoline_kernelINS0_14default_configENS1_22reduce_config_selectorIfEEZNS1_11reduce_implILb1ES3_N6thrust23THRUST_200600_302600_NS11hip_rocprim26transform_input_iterator_tIfNS8_17counting_iteratorIiNS8_11use_defaultESC_SC_EE11estimate_piEEPffNS8_4plusIfEEEE10hipError_tPvRmT1_T2_T3_mT4_P12ihipStream_tbEUlT_E1_NS1_11comp_targetILNS1_3genE4ELNS1_11target_archE910ELNS1_3gpuE8ELNS1_3repE0EEENS1_30default_config_static_selectorELNS0_4arch9wavefront6targetE1EEEvSM_ ; -- Begin function _ZN7rocprim17ROCPRIM_400000_NS6detail17trampoline_kernelINS0_14default_configENS1_22reduce_config_selectorIfEEZNS1_11reduce_implILb1ES3_N6thrust23THRUST_200600_302600_NS11hip_rocprim26transform_input_iterator_tIfNS8_17counting_iteratorIiNS8_11use_defaultESC_SC_EE11estimate_piEEPffNS8_4plusIfEEEE10hipError_tPvRmT1_T2_T3_mT4_P12ihipStream_tbEUlT_E1_NS1_11comp_targetILNS1_3genE4ELNS1_11target_archE910ELNS1_3gpuE8ELNS1_3repE0EEENS1_30default_config_static_selectorELNS0_4arch9wavefront6targetE1EEEvSM_
	.globl	_ZN7rocprim17ROCPRIM_400000_NS6detail17trampoline_kernelINS0_14default_configENS1_22reduce_config_selectorIfEEZNS1_11reduce_implILb1ES3_N6thrust23THRUST_200600_302600_NS11hip_rocprim26transform_input_iterator_tIfNS8_17counting_iteratorIiNS8_11use_defaultESC_SC_EE11estimate_piEEPffNS8_4plusIfEEEE10hipError_tPvRmT1_T2_T3_mT4_P12ihipStream_tbEUlT_E1_NS1_11comp_targetILNS1_3genE4ELNS1_11target_archE910ELNS1_3gpuE8ELNS1_3repE0EEENS1_30default_config_static_selectorELNS0_4arch9wavefront6targetE1EEEvSM_
	.p2align	8
	.type	_ZN7rocprim17ROCPRIM_400000_NS6detail17trampoline_kernelINS0_14default_configENS1_22reduce_config_selectorIfEEZNS1_11reduce_implILb1ES3_N6thrust23THRUST_200600_302600_NS11hip_rocprim26transform_input_iterator_tIfNS8_17counting_iteratorIiNS8_11use_defaultESC_SC_EE11estimate_piEEPffNS8_4plusIfEEEE10hipError_tPvRmT1_T2_T3_mT4_P12ihipStream_tbEUlT_E1_NS1_11comp_targetILNS1_3genE4ELNS1_11target_archE910ELNS1_3gpuE8ELNS1_3repE0EEENS1_30default_config_static_selectorELNS0_4arch9wavefront6targetE1EEEvSM_,@function
_ZN7rocprim17ROCPRIM_400000_NS6detail17trampoline_kernelINS0_14default_configENS1_22reduce_config_selectorIfEEZNS1_11reduce_implILb1ES3_N6thrust23THRUST_200600_302600_NS11hip_rocprim26transform_input_iterator_tIfNS8_17counting_iteratorIiNS8_11use_defaultESC_SC_EE11estimate_piEEPffNS8_4plusIfEEEE10hipError_tPvRmT1_T2_T3_mT4_P12ihipStream_tbEUlT_E1_NS1_11comp_targetILNS1_3genE4ELNS1_11target_archE910ELNS1_3gpuE8ELNS1_3repE0EEENS1_30default_config_static_selectorELNS0_4arch9wavefront6targetE1EEEvSM_: ; @_ZN7rocprim17ROCPRIM_400000_NS6detail17trampoline_kernelINS0_14default_configENS1_22reduce_config_selectorIfEEZNS1_11reduce_implILb1ES3_N6thrust23THRUST_200600_302600_NS11hip_rocprim26transform_input_iterator_tIfNS8_17counting_iteratorIiNS8_11use_defaultESC_SC_EE11estimate_piEEPffNS8_4plusIfEEEE10hipError_tPvRmT1_T2_T3_mT4_P12ihipStream_tbEUlT_E1_NS1_11comp_targetILNS1_3genE4ELNS1_11target_archE910ELNS1_3gpuE8ELNS1_3repE0EEENS1_30default_config_static_selectorELNS0_4arch9wavefront6targetE1EEEvSM_
; %bb.0:
	s_add_u32 flat_scratch_lo, s6, s9
	s_addc_u32 flat_scratch_hi, s7, 0
	s_load_dwordx2 s[6:7], s[4:5], 0x20
	s_load_dwordx8 s[16:23], s[4:5], 0x0
	s_add_u32 s0, s0, s9
	s_addc_u32 s1, s1, 0
	s_mov_b64 s[10:11], src_private_base
	s_waitcnt lgkmcnt(0)
	v_mov_b32_e32 v2, s6
	buffer_store_dword v2, off, s[0:3], 0 offset:80
	v_mov_b32_e32 v2, s7
	buffer_store_dword v2, off, s[0:3], 0 offset:84
	;; [unrolled: 2-line block ×8, first 2 shown]
	v_mov_b32_e32 v2, s21
	v_mov_b32_e32 v1, 48
	buffer_store_dword v2, off, s[0:3], 0 offset:68
	v_mov_b32_e32 v2, s20
	s_add_u32 s6, 48, 8
	buffer_store_dword v2, off, s[0:3], 0 offset:64
	v_or_b32_e32 v1, 4, v1
	v_mov_b32_e32 v2, s11
	s_addc_u32 s7, s11, 0
	buffer_store_dword v2, off, s[0:3], 0 offset:4
	buffer_store_dword v1, off, s[0:3], 0
	v_mov_b32_e32 v1, s7
	buffer_store_dword v1, off, s[0:3], 0 offset:12
	v_mov_b32_e32 v1, s6
	s_add_u32 s6, 48, 16
	s_addc_u32 s7, s11, 0
	buffer_store_dword v1, off, s[0:3], 0 offset:8
	v_mov_b32_e32 v1, s7
	buffer_store_dword v1, off, s[0:3], 0 offset:20
	v_mov_b32_e32 v1, s6
	s_add_u32 s6, 48, 24
	s_addc_u32 s7, s11, 0
	buffer_store_dword v1, off, s[0:3], 0 offset:16
	;; [unrolled: 6-line block ×4, first 2 shown]
	v_mov_b32_e32 v1, s7
	s_mov_b32 s12, s8
	buffer_store_dword v1, off, s[0:3], 0 offset:44
	v_mov_b32_e32 v1, s6
	s_add_u32 s8, s4, 40
	buffer_store_dword v1, off, s[0:3], 0 offset:40
	s_addc_u32 s9, s5, 0
	v_mov_b32_e32 v31, v0
	v_mov_b32_e32 v0, 0
	;; [unrolled: 1-line block ×3, first 2 shown]
	s_movk_i32 s32, 0x1800
	s_getpc_b64 s[4:5]
	s_add_u32 s4, s4, _ZN7rocprim17ROCPRIM_400000_NS6detail18constexpr_for_implIZZNS1_11reduce_implILb1ENS0_14default_configEN6thrust23THRUST_200600_302600_NS11hip_rocprim26transform_input_iterator_tIfNS6_17counting_iteratorIiNS6_11use_defaultESA_SA_EE11estimate_piEEPffNS6_4plusIfEEEE10hipError_tPvRmT1_T2_T3_mT4_P12ihipStream_tbENUlT_E1_clINS1_13target_configIS4_NS1_22reduce_config_selectorIfEENS1_11comp_targetILNS1_3genE4ELNS1_11target_archE910ELNS1_3gpuE8ELNS1_3repE0EEELNS0_4arch9wavefront6targetE1EEEEEDaSQ_EUlSQ_E_TnDaLi0ETnDaLi1EJLm0ELm1ELm2ELm3ELm4ELm5EEEEvOSQ_St16integer_sequenceImJXspT2_EEE@rel32@lo+4
	s_addc_u32 s5, s5, _ZN7rocprim17ROCPRIM_400000_NS6detail18constexpr_for_implIZZNS1_11reduce_implILb1ENS0_14default_configEN6thrust23THRUST_200600_302600_NS11hip_rocprim26transform_input_iterator_tIfNS6_17counting_iteratorIiNS6_11use_defaultESA_SA_EE11estimate_piEEPffNS6_4plusIfEEEE10hipError_tPvRmT1_T2_T3_mT4_P12ihipStream_tbENUlT_E1_clINS1_13target_configIS4_NS1_22reduce_config_selectorIfEENS1_11comp_targetILNS1_3genE4ELNS1_11target_archE910ELNS1_3gpuE8ELNS1_3repE0EEELNS0_4arch9wavefront6targetE1EEEEEDaSQ_EUlSQ_E_TnDaLi0ETnDaLi1EJLm0ELm1ELm2ELm3ELm4ELm5EEEEvOSQ_St16integer_sequenceImJXspT2_EEE@rel32@hi+12
	s_swappc_b64 s[30:31], s[4:5]
	s_endpgm
	.section	.rodata,"a",@progbits
	.p2align	6, 0x0
	.amdhsa_kernel _ZN7rocprim17ROCPRIM_400000_NS6detail17trampoline_kernelINS0_14default_configENS1_22reduce_config_selectorIfEEZNS1_11reduce_implILb1ES3_N6thrust23THRUST_200600_302600_NS11hip_rocprim26transform_input_iterator_tIfNS8_17counting_iteratorIiNS8_11use_defaultESC_SC_EE11estimate_piEEPffNS8_4plusIfEEEE10hipError_tPvRmT1_T2_T3_mT4_P12ihipStream_tbEUlT_E1_NS1_11comp_targetILNS1_3genE4ELNS1_11target_archE910ELNS1_3gpuE8ELNS1_3repE0EEENS1_30default_config_static_selectorELNS0_4arch9wavefront6targetE1EEEvSM_
		.amdhsa_group_segment_fixed_size 56
		.amdhsa_private_segment_fixed_size 104
		.amdhsa_kernarg_size 296
		.amdhsa_user_sgpr_count 8
		.amdhsa_user_sgpr_private_segment_buffer 1
		.amdhsa_user_sgpr_dispatch_ptr 0
		.amdhsa_user_sgpr_queue_ptr 0
		.amdhsa_user_sgpr_kernarg_segment_ptr 1
		.amdhsa_user_sgpr_dispatch_id 0
		.amdhsa_user_sgpr_flat_scratch_init 1
		.amdhsa_user_sgpr_kernarg_preload_length 0
		.amdhsa_user_sgpr_kernarg_preload_offset 0
		.amdhsa_user_sgpr_private_segment_size 0
		.amdhsa_uses_dynamic_stack 0
		.amdhsa_system_sgpr_private_segment_wavefront_offset 1
		.amdhsa_system_sgpr_workgroup_id_x 1
		.amdhsa_system_sgpr_workgroup_id_y 0
		.amdhsa_system_sgpr_workgroup_id_z 0
		.amdhsa_system_sgpr_workgroup_info 0
		.amdhsa_system_vgpr_workitem_id 0
		.amdhsa_next_free_vgpr 66
		.amdhsa_next_free_sgpr 94
		.amdhsa_accum_offset 68
		.amdhsa_reserve_vcc 1
		.amdhsa_reserve_flat_scratch 1
		.amdhsa_float_round_mode_32 0
		.amdhsa_float_round_mode_16_64 0
		.amdhsa_float_denorm_mode_32 3
		.amdhsa_float_denorm_mode_16_64 3
		.amdhsa_dx10_clamp 1
		.amdhsa_ieee_mode 1
		.amdhsa_fp16_overflow 0
		.amdhsa_tg_split 0
		.amdhsa_exception_fp_ieee_invalid_op 0
		.amdhsa_exception_fp_denorm_src 0
		.amdhsa_exception_fp_ieee_div_zero 0
		.amdhsa_exception_fp_ieee_overflow 0
		.amdhsa_exception_fp_ieee_underflow 0
		.amdhsa_exception_fp_ieee_inexact 0
		.amdhsa_exception_int_div_zero 0
	.end_amdhsa_kernel
	.section	.text._ZN7rocprim17ROCPRIM_400000_NS6detail17trampoline_kernelINS0_14default_configENS1_22reduce_config_selectorIfEEZNS1_11reduce_implILb1ES3_N6thrust23THRUST_200600_302600_NS11hip_rocprim26transform_input_iterator_tIfNS8_17counting_iteratorIiNS8_11use_defaultESC_SC_EE11estimate_piEEPffNS8_4plusIfEEEE10hipError_tPvRmT1_T2_T3_mT4_P12ihipStream_tbEUlT_E1_NS1_11comp_targetILNS1_3genE4ELNS1_11target_archE910ELNS1_3gpuE8ELNS1_3repE0EEENS1_30default_config_static_selectorELNS0_4arch9wavefront6targetE1EEEvSM_,"axG",@progbits,_ZN7rocprim17ROCPRIM_400000_NS6detail17trampoline_kernelINS0_14default_configENS1_22reduce_config_selectorIfEEZNS1_11reduce_implILb1ES3_N6thrust23THRUST_200600_302600_NS11hip_rocprim26transform_input_iterator_tIfNS8_17counting_iteratorIiNS8_11use_defaultESC_SC_EE11estimate_piEEPffNS8_4plusIfEEEE10hipError_tPvRmT1_T2_T3_mT4_P12ihipStream_tbEUlT_E1_NS1_11comp_targetILNS1_3genE4ELNS1_11target_archE910ELNS1_3gpuE8ELNS1_3repE0EEENS1_30default_config_static_selectorELNS0_4arch9wavefront6targetE1EEEvSM_,comdat
.Lfunc_end30:
	.size	_ZN7rocprim17ROCPRIM_400000_NS6detail17trampoline_kernelINS0_14default_configENS1_22reduce_config_selectorIfEEZNS1_11reduce_implILb1ES3_N6thrust23THRUST_200600_302600_NS11hip_rocprim26transform_input_iterator_tIfNS8_17counting_iteratorIiNS8_11use_defaultESC_SC_EE11estimate_piEEPffNS8_4plusIfEEEE10hipError_tPvRmT1_T2_T3_mT4_P12ihipStream_tbEUlT_E1_NS1_11comp_targetILNS1_3genE4ELNS1_11target_archE910ELNS1_3gpuE8ELNS1_3repE0EEENS1_30default_config_static_selectorELNS0_4arch9wavefront6targetE1EEEvSM_, .Lfunc_end30-_ZN7rocprim17ROCPRIM_400000_NS6detail17trampoline_kernelINS0_14default_configENS1_22reduce_config_selectorIfEEZNS1_11reduce_implILb1ES3_N6thrust23THRUST_200600_302600_NS11hip_rocprim26transform_input_iterator_tIfNS8_17counting_iteratorIiNS8_11use_defaultESC_SC_EE11estimate_piEEPffNS8_4plusIfEEEE10hipError_tPvRmT1_T2_T3_mT4_P12ihipStream_tbEUlT_E1_NS1_11comp_targetILNS1_3genE4ELNS1_11target_archE910ELNS1_3gpuE8ELNS1_3repE0EEENS1_30default_config_static_selectorELNS0_4arch9wavefront6targetE1EEEvSM_
                                        ; -- End function
	.section	.AMDGPU.csdata,"",@progbits
; Kernel info:
; codeLenInByte = 404
; NumSgprs: 100
; NumVgprs: 66
; NumAgprs: 0
; TotalNumVgprs: 66
; ScratchSize: 104
; MemoryBound: 0
; FloatMode: 240
; IeeeMode: 1
; LDSByteSize: 56 bytes/workgroup (compile time only)
; SGPRBlocks: 12
; VGPRBlocks: 8
; NumSGPRsForWavesPerEU: 100
; NumVGPRsForWavesPerEU: 66
; AccumOffset: 68
; Occupancy: 7
; WaveLimiterHint : 1
; COMPUTE_PGM_RSRC2:SCRATCH_EN: 1
; COMPUTE_PGM_RSRC2:USER_SGPR: 8
; COMPUTE_PGM_RSRC2:TRAP_HANDLER: 0
; COMPUTE_PGM_RSRC2:TGID_X_EN: 1
; COMPUTE_PGM_RSRC2:TGID_Y_EN: 0
; COMPUTE_PGM_RSRC2:TGID_Z_EN: 0
; COMPUTE_PGM_RSRC2:TIDIG_COMP_CNT: 0
; COMPUTE_PGM_RSRC3_GFX90A:ACCUM_OFFSET: 16
; COMPUTE_PGM_RSRC3_GFX90A:TG_SPLIT: 0
	.section	.text._ZN7rocprim17ROCPRIM_400000_NS6detail17trampoline_kernelINS0_14default_configENS1_22reduce_config_selectorIfEEZNS1_11reduce_implILb1ES3_N6thrust23THRUST_200600_302600_NS11hip_rocprim26transform_input_iterator_tIfNS8_17counting_iteratorIiNS8_11use_defaultESC_SC_EE11estimate_piEEPffNS8_4plusIfEEEE10hipError_tPvRmT1_T2_T3_mT4_P12ihipStream_tbEUlT_E1_NS1_11comp_targetILNS1_3genE3ELNS1_11target_archE908ELNS1_3gpuE7ELNS1_3repE0EEENS1_30default_config_static_selectorELNS0_4arch9wavefront6targetE1EEEvSM_,"axG",@progbits,_ZN7rocprim17ROCPRIM_400000_NS6detail17trampoline_kernelINS0_14default_configENS1_22reduce_config_selectorIfEEZNS1_11reduce_implILb1ES3_N6thrust23THRUST_200600_302600_NS11hip_rocprim26transform_input_iterator_tIfNS8_17counting_iteratorIiNS8_11use_defaultESC_SC_EE11estimate_piEEPffNS8_4plusIfEEEE10hipError_tPvRmT1_T2_T3_mT4_P12ihipStream_tbEUlT_E1_NS1_11comp_targetILNS1_3genE3ELNS1_11target_archE908ELNS1_3gpuE7ELNS1_3repE0EEENS1_30default_config_static_selectorELNS0_4arch9wavefront6targetE1EEEvSM_,comdat
	.protected	_ZN7rocprim17ROCPRIM_400000_NS6detail17trampoline_kernelINS0_14default_configENS1_22reduce_config_selectorIfEEZNS1_11reduce_implILb1ES3_N6thrust23THRUST_200600_302600_NS11hip_rocprim26transform_input_iterator_tIfNS8_17counting_iteratorIiNS8_11use_defaultESC_SC_EE11estimate_piEEPffNS8_4plusIfEEEE10hipError_tPvRmT1_T2_T3_mT4_P12ihipStream_tbEUlT_E1_NS1_11comp_targetILNS1_3genE3ELNS1_11target_archE908ELNS1_3gpuE7ELNS1_3repE0EEENS1_30default_config_static_selectorELNS0_4arch9wavefront6targetE1EEEvSM_ ; -- Begin function _ZN7rocprim17ROCPRIM_400000_NS6detail17trampoline_kernelINS0_14default_configENS1_22reduce_config_selectorIfEEZNS1_11reduce_implILb1ES3_N6thrust23THRUST_200600_302600_NS11hip_rocprim26transform_input_iterator_tIfNS8_17counting_iteratorIiNS8_11use_defaultESC_SC_EE11estimate_piEEPffNS8_4plusIfEEEE10hipError_tPvRmT1_T2_T3_mT4_P12ihipStream_tbEUlT_E1_NS1_11comp_targetILNS1_3genE3ELNS1_11target_archE908ELNS1_3gpuE7ELNS1_3repE0EEENS1_30default_config_static_selectorELNS0_4arch9wavefront6targetE1EEEvSM_
	.globl	_ZN7rocprim17ROCPRIM_400000_NS6detail17trampoline_kernelINS0_14default_configENS1_22reduce_config_selectorIfEEZNS1_11reduce_implILb1ES3_N6thrust23THRUST_200600_302600_NS11hip_rocprim26transform_input_iterator_tIfNS8_17counting_iteratorIiNS8_11use_defaultESC_SC_EE11estimate_piEEPffNS8_4plusIfEEEE10hipError_tPvRmT1_T2_T3_mT4_P12ihipStream_tbEUlT_E1_NS1_11comp_targetILNS1_3genE3ELNS1_11target_archE908ELNS1_3gpuE7ELNS1_3repE0EEENS1_30default_config_static_selectorELNS0_4arch9wavefront6targetE1EEEvSM_
	.p2align	8
	.type	_ZN7rocprim17ROCPRIM_400000_NS6detail17trampoline_kernelINS0_14default_configENS1_22reduce_config_selectorIfEEZNS1_11reduce_implILb1ES3_N6thrust23THRUST_200600_302600_NS11hip_rocprim26transform_input_iterator_tIfNS8_17counting_iteratorIiNS8_11use_defaultESC_SC_EE11estimate_piEEPffNS8_4plusIfEEEE10hipError_tPvRmT1_T2_T3_mT4_P12ihipStream_tbEUlT_E1_NS1_11comp_targetILNS1_3genE3ELNS1_11target_archE908ELNS1_3gpuE7ELNS1_3repE0EEENS1_30default_config_static_selectorELNS0_4arch9wavefront6targetE1EEEvSM_,@function
_ZN7rocprim17ROCPRIM_400000_NS6detail17trampoline_kernelINS0_14default_configENS1_22reduce_config_selectorIfEEZNS1_11reduce_implILb1ES3_N6thrust23THRUST_200600_302600_NS11hip_rocprim26transform_input_iterator_tIfNS8_17counting_iteratorIiNS8_11use_defaultESC_SC_EE11estimate_piEEPffNS8_4plusIfEEEE10hipError_tPvRmT1_T2_T3_mT4_P12ihipStream_tbEUlT_E1_NS1_11comp_targetILNS1_3genE3ELNS1_11target_archE908ELNS1_3gpuE7ELNS1_3repE0EEENS1_30default_config_static_selectorELNS0_4arch9wavefront6targetE1EEEvSM_: ; @_ZN7rocprim17ROCPRIM_400000_NS6detail17trampoline_kernelINS0_14default_configENS1_22reduce_config_selectorIfEEZNS1_11reduce_implILb1ES3_N6thrust23THRUST_200600_302600_NS11hip_rocprim26transform_input_iterator_tIfNS8_17counting_iteratorIiNS8_11use_defaultESC_SC_EE11estimate_piEEPffNS8_4plusIfEEEE10hipError_tPvRmT1_T2_T3_mT4_P12ihipStream_tbEUlT_E1_NS1_11comp_targetILNS1_3genE3ELNS1_11target_archE908ELNS1_3gpuE7ELNS1_3repE0EEENS1_30default_config_static_selectorELNS0_4arch9wavefront6targetE1EEEvSM_
; %bb.0:
	.section	.rodata,"a",@progbits
	.p2align	6, 0x0
	.amdhsa_kernel _ZN7rocprim17ROCPRIM_400000_NS6detail17trampoline_kernelINS0_14default_configENS1_22reduce_config_selectorIfEEZNS1_11reduce_implILb1ES3_N6thrust23THRUST_200600_302600_NS11hip_rocprim26transform_input_iterator_tIfNS8_17counting_iteratorIiNS8_11use_defaultESC_SC_EE11estimate_piEEPffNS8_4plusIfEEEE10hipError_tPvRmT1_T2_T3_mT4_P12ihipStream_tbEUlT_E1_NS1_11comp_targetILNS1_3genE3ELNS1_11target_archE908ELNS1_3gpuE7ELNS1_3repE0EEENS1_30default_config_static_selectorELNS0_4arch9wavefront6targetE1EEEvSM_
		.amdhsa_group_segment_fixed_size 0
		.amdhsa_private_segment_fixed_size 0
		.amdhsa_kernarg_size 40
		.amdhsa_user_sgpr_count 6
		.amdhsa_user_sgpr_private_segment_buffer 1
		.amdhsa_user_sgpr_dispatch_ptr 0
		.amdhsa_user_sgpr_queue_ptr 0
		.amdhsa_user_sgpr_kernarg_segment_ptr 1
		.amdhsa_user_sgpr_dispatch_id 0
		.amdhsa_user_sgpr_flat_scratch_init 0
		.amdhsa_user_sgpr_kernarg_preload_length 0
		.amdhsa_user_sgpr_kernarg_preload_offset 0
		.amdhsa_user_sgpr_private_segment_size 0
		.amdhsa_uses_dynamic_stack 0
		.amdhsa_system_sgpr_private_segment_wavefront_offset 0
		.amdhsa_system_sgpr_workgroup_id_x 1
		.amdhsa_system_sgpr_workgroup_id_y 0
		.amdhsa_system_sgpr_workgroup_id_z 0
		.amdhsa_system_sgpr_workgroup_info 0
		.amdhsa_system_vgpr_workitem_id 0
		.amdhsa_next_free_vgpr 1
		.amdhsa_next_free_sgpr 0
		.amdhsa_accum_offset 4
		.amdhsa_reserve_vcc 0
		.amdhsa_reserve_flat_scratch 0
		.amdhsa_float_round_mode_32 0
		.amdhsa_float_round_mode_16_64 0
		.amdhsa_float_denorm_mode_32 3
		.amdhsa_float_denorm_mode_16_64 3
		.amdhsa_dx10_clamp 1
		.amdhsa_ieee_mode 1
		.amdhsa_fp16_overflow 0
		.amdhsa_tg_split 0
		.amdhsa_exception_fp_ieee_invalid_op 0
		.amdhsa_exception_fp_denorm_src 0
		.amdhsa_exception_fp_ieee_div_zero 0
		.amdhsa_exception_fp_ieee_overflow 0
		.amdhsa_exception_fp_ieee_underflow 0
		.amdhsa_exception_fp_ieee_inexact 0
		.amdhsa_exception_int_div_zero 0
	.end_amdhsa_kernel
	.section	.text._ZN7rocprim17ROCPRIM_400000_NS6detail17trampoline_kernelINS0_14default_configENS1_22reduce_config_selectorIfEEZNS1_11reduce_implILb1ES3_N6thrust23THRUST_200600_302600_NS11hip_rocprim26transform_input_iterator_tIfNS8_17counting_iteratorIiNS8_11use_defaultESC_SC_EE11estimate_piEEPffNS8_4plusIfEEEE10hipError_tPvRmT1_T2_T3_mT4_P12ihipStream_tbEUlT_E1_NS1_11comp_targetILNS1_3genE3ELNS1_11target_archE908ELNS1_3gpuE7ELNS1_3repE0EEENS1_30default_config_static_selectorELNS0_4arch9wavefront6targetE1EEEvSM_,"axG",@progbits,_ZN7rocprim17ROCPRIM_400000_NS6detail17trampoline_kernelINS0_14default_configENS1_22reduce_config_selectorIfEEZNS1_11reduce_implILb1ES3_N6thrust23THRUST_200600_302600_NS11hip_rocprim26transform_input_iterator_tIfNS8_17counting_iteratorIiNS8_11use_defaultESC_SC_EE11estimate_piEEPffNS8_4plusIfEEEE10hipError_tPvRmT1_T2_T3_mT4_P12ihipStream_tbEUlT_E1_NS1_11comp_targetILNS1_3genE3ELNS1_11target_archE908ELNS1_3gpuE7ELNS1_3repE0EEENS1_30default_config_static_selectorELNS0_4arch9wavefront6targetE1EEEvSM_,comdat
.Lfunc_end31:
	.size	_ZN7rocprim17ROCPRIM_400000_NS6detail17trampoline_kernelINS0_14default_configENS1_22reduce_config_selectorIfEEZNS1_11reduce_implILb1ES3_N6thrust23THRUST_200600_302600_NS11hip_rocprim26transform_input_iterator_tIfNS8_17counting_iteratorIiNS8_11use_defaultESC_SC_EE11estimate_piEEPffNS8_4plusIfEEEE10hipError_tPvRmT1_T2_T3_mT4_P12ihipStream_tbEUlT_E1_NS1_11comp_targetILNS1_3genE3ELNS1_11target_archE908ELNS1_3gpuE7ELNS1_3repE0EEENS1_30default_config_static_selectorELNS0_4arch9wavefront6targetE1EEEvSM_, .Lfunc_end31-_ZN7rocprim17ROCPRIM_400000_NS6detail17trampoline_kernelINS0_14default_configENS1_22reduce_config_selectorIfEEZNS1_11reduce_implILb1ES3_N6thrust23THRUST_200600_302600_NS11hip_rocprim26transform_input_iterator_tIfNS8_17counting_iteratorIiNS8_11use_defaultESC_SC_EE11estimate_piEEPffNS8_4plusIfEEEE10hipError_tPvRmT1_T2_T3_mT4_P12ihipStream_tbEUlT_E1_NS1_11comp_targetILNS1_3genE3ELNS1_11target_archE908ELNS1_3gpuE7ELNS1_3repE0EEENS1_30default_config_static_selectorELNS0_4arch9wavefront6targetE1EEEvSM_
                                        ; -- End function
	.section	.AMDGPU.csdata,"",@progbits
; Kernel info:
; codeLenInByte = 0
; NumSgprs: 4
; NumVgprs: 0
; NumAgprs: 0
; TotalNumVgprs: 0
; ScratchSize: 0
; MemoryBound: 0
; FloatMode: 240
; IeeeMode: 1
; LDSByteSize: 0 bytes/workgroup (compile time only)
; SGPRBlocks: 0
; VGPRBlocks: 0
; NumSGPRsForWavesPerEU: 4
; NumVGPRsForWavesPerEU: 1
; AccumOffset: 4
; Occupancy: 8
; WaveLimiterHint : 0
; COMPUTE_PGM_RSRC2:SCRATCH_EN: 0
; COMPUTE_PGM_RSRC2:USER_SGPR: 6
; COMPUTE_PGM_RSRC2:TRAP_HANDLER: 0
; COMPUTE_PGM_RSRC2:TGID_X_EN: 1
; COMPUTE_PGM_RSRC2:TGID_Y_EN: 0
; COMPUTE_PGM_RSRC2:TGID_Z_EN: 0
; COMPUTE_PGM_RSRC2:TIDIG_COMP_CNT: 0
; COMPUTE_PGM_RSRC3_GFX90A:ACCUM_OFFSET: 0
; COMPUTE_PGM_RSRC3_GFX90A:TG_SPLIT: 0
	.section	.text._ZN7rocprim17ROCPRIM_400000_NS6detail17trampoline_kernelINS0_14default_configENS1_22reduce_config_selectorIfEEZNS1_11reduce_implILb1ES3_N6thrust23THRUST_200600_302600_NS11hip_rocprim26transform_input_iterator_tIfNS8_17counting_iteratorIiNS8_11use_defaultESC_SC_EE11estimate_piEEPffNS8_4plusIfEEEE10hipError_tPvRmT1_T2_T3_mT4_P12ihipStream_tbEUlT_E1_NS1_11comp_targetILNS1_3genE2ELNS1_11target_archE906ELNS1_3gpuE6ELNS1_3repE0EEENS1_30default_config_static_selectorELNS0_4arch9wavefront6targetE1EEEvSM_,"axG",@progbits,_ZN7rocprim17ROCPRIM_400000_NS6detail17trampoline_kernelINS0_14default_configENS1_22reduce_config_selectorIfEEZNS1_11reduce_implILb1ES3_N6thrust23THRUST_200600_302600_NS11hip_rocprim26transform_input_iterator_tIfNS8_17counting_iteratorIiNS8_11use_defaultESC_SC_EE11estimate_piEEPffNS8_4plusIfEEEE10hipError_tPvRmT1_T2_T3_mT4_P12ihipStream_tbEUlT_E1_NS1_11comp_targetILNS1_3genE2ELNS1_11target_archE906ELNS1_3gpuE6ELNS1_3repE0EEENS1_30default_config_static_selectorELNS0_4arch9wavefront6targetE1EEEvSM_,comdat
	.protected	_ZN7rocprim17ROCPRIM_400000_NS6detail17trampoline_kernelINS0_14default_configENS1_22reduce_config_selectorIfEEZNS1_11reduce_implILb1ES3_N6thrust23THRUST_200600_302600_NS11hip_rocprim26transform_input_iterator_tIfNS8_17counting_iteratorIiNS8_11use_defaultESC_SC_EE11estimate_piEEPffNS8_4plusIfEEEE10hipError_tPvRmT1_T2_T3_mT4_P12ihipStream_tbEUlT_E1_NS1_11comp_targetILNS1_3genE2ELNS1_11target_archE906ELNS1_3gpuE6ELNS1_3repE0EEENS1_30default_config_static_selectorELNS0_4arch9wavefront6targetE1EEEvSM_ ; -- Begin function _ZN7rocprim17ROCPRIM_400000_NS6detail17trampoline_kernelINS0_14default_configENS1_22reduce_config_selectorIfEEZNS1_11reduce_implILb1ES3_N6thrust23THRUST_200600_302600_NS11hip_rocprim26transform_input_iterator_tIfNS8_17counting_iteratorIiNS8_11use_defaultESC_SC_EE11estimate_piEEPffNS8_4plusIfEEEE10hipError_tPvRmT1_T2_T3_mT4_P12ihipStream_tbEUlT_E1_NS1_11comp_targetILNS1_3genE2ELNS1_11target_archE906ELNS1_3gpuE6ELNS1_3repE0EEENS1_30default_config_static_selectorELNS0_4arch9wavefront6targetE1EEEvSM_
	.globl	_ZN7rocprim17ROCPRIM_400000_NS6detail17trampoline_kernelINS0_14default_configENS1_22reduce_config_selectorIfEEZNS1_11reduce_implILb1ES3_N6thrust23THRUST_200600_302600_NS11hip_rocprim26transform_input_iterator_tIfNS8_17counting_iteratorIiNS8_11use_defaultESC_SC_EE11estimate_piEEPffNS8_4plusIfEEEE10hipError_tPvRmT1_T2_T3_mT4_P12ihipStream_tbEUlT_E1_NS1_11comp_targetILNS1_3genE2ELNS1_11target_archE906ELNS1_3gpuE6ELNS1_3repE0EEENS1_30default_config_static_selectorELNS0_4arch9wavefront6targetE1EEEvSM_
	.p2align	8
	.type	_ZN7rocprim17ROCPRIM_400000_NS6detail17trampoline_kernelINS0_14default_configENS1_22reduce_config_selectorIfEEZNS1_11reduce_implILb1ES3_N6thrust23THRUST_200600_302600_NS11hip_rocprim26transform_input_iterator_tIfNS8_17counting_iteratorIiNS8_11use_defaultESC_SC_EE11estimate_piEEPffNS8_4plusIfEEEE10hipError_tPvRmT1_T2_T3_mT4_P12ihipStream_tbEUlT_E1_NS1_11comp_targetILNS1_3genE2ELNS1_11target_archE906ELNS1_3gpuE6ELNS1_3repE0EEENS1_30default_config_static_selectorELNS0_4arch9wavefront6targetE1EEEvSM_,@function
_ZN7rocprim17ROCPRIM_400000_NS6detail17trampoline_kernelINS0_14default_configENS1_22reduce_config_selectorIfEEZNS1_11reduce_implILb1ES3_N6thrust23THRUST_200600_302600_NS11hip_rocprim26transform_input_iterator_tIfNS8_17counting_iteratorIiNS8_11use_defaultESC_SC_EE11estimate_piEEPffNS8_4plusIfEEEE10hipError_tPvRmT1_T2_T3_mT4_P12ihipStream_tbEUlT_E1_NS1_11comp_targetILNS1_3genE2ELNS1_11target_archE906ELNS1_3gpuE6ELNS1_3repE0EEENS1_30default_config_static_selectorELNS0_4arch9wavefront6targetE1EEEvSM_: ; @_ZN7rocprim17ROCPRIM_400000_NS6detail17trampoline_kernelINS0_14default_configENS1_22reduce_config_selectorIfEEZNS1_11reduce_implILb1ES3_N6thrust23THRUST_200600_302600_NS11hip_rocprim26transform_input_iterator_tIfNS8_17counting_iteratorIiNS8_11use_defaultESC_SC_EE11estimate_piEEPffNS8_4plusIfEEEE10hipError_tPvRmT1_T2_T3_mT4_P12ihipStream_tbEUlT_E1_NS1_11comp_targetILNS1_3genE2ELNS1_11target_archE906ELNS1_3gpuE6ELNS1_3repE0EEENS1_30default_config_static_selectorELNS0_4arch9wavefront6targetE1EEEvSM_
; %bb.0:
	.section	.rodata,"a",@progbits
	.p2align	6, 0x0
	.amdhsa_kernel _ZN7rocprim17ROCPRIM_400000_NS6detail17trampoline_kernelINS0_14default_configENS1_22reduce_config_selectorIfEEZNS1_11reduce_implILb1ES3_N6thrust23THRUST_200600_302600_NS11hip_rocprim26transform_input_iterator_tIfNS8_17counting_iteratorIiNS8_11use_defaultESC_SC_EE11estimate_piEEPffNS8_4plusIfEEEE10hipError_tPvRmT1_T2_T3_mT4_P12ihipStream_tbEUlT_E1_NS1_11comp_targetILNS1_3genE2ELNS1_11target_archE906ELNS1_3gpuE6ELNS1_3repE0EEENS1_30default_config_static_selectorELNS0_4arch9wavefront6targetE1EEEvSM_
		.amdhsa_group_segment_fixed_size 0
		.amdhsa_private_segment_fixed_size 0
		.amdhsa_kernarg_size 40
		.amdhsa_user_sgpr_count 6
		.amdhsa_user_sgpr_private_segment_buffer 1
		.amdhsa_user_sgpr_dispatch_ptr 0
		.amdhsa_user_sgpr_queue_ptr 0
		.amdhsa_user_sgpr_kernarg_segment_ptr 1
		.amdhsa_user_sgpr_dispatch_id 0
		.amdhsa_user_sgpr_flat_scratch_init 0
		.amdhsa_user_sgpr_kernarg_preload_length 0
		.amdhsa_user_sgpr_kernarg_preload_offset 0
		.amdhsa_user_sgpr_private_segment_size 0
		.amdhsa_uses_dynamic_stack 0
		.amdhsa_system_sgpr_private_segment_wavefront_offset 0
		.amdhsa_system_sgpr_workgroup_id_x 1
		.amdhsa_system_sgpr_workgroup_id_y 0
		.amdhsa_system_sgpr_workgroup_id_z 0
		.amdhsa_system_sgpr_workgroup_info 0
		.amdhsa_system_vgpr_workitem_id 0
		.amdhsa_next_free_vgpr 1
		.amdhsa_next_free_sgpr 0
		.amdhsa_accum_offset 4
		.amdhsa_reserve_vcc 0
		.amdhsa_reserve_flat_scratch 0
		.amdhsa_float_round_mode_32 0
		.amdhsa_float_round_mode_16_64 0
		.amdhsa_float_denorm_mode_32 3
		.amdhsa_float_denorm_mode_16_64 3
		.amdhsa_dx10_clamp 1
		.amdhsa_ieee_mode 1
		.amdhsa_fp16_overflow 0
		.amdhsa_tg_split 0
		.amdhsa_exception_fp_ieee_invalid_op 0
		.amdhsa_exception_fp_denorm_src 0
		.amdhsa_exception_fp_ieee_div_zero 0
		.amdhsa_exception_fp_ieee_overflow 0
		.amdhsa_exception_fp_ieee_underflow 0
		.amdhsa_exception_fp_ieee_inexact 0
		.amdhsa_exception_int_div_zero 0
	.end_amdhsa_kernel
	.section	.text._ZN7rocprim17ROCPRIM_400000_NS6detail17trampoline_kernelINS0_14default_configENS1_22reduce_config_selectorIfEEZNS1_11reduce_implILb1ES3_N6thrust23THRUST_200600_302600_NS11hip_rocprim26transform_input_iterator_tIfNS8_17counting_iteratorIiNS8_11use_defaultESC_SC_EE11estimate_piEEPffNS8_4plusIfEEEE10hipError_tPvRmT1_T2_T3_mT4_P12ihipStream_tbEUlT_E1_NS1_11comp_targetILNS1_3genE2ELNS1_11target_archE906ELNS1_3gpuE6ELNS1_3repE0EEENS1_30default_config_static_selectorELNS0_4arch9wavefront6targetE1EEEvSM_,"axG",@progbits,_ZN7rocprim17ROCPRIM_400000_NS6detail17trampoline_kernelINS0_14default_configENS1_22reduce_config_selectorIfEEZNS1_11reduce_implILb1ES3_N6thrust23THRUST_200600_302600_NS11hip_rocprim26transform_input_iterator_tIfNS8_17counting_iteratorIiNS8_11use_defaultESC_SC_EE11estimate_piEEPffNS8_4plusIfEEEE10hipError_tPvRmT1_T2_T3_mT4_P12ihipStream_tbEUlT_E1_NS1_11comp_targetILNS1_3genE2ELNS1_11target_archE906ELNS1_3gpuE6ELNS1_3repE0EEENS1_30default_config_static_selectorELNS0_4arch9wavefront6targetE1EEEvSM_,comdat
.Lfunc_end32:
	.size	_ZN7rocprim17ROCPRIM_400000_NS6detail17trampoline_kernelINS0_14default_configENS1_22reduce_config_selectorIfEEZNS1_11reduce_implILb1ES3_N6thrust23THRUST_200600_302600_NS11hip_rocprim26transform_input_iterator_tIfNS8_17counting_iteratorIiNS8_11use_defaultESC_SC_EE11estimate_piEEPffNS8_4plusIfEEEE10hipError_tPvRmT1_T2_T3_mT4_P12ihipStream_tbEUlT_E1_NS1_11comp_targetILNS1_3genE2ELNS1_11target_archE906ELNS1_3gpuE6ELNS1_3repE0EEENS1_30default_config_static_selectorELNS0_4arch9wavefront6targetE1EEEvSM_, .Lfunc_end32-_ZN7rocprim17ROCPRIM_400000_NS6detail17trampoline_kernelINS0_14default_configENS1_22reduce_config_selectorIfEEZNS1_11reduce_implILb1ES3_N6thrust23THRUST_200600_302600_NS11hip_rocprim26transform_input_iterator_tIfNS8_17counting_iteratorIiNS8_11use_defaultESC_SC_EE11estimate_piEEPffNS8_4plusIfEEEE10hipError_tPvRmT1_T2_T3_mT4_P12ihipStream_tbEUlT_E1_NS1_11comp_targetILNS1_3genE2ELNS1_11target_archE906ELNS1_3gpuE6ELNS1_3repE0EEENS1_30default_config_static_selectorELNS0_4arch9wavefront6targetE1EEEvSM_
                                        ; -- End function
	.section	.AMDGPU.csdata,"",@progbits
; Kernel info:
; codeLenInByte = 0
; NumSgprs: 4
; NumVgprs: 0
; NumAgprs: 0
; TotalNumVgprs: 0
; ScratchSize: 0
; MemoryBound: 0
; FloatMode: 240
; IeeeMode: 1
; LDSByteSize: 0 bytes/workgroup (compile time only)
; SGPRBlocks: 0
; VGPRBlocks: 0
; NumSGPRsForWavesPerEU: 4
; NumVGPRsForWavesPerEU: 1
; AccumOffset: 4
; Occupancy: 8
; WaveLimiterHint : 0
; COMPUTE_PGM_RSRC2:SCRATCH_EN: 0
; COMPUTE_PGM_RSRC2:USER_SGPR: 6
; COMPUTE_PGM_RSRC2:TRAP_HANDLER: 0
; COMPUTE_PGM_RSRC2:TGID_X_EN: 1
; COMPUTE_PGM_RSRC2:TGID_Y_EN: 0
; COMPUTE_PGM_RSRC2:TGID_Z_EN: 0
; COMPUTE_PGM_RSRC2:TIDIG_COMP_CNT: 0
; COMPUTE_PGM_RSRC3_GFX90A:ACCUM_OFFSET: 0
; COMPUTE_PGM_RSRC3_GFX90A:TG_SPLIT: 0
	.section	.text._ZN7rocprim17ROCPRIM_400000_NS6detail17trampoline_kernelINS0_14default_configENS1_22reduce_config_selectorIfEEZNS1_11reduce_implILb1ES3_N6thrust23THRUST_200600_302600_NS11hip_rocprim26transform_input_iterator_tIfNS8_17counting_iteratorIiNS8_11use_defaultESC_SC_EE11estimate_piEEPffNS8_4plusIfEEEE10hipError_tPvRmT1_T2_T3_mT4_P12ihipStream_tbEUlT_E1_NS1_11comp_targetILNS1_3genE10ELNS1_11target_archE1201ELNS1_3gpuE5ELNS1_3repE0EEENS1_30default_config_static_selectorELNS0_4arch9wavefront6targetE1EEEvSM_,"axG",@progbits,_ZN7rocprim17ROCPRIM_400000_NS6detail17trampoline_kernelINS0_14default_configENS1_22reduce_config_selectorIfEEZNS1_11reduce_implILb1ES3_N6thrust23THRUST_200600_302600_NS11hip_rocprim26transform_input_iterator_tIfNS8_17counting_iteratorIiNS8_11use_defaultESC_SC_EE11estimate_piEEPffNS8_4plusIfEEEE10hipError_tPvRmT1_T2_T3_mT4_P12ihipStream_tbEUlT_E1_NS1_11comp_targetILNS1_3genE10ELNS1_11target_archE1201ELNS1_3gpuE5ELNS1_3repE0EEENS1_30default_config_static_selectorELNS0_4arch9wavefront6targetE1EEEvSM_,comdat
	.protected	_ZN7rocprim17ROCPRIM_400000_NS6detail17trampoline_kernelINS0_14default_configENS1_22reduce_config_selectorIfEEZNS1_11reduce_implILb1ES3_N6thrust23THRUST_200600_302600_NS11hip_rocprim26transform_input_iterator_tIfNS8_17counting_iteratorIiNS8_11use_defaultESC_SC_EE11estimate_piEEPffNS8_4plusIfEEEE10hipError_tPvRmT1_T2_T3_mT4_P12ihipStream_tbEUlT_E1_NS1_11comp_targetILNS1_3genE10ELNS1_11target_archE1201ELNS1_3gpuE5ELNS1_3repE0EEENS1_30default_config_static_selectorELNS0_4arch9wavefront6targetE1EEEvSM_ ; -- Begin function _ZN7rocprim17ROCPRIM_400000_NS6detail17trampoline_kernelINS0_14default_configENS1_22reduce_config_selectorIfEEZNS1_11reduce_implILb1ES3_N6thrust23THRUST_200600_302600_NS11hip_rocprim26transform_input_iterator_tIfNS8_17counting_iteratorIiNS8_11use_defaultESC_SC_EE11estimate_piEEPffNS8_4plusIfEEEE10hipError_tPvRmT1_T2_T3_mT4_P12ihipStream_tbEUlT_E1_NS1_11comp_targetILNS1_3genE10ELNS1_11target_archE1201ELNS1_3gpuE5ELNS1_3repE0EEENS1_30default_config_static_selectorELNS0_4arch9wavefront6targetE1EEEvSM_
	.globl	_ZN7rocprim17ROCPRIM_400000_NS6detail17trampoline_kernelINS0_14default_configENS1_22reduce_config_selectorIfEEZNS1_11reduce_implILb1ES3_N6thrust23THRUST_200600_302600_NS11hip_rocprim26transform_input_iterator_tIfNS8_17counting_iteratorIiNS8_11use_defaultESC_SC_EE11estimate_piEEPffNS8_4plusIfEEEE10hipError_tPvRmT1_T2_T3_mT4_P12ihipStream_tbEUlT_E1_NS1_11comp_targetILNS1_3genE10ELNS1_11target_archE1201ELNS1_3gpuE5ELNS1_3repE0EEENS1_30default_config_static_selectorELNS0_4arch9wavefront6targetE1EEEvSM_
	.p2align	8
	.type	_ZN7rocprim17ROCPRIM_400000_NS6detail17trampoline_kernelINS0_14default_configENS1_22reduce_config_selectorIfEEZNS1_11reduce_implILb1ES3_N6thrust23THRUST_200600_302600_NS11hip_rocprim26transform_input_iterator_tIfNS8_17counting_iteratorIiNS8_11use_defaultESC_SC_EE11estimate_piEEPffNS8_4plusIfEEEE10hipError_tPvRmT1_T2_T3_mT4_P12ihipStream_tbEUlT_E1_NS1_11comp_targetILNS1_3genE10ELNS1_11target_archE1201ELNS1_3gpuE5ELNS1_3repE0EEENS1_30default_config_static_selectorELNS0_4arch9wavefront6targetE1EEEvSM_,@function
_ZN7rocprim17ROCPRIM_400000_NS6detail17trampoline_kernelINS0_14default_configENS1_22reduce_config_selectorIfEEZNS1_11reduce_implILb1ES3_N6thrust23THRUST_200600_302600_NS11hip_rocprim26transform_input_iterator_tIfNS8_17counting_iteratorIiNS8_11use_defaultESC_SC_EE11estimate_piEEPffNS8_4plusIfEEEE10hipError_tPvRmT1_T2_T3_mT4_P12ihipStream_tbEUlT_E1_NS1_11comp_targetILNS1_3genE10ELNS1_11target_archE1201ELNS1_3gpuE5ELNS1_3repE0EEENS1_30default_config_static_selectorELNS0_4arch9wavefront6targetE1EEEvSM_: ; @_ZN7rocprim17ROCPRIM_400000_NS6detail17trampoline_kernelINS0_14default_configENS1_22reduce_config_selectorIfEEZNS1_11reduce_implILb1ES3_N6thrust23THRUST_200600_302600_NS11hip_rocprim26transform_input_iterator_tIfNS8_17counting_iteratorIiNS8_11use_defaultESC_SC_EE11estimate_piEEPffNS8_4plusIfEEEE10hipError_tPvRmT1_T2_T3_mT4_P12ihipStream_tbEUlT_E1_NS1_11comp_targetILNS1_3genE10ELNS1_11target_archE1201ELNS1_3gpuE5ELNS1_3repE0EEENS1_30default_config_static_selectorELNS0_4arch9wavefront6targetE1EEEvSM_
; %bb.0:
	.section	.rodata,"a",@progbits
	.p2align	6, 0x0
	.amdhsa_kernel _ZN7rocprim17ROCPRIM_400000_NS6detail17trampoline_kernelINS0_14default_configENS1_22reduce_config_selectorIfEEZNS1_11reduce_implILb1ES3_N6thrust23THRUST_200600_302600_NS11hip_rocprim26transform_input_iterator_tIfNS8_17counting_iteratorIiNS8_11use_defaultESC_SC_EE11estimate_piEEPffNS8_4plusIfEEEE10hipError_tPvRmT1_T2_T3_mT4_P12ihipStream_tbEUlT_E1_NS1_11comp_targetILNS1_3genE10ELNS1_11target_archE1201ELNS1_3gpuE5ELNS1_3repE0EEENS1_30default_config_static_selectorELNS0_4arch9wavefront6targetE1EEEvSM_
		.amdhsa_group_segment_fixed_size 0
		.amdhsa_private_segment_fixed_size 0
		.amdhsa_kernarg_size 40
		.amdhsa_user_sgpr_count 6
		.amdhsa_user_sgpr_private_segment_buffer 1
		.amdhsa_user_sgpr_dispatch_ptr 0
		.amdhsa_user_sgpr_queue_ptr 0
		.amdhsa_user_sgpr_kernarg_segment_ptr 1
		.amdhsa_user_sgpr_dispatch_id 0
		.amdhsa_user_sgpr_flat_scratch_init 0
		.amdhsa_user_sgpr_kernarg_preload_length 0
		.amdhsa_user_sgpr_kernarg_preload_offset 0
		.amdhsa_user_sgpr_private_segment_size 0
		.amdhsa_uses_dynamic_stack 0
		.amdhsa_system_sgpr_private_segment_wavefront_offset 0
		.amdhsa_system_sgpr_workgroup_id_x 1
		.amdhsa_system_sgpr_workgroup_id_y 0
		.amdhsa_system_sgpr_workgroup_id_z 0
		.amdhsa_system_sgpr_workgroup_info 0
		.amdhsa_system_vgpr_workitem_id 0
		.amdhsa_next_free_vgpr 1
		.amdhsa_next_free_sgpr 0
		.amdhsa_accum_offset 4
		.amdhsa_reserve_vcc 0
		.amdhsa_reserve_flat_scratch 0
		.amdhsa_float_round_mode_32 0
		.amdhsa_float_round_mode_16_64 0
		.amdhsa_float_denorm_mode_32 3
		.amdhsa_float_denorm_mode_16_64 3
		.amdhsa_dx10_clamp 1
		.amdhsa_ieee_mode 1
		.amdhsa_fp16_overflow 0
		.amdhsa_tg_split 0
		.amdhsa_exception_fp_ieee_invalid_op 0
		.amdhsa_exception_fp_denorm_src 0
		.amdhsa_exception_fp_ieee_div_zero 0
		.amdhsa_exception_fp_ieee_overflow 0
		.amdhsa_exception_fp_ieee_underflow 0
		.amdhsa_exception_fp_ieee_inexact 0
		.amdhsa_exception_int_div_zero 0
	.end_amdhsa_kernel
	.section	.text._ZN7rocprim17ROCPRIM_400000_NS6detail17trampoline_kernelINS0_14default_configENS1_22reduce_config_selectorIfEEZNS1_11reduce_implILb1ES3_N6thrust23THRUST_200600_302600_NS11hip_rocprim26transform_input_iterator_tIfNS8_17counting_iteratorIiNS8_11use_defaultESC_SC_EE11estimate_piEEPffNS8_4plusIfEEEE10hipError_tPvRmT1_T2_T3_mT4_P12ihipStream_tbEUlT_E1_NS1_11comp_targetILNS1_3genE10ELNS1_11target_archE1201ELNS1_3gpuE5ELNS1_3repE0EEENS1_30default_config_static_selectorELNS0_4arch9wavefront6targetE1EEEvSM_,"axG",@progbits,_ZN7rocprim17ROCPRIM_400000_NS6detail17trampoline_kernelINS0_14default_configENS1_22reduce_config_selectorIfEEZNS1_11reduce_implILb1ES3_N6thrust23THRUST_200600_302600_NS11hip_rocprim26transform_input_iterator_tIfNS8_17counting_iteratorIiNS8_11use_defaultESC_SC_EE11estimate_piEEPffNS8_4plusIfEEEE10hipError_tPvRmT1_T2_T3_mT4_P12ihipStream_tbEUlT_E1_NS1_11comp_targetILNS1_3genE10ELNS1_11target_archE1201ELNS1_3gpuE5ELNS1_3repE0EEENS1_30default_config_static_selectorELNS0_4arch9wavefront6targetE1EEEvSM_,comdat
.Lfunc_end33:
	.size	_ZN7rocprim17ROCPRIM_400000_NS6detail17trampoline_kernelINS0_14default_configENS1_22reduce_config_selectorIfEEZNS1_11reduce_implILb1ES3_N6thrust23THRUST_200600_302600_NS11hip_rocprim26transform_input_iterator_tIfNS8_17counting_iteratorIiNS8_11use_defaultESC_SC_EE11estimate_piEEPffNS8_4plusIfEEEE10hipError_tPvRmT1_T2_T3_mT4_P12ihipStream_tbEUlT_E1_NS1_11comp_targetILNS1_3genE10ELNS1_11target_archE1201ELNS1_3gpuE5ELNS1_3repE0EEENS1_30default_config_static_selectorELNS0_4arch9wavefront6targetE1EEEvSM_, .Lfunc_end33-_ZN7rocprim17ROCPRIM_400000_NS6detail17trampoline_kernelINS0_14default_configENS1_22reduce_config_selectorIfEEZNS1_11reduce_implILb1ES3_N6thrust23THRUST_200600_302600_NS11hip_rocprim26transform_input_iterator_tIfNS8_17counting_iteratorIiNS8_11use_defaultESC_SC_EE11estimate_piEEPffNS8_4plusIfEEEE10hipError_tPvRmT1_T2_T3_mT4_P12ihipStream_tbEUlT_E1_NS1_11comp_targetILNS1_3genE10ELNS1_11target_archE1201ELNS1_3gpuE5ELNS1_3repE0EEENS1_30default_config_static_selectorELNS0_4arch9wavefront6targetE1EEEvSM_
                                        ; -- End function
	.section	.AMDGPU.csdata,"",@progbits
; Kernel info:
; codeLenInByte = 0
; NumSgprs: 4
; NumVgprs: 0
; NumAgprs: 0
; TotalNumVgprs: 0
; ScratchSize: 0
; MemoryBound: 0
; FloatMode: 240
; IeeeMode: 1
; LDSByteSize: 0 bytes/workgroup (compile time only)
; SGPRBlocks: 0
; VGPRBlocks: 0
; NumSGPRsForWavesPerEU: 4
; NumVGPRsForWavesPerEU: 1
; AccumOffset: 4
; Occupancy: 8
; WaveLimiterHint : 0
; COMPUTE_PGM_RSRC2:SCRATCH_EN: 0
; COMPUTE_PGM_RSRC2:USER_SGPR: 6
; COMPUTE_PGM_RSRC2:TRAP_HANDLER: 0
; COMPUTE_PGM_RSRC2:TGID_X_EN: 1
; COMPUTE_PGM_RSRC2:TGID_Y_EN: 0
; COMPUTE_PGM_RSRC2:TGID_Z_EN: 0
; COMPUTE_PGM_RSRC2:TIDIG_COMP_CNT: 0
; COMPUTE_PGM_RSRC3_GFX90A:ACCUM_OFFSET: 0
; COMPUTE_PGM_RSRC3_GFX90A:TG_SPLIT: 0
	.section	.text._ZN7rocprim17ROCPRIM_400000_NS6detail17trampoline_kernelINS0_14default_configENS1_22reduce_config_selectorIfEEZNS1_11reduce_implILb1ES3_N6thrust23THRUST_200600_302600_NS11hip_rocprim26transform_input_iterator_tIfNS8_17counting_iteratorIiNS8_11use_defaultESC_SC_EE11estimate_piEEPffNS8_4plusIfEEEE10hipError_tPvRmT1_T2_T3_mT4_P12ihipStream_tbEUlT_E1_NS1_11comp_targetILNS1_3genE10ELNS1_11target_archE1200ELNS1_3gpuE4ELNS1_3repE0EEENS1_30default_config_static_selectorELNS0_4arch9wavefront6targetE1EEEvSM_,"axG",@progbits,_ZN7rocprim17ROCPRIM_400000_NS6detail17trampoline_kernelINS0_14default_configENS1_22reduce_config_selectorIfEEZNS1_11reduce_implILb1ES3_N6thrust23THRUST_200600_302600_NS11hip_rocprim26transform_input_iterator_tIfNS8_17counting_iteratorIiNS8_11use_defaultESC_SC_EE11estimate_piEEPffNS8_4plusIfEEEE10hipError_tPvRmT1_T2_T3_mT4_P12ihipStream_tbEUlT_E1_NS1_11comp_targetILNS1_3genE10ELNS1_11target_archE1200ELNS1_3gpuE4ELNS1_3repE0EEENS1_30default_config_static_selectorELNS0_4arch9wavefront6targetE1EEEvSM_,comdat
	.protected	_ZN7rocprim17ROCPRIM_400000_NS6detail17trampoline_kernelINS0_14default_configENS1_22reduce_config_selectorIfEEZNS1_11reduce_implILb1ES3_N6thrust23THRUST_200600_302600_NS11hip_rocprim26transform_input_iterator_tIfNS8_17counting_iteratorIiNS8_11use_defaultESC_SC_EE11estimate_piEEPffNS8_4plusIfEEEE10hipError_tPvRmT1_T2_T3_mT4_P12ihipStream_tbEUlT_E1_NS1_11comp_targetILNS1_3genE10ELNS1_11target_archE1200ELNS1_3gpuE4ELNS1_3repE0EEENS1_30default_config_static_selectorELNS0_4arch9wavefront6targetE1EEEvSM_ ; -- Begin function _ZN7rocprim17ROCPRIM_400000_NS6detail17trampoline_kernelINS0_14default_configENS1_22reduce_config_selectorIfEEZNS1_11reduce_implILb1ES3_N6thrust23THRUST_200600_302600_NS11hip_rocprim26transform_input_iterator_tIfNS8_17counting_iteratorIiNS8_11use_defaultESC_SC_EE11estimate_piEEPffNS8_4plusIfEEEE10hipError_tPvRmT1_T2_T3_mT4_P12ihipStream_tbEUlT_E1_NS1_11comp_targetILNS1_3genE10ELNS1_11target_archE1200ELNS1_3gpuE4ELNS1_3repE0EEENS1_30default_config_static_selectorELNS0_4arch9wavefront6targetE1EEEvSM_
	.globl	_ZN7rocprim17ROCPRIM_400000_NS6detail17trampoline_kernelINS0_14default_configENS1_22reduce_config_selectorIfEEZNS1_11reduce_implILb1ES3_N6thrust23THRUST_200600_302600_NS11hip_rocprim26transform_input_iterator_tIfNS8_17counting_iteratorIiNS8_11use_defaultESC_SC_EE11estimate_piEEPffNS8_4plusIfEEEE10hipError_tPvRmT1_T2_T3_mT4_P12ihipStream_tbEUlT_E1_NS1_11comp_targetILNS1_3genE10ELNS1_11target_archE1200ELNS1_3gpuE4ELNS1_3repE0EEENS1_30default_config_static_selectorELNS0_4arch9wavefront6targetE1EEEvSM_
	.p2align	8
	.type	_ZN7rocprim17ROCPRIM_400000_NS6detail17trampoline_kernelINS0_14default_configENS1_22reduce_config_selectorIfEEZNS1_11reduce_implILb1ES3_N6thrust23THRUST_200600_302600_NS11hip_rocprim26transform_input_iterator_tIfNS8_17counting_iteratorIiNS8_11use_defaultESC_SC_EE11estimate_piEEPffNS8_4plusIfEEEE10hipError_tPvRmT1_T2_T3_mT4_P12ihipStream_tbEUlT_E1_NS1_11comp_targetILNS1_3genE10ELNS1_11target_archE1200ELNS1_3gpuE4ELNS1_3repE0EEENS1_30default_config_static_selectorELNS0_4arch9wavefront6targetE1EEEvSM_,@function
_ZN7rocprim17ROCPRIM_400000_NS6detail17trampoline_kernelINS0_14default_configENS1_22reduce_config_selectorIfEEZNS1_11reduce_implILb1ES3_N6thrust23THRUST_200600_302600_NS11hip_rocprim26transform_input_iterator_tIfNS8_17counting_iteratorIiNS8_11use_defaultESC_SC_EE11estimate_piEEPffNS8_4plusIfEEEE10hipError_tPvRmT1_T2_T3_mT4_P12ihipStream_tbEUlT_E1_NS1_11comp_targetILNS1_3genE10ELNS1_11target_archE1200ELNS1_3gpuE4ELNS1_3repE0EEENS1_30default_config_static_selectorELNS0_4arch9wavefront6targetE1EEEvSM_: ; @_ZN7rocprim17ROCPRIM_400000_NS6detail17trampoline_kernelINS0_14default_configENS1_22reduce_config_selectorIfEEZNS1_11reduce_implILb1ES3_N6thrust23THRUST_200600_302600_NS11hip_rocprim26transform_input_iterator_tIfNS8_17counting_iteratorIiNS8_11use_defaultESC_SC_EE11estimate_piEEPffNS8_4plusIfEEEE10hipError_tPvRmT1_T2_T3_mT4_P12ihipStream_tbEUlT_E1_NS1_11comp_targetILNS1_3genE10ELNS1_11target_archE1200ELNS1_3gpuE4ELNS1_3repE0EEENS1_30default_config_static_selectorELNS0_4arch9wavefront6targetE1EEEvSM_
; %bb.0:
	.section	.rodata,"a",@progbits
	.p2align	6, 0x0
	.amdhsa_kernel _ZN7rocprim17ROCPRIM_400000_NS6detail17trampoline_kernelINS0_14default_configENS1_22reduce_config_selectorIfEEZNS1_11reduce_implILb1ES3_N6thrust23THRUST_200600_302600_NS11hip_rocprim26transform_input_iterator_tIfNS8_17counting_iteratorIiNS8_11use_defaultESC_SC_EE11estimate_piEEPffNS8_4plusIfEEEE10hipError_tPvRmT1_T2_T3_mT4_P12ihipStream_tbEUlT_E1_NS1_11comp_targetILNS1_3genE10ELNS1_11target_archE1200ELNS1_3gpuE4ELNS1_3repE0EEENS1_30default_config_static_selectorELNS0_4arch9wavefront6targetE1EEEvSM_
		.amdhsa_group_segment_fixed_size 0
		.amdhsa_private_segment_fixed_size 0
		.amdhsa_kernarg_size 40
		.amdhsa_user_sgpr_count 6
		.amdhsa_user_sgpr_private_segment_buffer 1
		.amdhsa_user_sgpr_dispatch_ptr 0
		.amdhsa_user_sgpr_queue_ptr 0
		.amdhsa_user_sgpr_kernarg_segment_ptr 1
		.amdhsa_user_sgpr_dispatch_id 0
		.amdhsa_user_sgpr_flat_scratch_init 0
		.amdhsa_user_sgpr_kernarg_preload_length 0
		.amdhsa_user_sgpr_kernarg_preload_offset 0
		.amdhsa_user_sgpr_private_segment_size 0
		.amdhsa_uses_dynamic_stack 0
		.amdhsa_system_sgpr_private_segment_wavefront_offset 0
		.amdhsa_system_sgpr_workgroup_id_x 1
		.amdhsa_system_sgpr_workgroup_id_y 0
		.amdhsa_system_sgpr_workgroup_id_z 0
		.amdhsa_system_sgpr_workgroup_info 0
		.amdhsa_system_vgpr_workitem_id 0
		.amdhsa_next_free_vgpr 1
		.amdhsa_next_free_sgpr 0
		.amdhsa_accum_offset 4
		.amdhsa_reserve_vcc 0
		.amdhsa_reserve_flat_scratch 0
		.amdhsa_float_round_mode_32 0
		.amdhsa_float_round_mode_16_64 0
		.amdhsa_float_denorm_mode_32 3
		.amdhsa_float_denorm_mode_16_64 3
		.amdhsa_dx10_clamp 1
		.amdhsa_ieee_mode 1
		.amdhsa_fp16_overflow 0
		.amdhsa_tg_split 0
		.amdhsa_exception_fp_ieee_invalid_op 0
		.amdhsa_exception_fp_denorm_src 0
		.amdhsa_exception_fp_ieee_div_zero 0
		.amdhsa_exception_fp_ieee_overflow 0
		.amdhsa_exception_fp_ieee_underflow 0
		.amdhsa_exception_fp_ieee_inexact 0
		.amdhsa_exception_int_div_zero 0
	.end_amdhsa_kernel
	.section	.text._ZN7rocprim17ROCPRIM_400000_NS6detail17trampoline_kernelINS0_14default_configENS1_22reduce_config_selectorIfEEZNS1_11reduce_implILb1ES3_N6thrust23THRUST_200600_302600_NS11hip_rocprim26transform_input_iterator_tIfNS8_17counting_iteratorIiNS8_11use_defaultESC_SC_EE11estimate_piEEPffNS8_4plusIfEEEE10hipError_tPvRmT1_T2_T3_mT4_P12ihipStream_tbEUlT_E1_NS1_11comp_targetILNS1_3genE10ELNS1_11target_archE1200ELNS1_3gpuE4ELNS1_3repE0EEENS1_30default_config_static_selectorELNS0_4arch9wavefront6targetE1EEEvSM_,"axG",@progbits,_ZN7rocprim17ROCPRIM_400000_NS6detail17trampoline_kernelINS0_14default_configENS1_22reduce_config_selectorIfEEZNS1_11reduce_implILb1ES3_N6thrust23THRUST_200600_302600_NS11hip_rocprim26transform_input_iterator_tIfNS8_17counting_iteratorIiNS8_11use_defaultESC_SC_EE11estimate_piEEPffNS8_4plusIfEEEE10hipError_tPvRmT1_T2_T3_mT4_P12ihipStream_tbEUlT_E1_NS1_11comp_targetILNS1_3genE10ELNS1_11target_archE1200ELNS1_3gpuE4ELNS1_3repE0EEENS1_30default_config_static_selectorELNS0_4arch9wavefront6targetE1EEEvSM_,comdat
.Lfunc_end34:
	.size	_ZN7rocprim17ROCPRIM_400000_NS6detail17trampoline_kernelINS0_14default_configENS1_22reduce_config_selectorIfEEZNS1_11reduce_implILb1ES3_N6thrust23THRUST_200600_302600_NS11hip_rocprim26transform_input_iterator_tIfNS8_17counting_iteratorIiNS8_11use_defaultESC_SC_EE11estimate_piEEPffNS8_4plusIfEEEE10hipError_tPvRmT1_T2_T3_mT4_P12ihipStream_tbEUlT_E1_NS1_11comp_targetILNS1_3genE10ELNS1_11target_archE1200ELNS1_3gpuE4ELNS1_3repE0EEENS1_30default_config_static_selectorELNS0_4arch9wavefront6targetE1EEEvSM_, .Lfunc_end34-_ZN7rocprim17ROCPRIM_400000_NS6detail17trampoline_kernelINS0_14default_configENS1_22reduce_config_selectorIfEEZNS1_11reduce_implILb1ES3_N6thrust23THRUST_200600_302600_NS11hip_rocprim26transform_input_iterator_tIfNS8_17counting_iteratorIiNS8_11use_defaultESC_SC_EE11estimate_piEEPffNS8_4plusIfEEEE10hipError_tPvRmT1_T2_T3_mT4_P12ihipStream_tbEUlT_E1_NS1_11comp_targetILNS1_3genE10ELNS1_11target_archE1200ELNS1_3gpuE4ELNS1_3repE0EEENS1_30default_config_static_selectorELNS0_4arch9wavefront6targetE1EEEvSM_
                                        ; -- End function
	.section	.AMDGPU.csdata,"",@progbits
; Kernel info:
; codeLenInByte = 0
; NumSgprs: 4
; NumVgprs: 0
; NumAgprs: 0
; TotalNumVgprs: 0
; ScratchSize: 0
; MemoryBound: 0
; FloatMode: 240
; IeeeMode: 1
; LDSByteSize: 0 bytes/workgroup (compile time only)
; SGPRBlocks: 0
; VGPRBlocks: 0
; NumSGPRsForWavesPerEU: 4
; NumVGPRsForWavesPerEU: 1
; AccumOffset: 4
; Occupancy: 8
; WaveLimiterHint : 0
; COMPUTE_PGM_RSRC2:SCRATCH_EN: 0
; COMPUTE_PGM_RSRC2:USER_SGPR: 6
; COMPUTE_PGM_RSRC2:TRAP_HANDLER: 0
; COMPUTE_PGM_RSRC2:TGID_X_EN: 1
; COMPUTE_PGM_RSRC2:TGID_Y_EN: 0
; COMPUTE_PGM_RSRC2:TGID_Z_EN: 0
; COMPUTE_PGM_RSRC2:TIDIG_COMP_CNT: 0
; COMPUTE_PGM_RSRC3_GFX90A:ACCUM_OFFSET: 0
; COMPUTE_PGM_RSRC3_GFX90A:TG_SPLIT: 0
	.section	.text._ZN7rocprim17ROCPRIM_400000_NS6detail17trampoline_kernelINS0_14default_configENS1_22reduce_config_selectorIfEEZNS1_11reduce_implILb1ES3_N6thrust23THRUST_200600_302600_NS11hip_rocprim26transform_input_iterator_tIfNS8_17counting_iteratorIiNS8_11use_defaultESC_SC_EE11estimate_piEEPffNS8_4plusIfEEEE10hipError_tPvRmT1_T2_T3_mT4_P12ihipStream_tbEUlT_E1_NS1_11comp_targetILNS1_3genE9ELNS1_11target_archE1100ELNS1_3gpuE3ELNS1_3repE0EEENS1_30default_config_static_selectorELNS0_4arch9wavefront6targetE1EEEvSM_,"axG",@progbits,_ZN7rocprim17ROCPRIM_400000_NS6detail17trampoline_kernelINS0_14default_configENS1_22reduce_config_selectorIfEEZNS1_11reduce_implILb1ES3_N6thrust23THRUST_200600_302600_NS11hip_rocprim26transform_input_iterator_tIfNS8_17counting_iteratorIiNS8_11use_defaultESC_SC_EE11estimate_piEEPffNS8_4plusIfEEEE10hipError_tPvRmT1_T2_T3_mT4_P12ihipStream_tbEUlT_E1_NS1_11comp_targetILNS1_3genE9ELNS1_11target_archE1100ELNS1_3gpuE3ELNS1_3repE0EEENS1_30default_config_static_selectorELNS0_4arch9wavefront6targetE1EEEvSM_,comdat
	.protected	_ZN7rocprim17ROCPRIM_400000_NS6detail17trampoline_kernelINS0_14default_configENS1_22reduce_config_selectorIfEEZNS1_11reduce_implILb1ES3_N6thrust23THRUST_200600_302600_NS11hip_rocprim26transform_input_iterator_tIfNS8_17counting_iteratorIiNS8_11use_defaultESC_SC_EE11estimate_piEEPffNS8_4plusIfEEEE10hipError_tPvRmT1_T2_T3_mT4_P12ihipStream_tbEUlT_E1_NS1_11comp_targetILNS1_3genE9ELNS1_11target_archE1100ELNS1_3gpuE3ELNS1_3repE0EEENS1_30default_config_static_selectorELNS0_4arch9wavefront6targetE1EEEvSM_ ; -- Begin function _ZN7rocprim17ROCPRIM_400000_NS6detail17trampoline_kernelINS0_14default_configENS1_22reduce_config_selectorIfEEZNS1_11reduce_implILb1ES3_N6thrust23THRUST_200600_302600_NS11hip_rocprim26transform_input_iterator_tIfNS8_17counting_iteratorIiNS8_11use_defaultESC_SC_EE11estimate_piEEPffNS8_4plusIfEEEE10hipError_tPvRmT1_T2_T3_mT4_P12ihipStream_tbEUlT_E1_NS1_11comp_targetILNS1_3genE9ELNS1_11target_archE1100ELNS1_3gpuE3ELNS1_3repE0EEENS1_30default_config_static_selectorELNS0_4arch9wavefront6targetE1EEEvSM_
	.globl	_ZN7rocprim17ROCPRIM_400000_NS6detail17trampoline_kernelINS0_14default_configENS1_22reduce_config_selectorIfEEZNS1_11reduce_implILb1ES3_N6thrust23THRUST_200600_302600_NS11hip_rocprim26transform_input_iterator_tIfNS8_17counting_iteratorIiNS8_11use_defaultESC_SC_EE11estimate_piEEPffNS8_4plusIfEEEE10hipError_tPvRmT1_T2_T3_mT4_P12ihipStream_tbEUlT_E1_NS1_11comp_targetILNS1_3genE9ELNS1_11target_archE1100ELNS1_3gpuE3ELNS1_3repE0EEENS1_30default_config_static_selectorELNS0_4arch9wavefront6targetE1EEEvSM_
	.p2align	8
	.type	_ZN7rocprim17ROCPRIM_400000_NS6detail17trampoline_kernelINS0_14default_configENS1_22reduce_config_selectorIfEEZNS1_11reduce_implILb1ES3_N6thrust23THRUST_200600_302600_NS11hip_rocprim26transform_input_iterator_tIfNS8_17counting_iteratorIiNS8_11use_defaultESC_SC_EE11estimate_piEEPffNS8_4plusIfEEEE10hipError_tPvRmT1_T2_T3_mT4_P12ihipStream_tbEUlT_E1_NS1_11comp_targetILNS1_3genE9ELNS1_11target_archE1100ELNS1_3gpuE3ELNS1_3repE0EEENS1_30default_config_static_selectorELNS0_4arch9wavefront6targetE1EEEvSM_,@function
_ZN7rocprim17ROCPRIM_400000_NS6detail17trampoline_kernelINS0_14default_configENS1_22reduce_config_selectorIfEEZNS1_11reduce_implILb1ES3_N6thrust23THRUST_200600_302600_NS11hip_rocprim26transform_input_iterator_tIfNS8_17counting_iteratorIiNS8_11use_defaultESC_SC_EE11estimate_piEEPffNS8_4plusIfEEEE10hipError_tPvRmT1_T2_T3_mT4_P12ihipStream_tbEUlT_E1_NS1_11comp_targetILNS1_3genE9ELNS1_11target_archE1100ELNS1_3gpuE3ELNS1_3repE0EEENS1_30default_config_static_selectorELNS0_4arch9wavefront6targetE1EEEvSM_: ; @_ZN7rocprim17ROCPRIM_400000_NS6detail17trampoline_kernelINS0_14default_configENS1_22reduce_config_selectorIfEEZNS1_11reduce_implILb1ES3_N6thrust23THRUST_200600_302600_NS11hip_rocprim26transform_input_iterator_tIfNS8_17counting_iteratorIiNS8_11use_defaultESC_SC_EE11estimate_piEEPffNS8_4plusIfEEEE10hipError_tPvRmT1_T2_T3_mT4_P12ihipStream_tbEUlT_E1_NS1_11comp_targetILNS1_3genE9ELNS1_11target_archE1100ELNS1_3gpuE3ELNS1_3repE0EEENS1_30default_config_static_selectorELNS0_4arch9wavefront6targetE1EEEvSM_
; %bb.0:
	.section	.rodata,"a",@progbits
	.p2align	6, 0x0
	.amdhsa_kernel _ZN7rocprim17ROCPRIM_400000_NS6detail17trampoline_kernelINS0_14default_configENS1_22reduce_config_selectorIfEEZNS1_11reduce_implILb1ES3_N6thrust23THRUST_200600_302600_NS11hip_rocprim26transform_input_iterator_tIfNS8_17counting_iteratorIiNS8_11use_defaultESC_SC_EE11estimate_piEEPffNS8_4plusIfEEEE10hipError_tPvRmT1_T2_T3_mT4_P12ihipStream_tbEUlT_E1_NS1_11comp_targetILNS1_3genE9ELNS1_11target_archE1100ELNS1_3gpuE3ELNS1_3repE0EEENS1_30default_config_static_selectorELNS0_4arch9wavefront6targetE1EEEvSM_
		.amdhsa_group_segment_fixed_size 0
		.amdhsa_private_segment_fixed_size 0
		.amdhsa_kernarg_size 40
		.amdhsa_user_sgpr_count 6
		.amdhsa_user_sgpr_private_segment_buffer 1
		.amdhsa_user_sgpr_dispatch_ptr 0
		.amdhsa_user_sgpr_queue_ptr 0
		.amdhsa_user_sgpr_kernarg_segment_ptr 1
		.amdhsa_user_sgpr_dispatch_id 0
		.amdhsa_user_sgpr_flat_scratch_init 0
		.amdhsa_user_sgpr_kernarg_preload_length 0
		.amdhsa_user_sgpr_kernarg_preload_offset 0
		.amdhsa_user_sgpr_private_segment_size 0
		.amdhsa_uses_dynamic_stack 0
		.amdhsa_system_sgpr_private_segment_wavefront_offset 0
		.amdhsa_system_sgpr_workgroup_id_x 1
		.amdhsa_system_sgpr_workgroup_id_y 0
		.amdhsa_system_sgpr_workgroup_id_z 0
		.amdhsa_system_sgpr_workgroup_info 0
		.amdhsa_system_vgpr_workitem_id 0
		.amdhsa_next_free_vgpr 1
		.amdhsa_next_free_sgpr 0
		.amdhsa_accum_offset 4
		.amdhsa_reserve_vcc 0
		.amdhsa_reserve_flat_scratch 0
		.amdhsa_float_round_mode_32 0
		.amdhsa_float_round_mode_16_64 0
		.amdhsa_float_denorm_mode_32 3
		.amdhsa_float_denorm_mode_16_64 3
		.amdhsa_dx10_clamp 1
		.amdhsa_ieee_mode 1
		.amdhsa_fp16_overflow 0
		.amdhsa_tg_split 0
		.amdhsa_exception_fp_ieee_invalid_op 0
		.amdhsa_exception_fp_denorm_src 0
		.amdhsa_exception_fp_ieee_div_zero 0
		.amdhsa_exception_fp_ieee_overflow 0
		.amdhsa_exception_fp_ieee_underflow 0
		.amdhsa_exception_fp_ieee_inexact 0
		.amdhsa_exception_int_div_zero 0
	.end_amdhsa_kernel
	.section	.text._ZN7rocprim17ROCPRIM_400000_NS6detail17trampoline_kernelINS0_14default_configENS1_22reduce_config_selectorIfEEZNS1_11reduce_implILb1ES3_N6thrust23THRUST_200600_302600_NS11hip_rocprim26transform_input_iterator_tIfNS8_17counting_iteratorIiNS8_11use_defaultESC_SC_EE11estimate_piEEPffNS8_4plusIfEEEE10hipError_tPvRmT1_T2_T3_mT4_P12ihipStream_tbEUlT_E1_NS1_11comp_targetILNS1_3genE9ELNS1_11target_archE1100ELNS1_3gpuE3ELNS1_3repE0EEENS1_30default_config_static_selectorELNS0_4arch9wavefront6targetE1EEEvSM_,"axG",@progbits,_ZN7rocprim17ROCPRIM_400000_NS6detail17trampoline_kernelINS0_14default_configENS1_22reduce_config_selectorIfEEZNS1_11reduce_implILb1ES3_N6thrust23THRUST_200600_302600_NS11hip_rocprim26transform_input_iterator_tIfNS8_17counting_iteratorIiNS8_11use_defaultESC_SC_EE11estimate_piEEPffNS8_4plusIfEEEE10hipError_tPvRmT1_T2_T3_mT4_P12ihipStream_tbEUlT_E1_NS1_11comp_targetILNS1_3genE9ELNS1_11target_archE1100ELNS1_3gpuE3ELNS1_3repE0EEENS1_30default_config_static_selectorELNS0_4arch9wavefront6targetE1EEEvSM_,comdat
.Lfunc_end35:
	.size	_ZN7rocprim17ROCPRIM_400000_NS6detail17trampoline_kernelINS0_14default_configENS1_22reduce_config_selectorIfEEZNS1_11reduce_implILb1ES3_N6thrust23THRUST_200600_302600_NS11hip_rocprim26transform_input_iterator_tIfNS8_17counting_iteratorIiNS8_11use_defaultESC_SC_EE11estimate_piEEPffNS8_4plusIfEEEE10hipError_tPvRmT1_T2_T3_mT4_P12ihipStream_tbEUlT_E1_NS1_11comp_targetILNS1_3genE9ELNS1_11target_archE1100ELNS1_3gpuE3ELNS1_3repE0EEENS1_30default_config_static_selectorELNS0_4arch9wavefront6targetE1EEEvSM_, .Lfunc_end35-_ZN7rocprim17ROCPRIM_400000_NS6detail17trampoline_kernelINS0_14default_configENS1_22reduce_config_selectorIfEEZNS1_11reduce_implILb1ES3_N6thrust23THRUST_200600_302600_NS11hip_rocprim26transform_input_iterator_tIfNS8_17counting_iteratorIiNS8_11use_defaultESC_SC_EE11estimate_piEEPffNS8_4plusIfEEEE10hipError_tPvRmT1_T2_T3_mT4_P12ihipStream_tbEUlT_E1_NS1_11comp_targetILNS1_3genE9ELNS1_11target_archE1100ELNS1_3gpuE3ELNS1_3repE0EEENS1_30default_config_static_selectorELNS0_4arch9wavefront6targetE1EEEvSM_
                                        ; -- End function
	.section	.AMDGPU.csdata,"",@progbits
; Kernel info:
; codeLenInByte = 0
; NumSgprs: 4
; NumVgprs: 0
; NumAgprs: 0
; TotalNumVgprs: 0
; ScratchSize: 0
; MemoryBound: 0
; FloatMode: 240
; IeeeMode: 1
; LDSByteSize: 0 bytes/workgroup (compile time only)
; SGPRBlocks: 0
; VGPRBlocks: 0
; NumSGPRsForWavesPerEU: 4
; NumVGPRsForWavesPerEU: 1
; AccumOffset: 4
; Occupancy: 8
; WaveLimiterHint : 0
; COMPUTE_PGM_RSRC2:SCRATCH_EN: 0
; COMPUTE_PGM_RSRC2:USER_SGPR: 6
; COMPUTE_PGM_RSRC2:TRAP_HANDLER: 0
; COMPUTE_PGM_RSRC2:TGID_X_EN: 1
; COMPUTE_PGM_RSRC2:TGID_Y_EN: 0
; COMPUTE_PGM_RSRC2:TGID_Z_EN: 0
; COMPUTE_PGM_RSRC2:TIDIG_COMP_CNT: 0
; COMPUTE_PGM_RSRC3_GFX90A:ACCUM_OFFSET: 0
; COMPUTE_PGM_RSRC3_GFX90A:TG_SPLIT: 0
	.section	.text._ZN7rocprim17ROCPRIM_400000_NS6detail17trampoline_kernelINS0_14default_configENS1_22reduce_config_selectorIfEEZNS1_11reduce_implILb1ES3_N6thrust23THRUST_200600_302600_NS11hip_rocprim26transform_input_iterator_tIfNS8_17counting_iteratorIiNS8_11use_defaultESC_SC_EE11estimate_piEEPffNS8_4plusIfEEEE10hipError_tPvRmT1_T2_T3_mT4_P12ihipStream_tbEUlT_E1_NS1_11comp_targetILNS1_3genE8ELNS1_11target_archE1030ELNS1_3gpuE2ELNS1_3repE0EEENS1_30default_config_static_selectorELNS0_4arch9wavefront6targetE1EEEvSM_,"axG",@progbits,_ZN7rocprim17ROCPRIM_400000_NS6detail17trampoline_kernelINS0_14default_configENS1_22reduce_config_selectorIfEEZNS1_11reduce_implILb1ES3_N6thrust23THRUST_200600_302600_NS11hip_rocprim26transform_input_iterator_tIfNS8_17counting_iteratorIiNS8_11use_defaultESC_SC_EE11estimate_piEEPffNS8_4plusIfEEEE10hipError_tPvRmT1_T2_T3_mT4_P12ihipStream_tbEUlT_E1_NS1_11comp_targetILNS1_3genE8ELNS1_11target_archE1030ELNS1_3gpuE2ELNS1_3repE0EEENS1_30default_config_static_selectorELNS0_4arch9wavefront6targetE1EEEvSM_,comdat
	.protected	_ZN7rocprim17ROCPRIM_400000_NS6detail17trampoline_kernelINS0_14default_configENS1_22reduce_config_selectorIfEEZNS1_11reduce_implILb1ES3_N6thrust23THRUST_200600_302600_NS11hip_rocprim26transform_input_iterator_tIfNS8_17counting_iteratorIiNS8_11use_defaultESC_SC_EE11estimate_piEEPffNS8_4plusIfEEEE10hipError_tPvRmT1_T2_T3_mT4_P12ihipStream_tbEUlT_E1_NS1_11comp_targetILNS1_3genE8ELNS1_11target_archE1030ELNS1_3gpuE2ELNS1_3repE0EEENS1_30default_config_static_selectorELNS0_4arch9wavefront6targetE1EEEvSM_ ; -- Begin function _ZN7rocprim17ROCPRIM_400000_NS6detail17trampoline_kernelINS0_14default_configENS1_22reduce_config_selectorIfEEZNS1_11reduce_implILb1ES3_N6thrust23THRUST_200600_302600_NS11hip_rocprim26transform_input_iterator_tIfNS8_17counting_iteratorIiNS8_11use_defaultESC_SC_EE11estimate_piEEPffNS8_4plusIfEEEE10hipError_tPvRmT1_T2_T3_mT4_P12ihipStream_tbEUlT_E1_NS1_11comp_targetILNS1_3genE8ELNS1_11target_archE1030ELNS1_3gpuE2ELNS1_3repE0EEENS1_30default_config_static_selectorELNS0_4arch9wavefront6targetE1EEEvSM_
	.globl	_ZN7rocprim17ROCPRIM_400000_NS6detail17trampoline_kernelINS0_14default_configENS1_22reduce_config_selectorIfEEZNS1_11reduce_implILb1ES3_N6thrust23THRUST_200600_302600_NS11hip_rocprim26transform_input_iterator_tIfNS8_17counting_iteratorIiNS8_11use_defaultESC_SC_EE11estimate_piEEPffNS8_4plusIfEEEE10hipError_tPvRmT1_T2_T3_mT4_P12ihipStream_tbEUlT_E1_NS1_11comp_targetILNS1_3genE8ELNS1_11target_archE1030ELNS1_3gpuE2ELNS1_3repE0EEENS1_30default_config_static_selectorELNS0_4arch9wavefront6targetE1EEEvSM_
	.p2align	8
	.type	_ZN7rocprim17ROCPRIM_400000_NS6detail17trampoline_kernelINS0_14default_configENS1_22reduce_config_selectorIfEEZNS1_11reduce_implILb1ES3_N6thrust23THRUST_200600_302600_NS11hip_rocprim26transform_input_iterator_tIfNS8_17counting_iteratorIiNS8_11use_defaultESC_SC_EE11estimate_piEEPffNS8_4plusIfEEEE10hipError_tPvRmT1_T2_T3_mT4_P12ihipStream_tbEUlT_E1_NS1_11comp_targetILNS1_3genE8ELNS1_11target_archE1030ELNS1_3gpuE2ELNS1_3repE0EEENS1_30default_config_static_selectorELNS0_4arch9wavefront6targetE1EEEvSM_,@function
_ZN7rocprim17ROCPRIM_400000_NS6detail17trampoline_kernelINS0_14default_configENS1_22reduce_config_selectorIfEEZNS1_11reduce_implILb1ES3_N6thrust23THRUST_200600_302600_NS11hip_rocprim26transform_input_iterator_tIfNS8_17counting_iteratorIiNS8_11use_defaultESC_SC_EE11estimate_piEEPffNS8_4plusIfEEEE10hipError_tPvRmT1_T2_T3_mT4_P12ihipStream_tbEUlT_E1_NS1_11comp_targetILNS1_3genE8ELNS1_11target_archE1030ELNS1_3gpuE2ELNS1_3repE0EEENS1_30default_config_static_selectorELNS0_4arch9wavefront6targetE1EEEvSM_: ; @_ZN7rocprim17ROCPRIM_400000_NS6detail17trampoline_kernelINS0_14default_configENS1_22reduce_config_selectorIfEEZNS1_11reduce_implILb1ES3_N6thrust23THRUST_200600_302600_NS11hip_rocprim26transform_input_iterator_tIfNS8_17counting_iteratorIiNS8_11use_defaultESC_SC_EE11estimate_piEEPffNS8_4plusIfEEEE10hipError_tPvRmT1_T2_T3_mT4_P12ihipStream_tbEUlT_E1_NS1_11comp_targetILNS1_3genE8ELNS1_11target_archE1030ELNS1_3gpuE2ELNS1_3repE0EEENS1_30default_config_static_selectorELNS0_4arch9wavefront6targetE1EEEvSM_
; %bb.0:
	.section	.rodata,"a",@progbits
	.p2align	6, 0x0
	.amdhsa_kernel _ZN7rocprim17ROCPRIM_400000_NS6detail17trampoline_kernelINS0_14default_configENS1_22reduce_config_selectorIfEEZNS1_11reduce_implILb1ES3_N6thrust23THRUST_200600_302600_NS11hip_rocprim26transform_input_iterator_tIfNS8_17counting_iteratorIiNS8_11use_defaultESC_SC_EE11estimate_piEEPffNS8_4plusIfEEEE10hipError_tPvRmT1_T2_T3_mT4_P12ihipStream_tbEUlT_E1_NS1_11comp_targetILNS1_3genE8ELNS1_11target_archE1030ELNS1_3gpuE2ELNS1_3repE0EEENS1_30default_config_static_selectorELNS0_4arch9wavefront6targetE1EEEvSM_
		.amdhsa_group_segment_fixed_size 0
		.amdhsa_private_segment_fixed_size 0
		.amdhsa_kernarg_size 40
		.amdhsa_user_sgpr_count 6
		.amdhsa_user_sgpr_private_segment_buffer 1
		.amdhsa_user_sgpr_dispatch_ptr 0
		.amdhsa_user_sgpr_queue_ptr 0
		.amdhsa_user_sgpr_kernarg_segment_ptr 1
		.amdhsa_user_sgpr_dispatch_id 0
		.amdhsa_user_sgpr_flat_scratch_init 0
		.amdhsa_user_sgpr_kernarg_preload_length 0
		.amdhsa_user_sgpr_kernarg_preload_offset 0
		.amdhsa_user_sgpr_private_segment_size 0
		.amdhsa_uses_dynamic_stack 0
		.amdhsa_system_sgpr_private_segment_wavefront_offset 0
		.amdhsa_system_sgpr_workgroup_id_x 1
		.amdhsa_system_sgpr_workgroup_id_y 0
		.amdhsa_system_sgpr_workgroup_id_z 0
		.amdhsa_system_sgpr_workgroup_info 0
		.amdhsa_system_vgpr_workitem_id 0
		.amdhsa_next_free_vgpr 1
		.amdhsa_next_free_sgpr 0
		.amdhsa_accum_offset 4
		.amdhsa_reserve_vcc 0
		.amdhsa_reserve_flat_scratch 0
		.amdhsa_float_round_mode_32 0
		.amdhsa_float_round_mode_16_64 0
		.amdhsa_float_denorm_mode_32 3
		.amdhsa_float_denorm_mode_16_64 3
		.amdhsa_dx10_clamp 1
		.amdhsa_ieee_mode 1
		.amdhsa_fp16_overflow 0
		.amdhsa_tg_split 0
		.amdhsa_exception_fp_ieee_invalid_op 0
		.amdhsa_exception_fp_denorm_src 0
		.amdhsa_exception_fp_ieee_div_zero 0
		.amdhsa_exception_fp_ieee_overflow 0
		.amdhsa_exception_fp_ieee_underflow 0
		.amdhsa_exception_fp_ieee_inexact 0
		.amdhsa_exception_int_div_zero 0
	.end_amdhsa_kernel
	.section	.text._ZN7rocprim17ROCPRIM_400000_NS6detail17trampoline_kernelINS0_14default_configENS1_22reduce_config_selectorIfEEZNS1_11reduce_implILb1ES3_N6thrust23THRUST_200600_302600_NS11hip_rocprim26transform_input_iterator_tIfNS8_17counting_iteratorIiNS8_11use_defaultESC_SC_EE11estimate_piEEPffNS8_4plusIfEEEE10hipError_tPvRmT1_T2_T3_mT4_P12ihipStream_tbEUlT_E1_NS1_11comp_targetILNS1_3genE8ELNS1_11target_archE1030ELNS1_3gpuE2ELNS1_3repE0EEENS1_30default_config_static_selectorELNS0_4arch9wavefront6targetE1EEEvSM_,"axG",@progbits,_ZN7rocprim17ROCPRIM_400000_NS6detail17trampoline_kernelINS0_14default_configENS1_22reduce_config_selectorIfEEZNS1_11reduce_implILb1ES3_N6thrust23THRUST_200600_302600_NS11hip_rocprim26transform_input_iterator_tIfNS8_17counting_iteratorIiNS8_11use_defaultESC_SC_EE11estimate_piEEPffNS8_4plusIfEEEE10hipError_tPvRmT1_T2_T3_mT4_P12ihipStream_tbEUlT_E1_NS1_11comp_targetILNS1_3genE8ELNS1_11target_archE1030ELNS1_3gpuE2ELNS1_3repE0EEENS1_30default_config_static_selectorELNS0_4arch9wavefront6targetE1EEEvSM_,comdat
.Lfunc_end36:
	.size	_ZN7rocprim17ROCPRIM_400000_NS6detail17trampoline_kernelINS0_14default_configENS1_22reduce_config_selectorIfEEZNS1_11reduce_implILb1ES3_N6thrust23THRUST_200600_302600_NS11hip_rocprim26transform_input_iterator_tIfNS8_17counting_iteratorIiNS8_11use_defaultESC_SC_EE11estimate_piEEPffNS8_4plusIfEEEE10hipError_tPvRmT1_T2_T3_mT4_P12ihipStream_tbEUlT_E1_NS1_11comp_targetILNS1_3genE8ELNS1_11target_archE1030ELNS1_3gpuE2ELNS1_3repE0EEENS1_30default_config_static_selectorELNS0_4arch9wavefront6targetE1EEEvSM_, .Lfunc_end36-_ZN7rocprim17ROCPRIM_400000_NS6detail17trampoline_kernelINS0_14default_configENS1_22reduce_config_selectorIfEEZNS1_11reduce_implILb1ES3_N6thrust23THRUST_200600_302600_NS11hip_rocprim26transform_input_iterator_tIfNS8_17counting_iteratorIiNS8_11use_defaultESC_SC_EE11estimate_piEEPffNS8_4plusIfEEEE10hipError_tPvRmT1_T2_T3_mT4_P12ihipStream_tbEUlT_E1_NS1_11comp_targetILNS1_3genE8ELNS1_11target_archE1030ELNS1_3gpuE2ELNS1_3repE0EEENS1_30default_config_static_selectorELNS0_4arch9wavefront6targetE1EEEvSM_
                                        ; -- End function
	.section	.AMDGPU.csdata,"",@progbits
; Kernel info:
; codeLenInByte = 0
; NumSgprs: 4
; NumVgprs: 0
; NumAgprs: 0
; TotalNumVgprs: 0
; ScratchSize: 0
; MemoryBound: 0
; FloatMode: 240
; IeeeMode: 1
; LDSByteSize: 0 bytes/workgroup (compile time only)
; SGPRBlocks: 0
; VGPRBlocks: 0
; NumSGPRsForWavesPerEU: 4
; NumVGPRsForWavesPerEU: 1
; AccumOffset: 4
; Occupancy: 8
; WaveLimiterHint : 0
; COMPUTE_PGM_RSRC2:SCRATCH_EN: 0
; COMPUTE_PGM_RSRC2:USER_SGPR: 6
; COMPUTE_PGM_RSRC2:TRAP_HANDLER: 0
; COMPUTE_PGM_RSRC2:TGID_X_EN: 1
; COMPUTE_PGM_RSRC2:TGID_Y_EN: 0
; COMPUTE_PGM_RSRC2:TGID_Z_EN: 0
; COMPUTE_PGM_RSRC2:TIDIG_COMP_CNT: 0
; COMPUTE_PGM_RSRC3_GFX90A:ACCUM_OFFSET: 0
; COMPUTE_PGM_RSRC3_GFX90A:TG_SPLIT: 0
	.text
	.p2alignl 6, 3212836864
	.fill 256, 4, 3212836864
	.type	__hip_cuid_a51b24f287b5b9b0,@object ; @__hip_cuid_a51b24f287b5b9b0
	.section	.bss,"aw",@nobits
	.globl	__hip_cuid_a51b24f287b5b9b0
__hip_cuid_a51b24f287b5b9b0:
	.byte	0                               ; 0x0
	.size	__hip_cuid_a51b24f287b5b9b0, 1

	.ident	"AMD clang version 19.0.0git (https://github.com/RadeonOpenCompute/llvm-project roc-6.4.0 25133 c7fe45cf4b819c5991fe208aaa96edf142730f1d)"
	.section	".note.GNU-stack","",@progbits
	.addrsig
	.addrsig_sym __hip_cuid_a51b24f287b5b9b0
	.amdgpu_metadata
---
amdhsa.kernels:
  - .agpr_count:     0
    .args:
      - .offset:         0
        .size:           56
        .value_kind:     by_value
    .group_segment_fixed_size: 0
    .kernarg_segment_align: 8
    .kernarg_segment_size: 56
    .language:       OpenCL C
    .language_version:
      - 2
      - 0
    .max_flat_workgroup_size: 256
    .name:           _ZN7rocprim17ROCPRIM_400000_NS6detail17trampoline_kernelINS0_14default_configENS1_22reduce_config_selectorIfEEZNS1_11reduce_implILb1ES3_PfS7_fN6thrust23THRUST_200600_302600_NS4plusIfEEEE10hipError_tPvRmT1_T2_T3_mT4_P12ihipStream_tbEUlT_E0_NS1_11comp_targetILNS1_3genE0ELNS1_11target_archE4294967295ELNS1_3gpuE0ELNS1_3repE0EEENS1_30default_config_static_selectorELNS0_4arch9wavefront6targetE1EEEvSF_
    .private_segment_fixed_size: 0
    .sgpr_count:     4
    .sgpr_spill_count: 0
    .symbol:         _ZN7rocprim17ROCPRIM_400000_NS6detail17trampoline_kernelINS0_14default_configENS1_22reduce_config_selectorIfEEZNS1_11reduce_implILb1ES3_PfS7_fN6thrust23THRUST_200600_302600_NS4plusIfEEEE10hipError_tPvRmT1_T2_T3_mT4_P12ihipStream_tbEUlT_E0_NS1_11comp_targetILNS1_3genE0ELNS1_11target_archE4294967295ELNS1_3gpuE0ELNS1_3repE0EEENS1_30default_config_static_selectorELNS0_4arch9wavefront6targetE1EEEvSF_.kd
    .uniform_work_group_size: 1
    .uses_dynamic_stack: false
    .vgpr_count:     0
    .vgpr_spill_count: 0
    .wavefront_size: 64
  - .agpr_count:     0
    .args:
      - .offset:         0
        .size:           56
        .value_kind:     by_value
    .group_segment_fixed_size: 0
    .kernarg_segment_align: 8
    .kernarg_segment_size: 56
    .language:       OpenCL C
    .language_version:
      - 2
      - 0
    .max_flat_workgroup_size: 128
    .name:           _ZN7rocprim17ROCPRIM_400000_NS6detail17trampoline_kernelINS0_14default_configENS1_22reduce_config_selectorIfEEZNS1_11reduce_implILb1ES3_PfS7_fN6thrust23THRUST_200600_302600_NS4plusIfEEEE10hipError_tPvRmT1_T2_T3_mT4_P12ihipStream_tbEUlT_E0_NS1_11comp_targetILNS1_3genE5ELNS1_11target_archE942ELNS1_3gpuE9ELNS1_3repE0EEENS1_30default_config_static_selectorELNS0_4arch9wavefront6targetE1EEEvSF_
    .private_segment_fixed_size: 0
    .sgpr_count:     4
    .sgpr_spill_count: 0
    .symbol:         _ZN7rocprim17ROCPRIM_400000_NS6detail17trampoline_kernelINS0_14default_configENS1_22reduce_config_selectorIfEEZNS1_11reduce_implILb1ES3_PfS7_fN6thrust23THRUST_200600_302600_NS4plusIfEEEE10hipError_tPvRmT1_T2_T3_mT4_P12ihipStream_tbEUlT_E0_NS1_11comp_targetILNS1_3genE5ELNS1_11target_archE942ELNS1_3gpuE9ELNS1_3repE0EEENS1_30default_config_static_selectorELNS0_4arch9wavefront6targetE1EEEvSF_.kd
    .uniform_work_group_size: 1
    .uses_dynamic_stack: false
    .vgpr_count:     0
    .vgpr_spill_count: 0
    .wavefront_size: 64
  - .agpr_count:     0
    .args:
      - .offset:         0
        .size:           56
        .value_kind:     by_value
    .group_segment_fixed_size: 16
    .kernarg_segment_align: 8
    .kernarg_segment_size: 56
    .language:       OpenCL C
    .language_version:
      - 2
      - 0
    .max_flat_workgroup_size: 128
    .name:           _ZN7rocprim17ROCPRIM_400000_NS6detail17trampoline_kernelINS0_14default_configENS1_22reduce_config_selectorIfEEZNS1_11reduce_implILb1ES3_PfS7_fN6thrust23THRUST_200600_302600_NS4plusIfEEEE10hipError_tPvRmT1_T2_T3_mT4_P12ihipStream_tbEUlT_E0_NS1_11comp_targetILNS1_3genE4ELNS1_11target_archE910ELNS1_3gpuE8ELNS1_3repE0EEENS1_30default_config_static_selectorELNS0_4arch9wavefront6targetE1EEEvSF_
    .private_segment_fixed_size: 0
    .sgpr_count:     32
    .sgpr_spill_count: 0
    .symbol:         _ZN7rocprim17ROCPRIM_400000_NS6detail17trampoline_kernelINS0_14default_configENS1_22reduce_config_selectorIfEEZNS1_11reduce_implILb1ES3_PfS7_fN6thrust23THRUST_200600_302600_NS4plusIfEEEE10hipError_tPvRmT1_T2_T3_mT4_P12ihipStream_tbEUlT_E0_NS1_11comp_targetILNS1_3genE4ELNS1_11target_archE910ELNS1_3gpuE8ELNS1_3repE0EEENS1_30default_config_static_selectorELNS0_4arch9wavefront6targetE1EEEvSF_.kd
    .uniform_work_group_size: 1
    .uses_dynamic_stack: false
    .vgpr_count:     13
    .vgpr_spill_count: 0
    .wavefront_size: 64
  - .agpr_count:     0
    .args:
      - .offset:         0
        .size:           56
        .value_kind:     by_value
    .group_segment_fixed_size: 0
    .kernarg_segment_align: 8
    .kernarg_segment_size: 56
    .language:       OpenCL C
    .language_version:
      - 2
      - 0
    .max_flat_workgroup_size: 256
    .name:           _ZN7rocprim17ROCPRIM_400000_NS6detail17trampoline_kernelINS0_14default_configENS1_22reduce_config_selectorIfEEZNS1_11reduce_implILb1ES3_PfS7_fN6thrust23THRUST_200600_302600_NS4plusIfEEEE10hipError_tPvRmT1_T2_T3_mT4_P12ihipStream_tbEUlT_E0_NS1_11comp_targetILNS1_3genE3ELNS1_11target_archE908ELNS1_3gpuE7ELNS1_3repE0EEENS1_30default_config_static_selectorELNS0_4arch9wavefront6targetE1EEEvSF_
    .private_segment_fixed_size: 0
    .sgpr_count:     4
    .sgpr_spill_count: 0
    .symbol:         _ZN7rocprim17ROCPRIM_400000_NS6detail17trampoline_kernelINS0_14default_configENS1_22reduce_config_selectorIfEEZNS1_11reduce_implILb1ES3_PfS7_fN6thrust23THRUST_200600_302600_NS4plusIfEEEE10hipError_tPvRmT1_T2_T3_mT4_P12ihipStream_tbEUlT_E0_NS1_11comp_targetILNS1_3genE3ELNS1_11target_archE908ELNS1_3gpuE7ELNS1_3repE0EEENS1_30default_config_static_selectorELNS0_4arch9wavefront6targetE1EEEvSF_.kd
    .uniform_work_group_size: 1
    .uses_dynamic_stack: false
    .vgpr_count:     0
    .vgpr_spill_count: 0
    .wavefront_size: 64
  - .agpr_count:     0
    .args:
      - .offset:         0
        .size:           56
        .value_kind:     by_value
    .group_segment_fixed_size: 0
    .kernarg_segment_align: 8
    .kernarg_segment_size: 56
    .language:       OpenCL C
    .language_version:
      - 2
      - 0
    .max_flat_workgroup_size: 256
    .name:           _ZN7rocprim17ROCPRIM_400000_NS6detail17trampoline_kernelINS0_14default_configENS1_22reduce_config_selectorIfEEZNS1_11reduce_implILb1ES3_PfS7_fN6thrust23THRUST_200600_302600_NS4plusIfEEEE10hipError_tPvRmT1_T2_T3_mT4_P12ihipStream_tbEUlT_E0_NS1_11comp_targetILNS1_3genE2ELNS1_11target_archE906ELNS1_3gpuE6ELNS1_3repE0EEENS1_30default_config_static_selectorELNS0_4arch9wavefront6targetE1EEEvSF_
    .private_segment_fixed_size: 0
    .sgpr_count:     4
    .sgpr_spill_count: 0
    .symbol:         _ZN7rocprim17ROCPRIM_400000_NS6detail17trampoline_kernelINS0_14default_configENS1_22reduce_config_selectorIfEEZNS1_11reduce_implILb1ES3_PfS7_fN6thrust23THRUST_200600_302600_NS4plusIfEEEE10hipError_tPvRmT1_T2_T3_mT4_P12ihipStream_tbEUlT_E0_NS1_11comp_targetILNS1_3genE2ELNS1_11target_archE906ELNS1_3gpuE6ELNS1_3repE0EEENS1_30default_config_static_selectorELNS0_4arch9wavefront6targetE1EEEvSF_.kd
    .uniform_work_group_size: 1
    .uses_dynamic_stack: false
    .vgpr_count:     0
    .vgpr_spill_count: 0
    .wavefront_size: 64
  - .agpr_count:     0
    .args:
      - .offset:         0
        .size:           56
        .value_kind:     by_value
    .group_segment_fixed_size: 0
    .kernarg_segment_align: 8
    .kernarg_segment_size: 56
    .language:       OpenCL C
    .language_version:
      - 2
      - 0
    .max_flat_workgroup_size: 256
    .name:           _ZN7rocprim17ROCPRIM_400000_NS6detail17trampoline_kernelINS0_14default_configENS1_22reduce_config_selectorIfEEZNS1_11reduce_implILb1ES3_PfS7_fN6thrust23THRUST_200600_302600_NS4plusIfEEEE10hipError_tPvRmT1_T2_T3_mT4_P12ihipStream_tbEUlT_E0_NS1_11comp_targetILNS1_3genE10ELNS1_11target_archE1201ELNS1_3gpuE5ELNS1_3repE0EEENS1_30default_config_static_selectorELNS0_4arch9wavefront6targetE1EEEvSF_
    .private_segment_fixed_size: 0
    .sgpr_count:     4
    .sgpr_spill_count: 0
    .symbol:         _ZN7rocprim17ROCPRIM_400000_NS6detail17trampoline_kernelINS0_14default_configENS1_22reduce_config_selectorIfEEZNS1_11reduce_implILb1ES3_PfS7_fN6thrust23THRUST_200600_302600_NS4plusIfEEEE10hipError_tPvRmT1_T2_T3_mT4_P12ihipStream_tbEUlT_E0_NS1_11comp_targetILNS1_3genE10ELNS1_11target_archE1201ELNS1_3gpuE5ELNS1_3repE0EEENS1_30default_config_static_selectorELNS0_4arch9wavefront6targetE1EEEvSF_.kd
    .uniform_work_group_size: 1
    .uses_dynamic_stack: false
    .vgpr_count:     0
    .vgpr_spill_count: 0
    .wavefront_size: 64
  - .agpr_count:     0
    .args:
      - .offset:         0
        .size:           56
        .value_kind:     by_value
    .group_segment_fixed_size: 0
    .kernarg_segment_align: 8
    .kernarg_segment_size: 56
    .language:       OpenCL C
    .language_version:
      - 2
      - 0
    .max_flat_workgroup_size: 256
    .name:           _ZN7rocprim17ROCPRIM_400000_NS6detail17trampoline_kernelINS0_14default_configENS1_22reduce_config_selectorIfEEZNS1_11reduce_implILb1ES3_PfS7_fN6thrust23THRUST_200600_302600_NS4plusIfEEEE10hipError_tPvRmT1_T2_T3_mT4_P12ihipStream_tbEUlT_E0_NS1_11comp_targetILNS1_3genE10ELNS1_11target_archE1200ELNS1_3gpuE4ELNS1_3repE0EEENS1_30default_config_static_selectorELNS0_4arch9wavefront6targetE1EEEvSF_
    .private_segment_fixed_size: 0
    .sgpr_count:     4
    .sgpr_spill_count: 0
    .symbol:         _ZN7rocprim17ROCPRIM_400000_NS6detail17trampoline_kernelINS0_14default_configENS1_22reduce_config_selectorIfEEZNS1_11reduce_implILb1ES3_PfS7_fN6thrust23THRUST_200600_302600_NS4plusIfEEEE10hipError_tPvRmT1_T2_T3_mT4_P12ihipStream_tbEUlT_E0_NS1_11comp_targetILNS1_3genE10ELNS1_11target_archE1200ELNS1_3gpuE4ELNS1_3repE0EEENS1_30default_config_static_selectorELNS0_4arch9wavefront6targetE1EEEvSF_.kd
    .uniform_work_group_size: 1
    .uses_dynamic_stack: false
    .vgpr_count:     0
    .vgpr_spill_count: 0
    .wavefront_size: 64
  - .agpr_count:     0
    .args:
      - .offset:         0
        .size:           56
        .value_kind:     by_value
    .group_segment_fixed_size: 0
    .kernarg_segment_align: 8
    .kernarg_segment_size: 56
    .language:       OpenCL C
    .language_version:
      - 2
      - 0
    .max_flat_workgroup_size: 256
    .name:           _ZN7rocprim17ROCPRIM_400000_NS6detail17trampoline_kernelINS0_14default_configENS1_22reduce_config_selectorIfEEZNS1_11reduce_implILb1ES3_PfS7_fN6thrust23THRUST_200600_302600_NS4plusIfEEEE10hipError_tPvRmT1_T2_T3_mT4_P12ihipStream_tbEUlT_E0_NS1_11comp_targetILNS1_3genE9ELNS1_11target_archE1100ELNS1_3gpuE3ELNS1_3repE0EEENS1_30default_config_static_selectorELNS0_4arch9wavefront6targetE1EEEvSF_
    .private_segment_fixed_size: 0
    .sgpr_count:     4
    .sgpr_spill_count: 0
    .symbol:         _ZN7rocprim17ROCPRIM_400000_NS6detail17trampoline_kernelINS0_14default_configENS1_22reduce_config_selectorIfEEZNS1_11reduce_implILb1ES3_PfS7_fN6thrust23THRUST_200600_302600_NS4plusIfEEEE10hipError_tPvRmT1_T2_T3_mT4_P12ihipStream_tbEUlT_E0_NS1_11comp_targetILNS1_3genE9ELNS1_11target_archE1100ELNS1_3gpuE3ELNS1_3repE0EEENS1_30default_config_static_selectorELNS0_4arch9wavefront6targetE1EEEvSF_.kd
    .uniform_work_group_size: 1
    .uses_dynamic_stack: false
    .vgpr_count:     0
    .vgpr_spill_count: 0
    .wavefront_size: 64
  - .agpr_count:     0
    .args:
      - .offset:         0
        .size:           56
        .value_kind:     by_value
    .group_segment_fixed_size: 0
    .kernarg_segment_align: 8
    .kernarg_segment_size: 56
    .language:       OpenCL C
    .language_version:
      - 2
      - 0
    .max_flat_workgroup_size: 256
    .name:           _ZN7rocprim17ROCPRIM_400000_NS6detail17trampoline_kernelINS0_14default_configENS1_22reduce_config_selectorIfEEZNS1_11reduce_implILb1ES3_PfS7_fN6thrust23THRUST_200600_302600_NS4plusIfEEEE10hipError_tPvRmT1_T2_T3_mT4_P12ihipStream_tbEUlT_E0_NS1_11comp_targetILNS1_3genE8ELNS1_11target_archE1030ELNS1_3gpuE2ELNS1_3repE0EEENS1_30default_config_static_selectorELNS0_4arch9wavefront6targetE1EEEvSF_
    .private_segment_fixed_size: 0
    .sgpr_count:     4
    .sgpr_spill_count: 0
    .symbol:         _ZN7rocprim17ROCPRIM_400000_NS6detail17trampoline_kernelINS0_14default_configENS1_22reduce_config_selectorIfEEZNS1_11reduce_implILb1ES3_PfS7_fN6thrust23THRUST_200600_302600_NS4plusIfEEEE10hipError_tPvRmT1_T2_T3_mT4_P12ihipStream_tbEUlT_E0_NS1_11comp_targetILNS1_3genE8ELNS1_11target_archE1030ELNS1_3gpuE2ELNS1_3repE0EEENS1_30default_config_static_selectorELNS0_4arch9wavefront6targetE1EEEvSF_.kd
    .uniform_work_group_size: 1
    .uses_dynamic_stack: false
    .vgpr_count:     0
    .vgpr_spill_count: 0
    .wavefront_size: 64
  - .agpr_count:     0
    .args:
      - .offset:         0
        .size:           40
        .value_kind:     by_value
    .group_segment_fixed_size: 0
    .kernarg_segment_align: 8
    .kernarg_segment_size: 40
    .language:       OpenCL C
    .language_version:
      - 2
      - 0
    .max_flat_workgroup_size: 256
    .name:           _ZN7rocprim17ROCPRIM_400000_NS6detail17trampoline_kernelINS0_14default_configENS1_22reduce_config_selectorIfEEZNS1_11reduce_implILb1ES3_PfS7_fN6thrust23THRUST_200600_302600_NS4plusIfEEEE10hipError_tPvRmT1_T2_T3_mT4_P12ihipStream_tbEUlT_E1_NS1_11comp_targetILNS1_3genE0ELNS1_11target_archE4294967295ELNS1_3gpuE0ELNS1_3repE0EEENS1_30default_config_static_selectorELNS0_4arch9wavefront6targetE1EEEvSF_
    .private_segment_fixed_size: 0
    .sgpr_count:     4
    .sgpr_spill_count: 0
    .symbol:         _ZN7rocprim17ROCPRIM_400000_NS6detail17trampoline_kernelINS0_14default_configENS1_22reduce_config_selectorIfEEZNS1_11reduce_implILb1ES3_PfS7_fN6thrust23THRUST_200600_302600_NS4plusIfEEEE10hipError_tPvRmT1_T2_T3_mT4_P12ihipStream_tbEUlT_E1_NS1_11comp_targetILNS1_3genE0ELNS1_11target_archE4294967295ELNS1_3gpuE0ELNS1_3repE0EEENS1_30default_config_static_selectorELNS0_4arch9wavefront6targetE1EEEvSF_.kd
    .uniform_work_group_size: 1
    .uses_dynamic_stack: false
    .vgpr_count:     0
    .vgpr_spill_count: 0
    .wavefront_size: 64
  - .agpr_count:     0
    .args:
      - .offset:         0
        .size:           40
        .value_kind:     by_value
    .group_segment_fixed_size: 0
    .kernarg_segment_align: 8
    .kernarg_segment_size: 40
    .language:       OpenCL C
    .language_version:
      - 2
      - 0
    .max_flat_workgroup_size: 128
    .name:           _ZN7rocprim17ROCPRIM_400000_NS6detail17trampoline_kernelINS0_14default_configENS1_22reduce_config_selectorIfEEZNS1_11reduce_implILb1ES3_PfS7_fN6thrust23THRUST_200600_302600_NS4plusIfEEEE10hipError_tPvRmT1_T2_T3_mT4_P12ihipStream_tbEUlT_E1_NS1_11comp_targetILNS1_3genE5ELNS1_11target_archE942ELNS1_3gpuE9ELNS1_3repE0EEENS1_30default_config_static_selectorELNS0_4arch9wavefront6targetE1EEEvSF_
    .private_segment_fixed_size: 0
    .sgpr_count:     4
    .sgpr_spill_count: 0
    .symbol:         _ZN7rocprim17ROCPRIM_400000_NS6detail17trampoline_kernelINS0_14default_configENS1_22reduce_config_selectorIfEEZNS1_11reduce_implILb1ES3_PfS7_fN6thrust23THRUST_200600_302600_NS4plusIfEEEE10hipError_tPvRmT1_T2_T3_mT4_P12ihipStream_tbEUlT_E1_NS1_11comp_targetILNS1_3genE5ELNS1_11target_archE942ELNS1_3gpuE9ELNS1_3repE0EEENS1_30default_config_static_selectorELNS0_4arch9wavefront6targetE1EEEvSF_.kd
    .uniform_work_group_size: 1
    .uses_dynamic_stack: false
    .vgpr_count:     0
    .vgpr_spill_count: 0
    .wavefront_size: 64
  - .agpr_count:     0
    .args:
      - .offset:         0
        .size:           40
        .value_kind:     by_value
    .group_segment_fixed_size: 56
    .kernarg_segment_align: 8
    .kernarg_segment_size: 40
    .language:       OpenCL C
    .language_version:
      - 2
      - 0
    .max_flat_workgroup_size: 128
    .name:           _ZN7rocprim17ROCPRIM_400000_NS6detail17trampoline_kernelINS0_14default_configENS1_22reduce_config_selectorIfEEZNS1_11reduce_implILb1ES3_PfS7_fN6thrust23THRUST_200600_302600_NS4plusIfEEEE10hipError_tPvRmT1_T2_T3_mT4_P12ihipStream_tbEUlT_E1_NS1_11comp_targetILNS1_3genE4ELNS1_11target_archE910ELNS1_3gpuE8ELNS1_3repE0EEENS1_30default_config_static_selectorELNS0_4arch9wavefront6targetE1EEEvSF_
    .private_segment_fixed_size: 0
    .sgpr_count:     81
    .sgpr_spill_count: 0
    .symbol:         _ZN7rocprim17ROCPRIM_400000_NS6detail17trampoline_kernelINS0_14default_configENS1_22reduce_config_selectorIfEEZNS1_11reduce_implILb1ES3_PfS7_fN6thrust23THRUST_200600_302600_NS4plusIfEEEE10hipError_tPvRmT1_T2_T3_mT4_P12ihipStream_tbEUlT_E1_NS1_11comp_targetILNS1_3genE4ELNS1_11target_archE910ELNS1_3gpuE8ELNS1_3repE0EEENS1_30default_config_static_selectorELNS0_4arch9wavefront6targetE1EEEvSF_.kd
    .uniform_work_group_size: 1
    .uses_dynamic_stack: false
    .vgpr_count:     35
    .vgpr_spill_count: 0
    .wavefront_size: 64
  - .agpr_count:     0
    .args:
      - .offset:         0
        .size:           40
        .value_kind:     by_value
    .group_segment_fixed_size: 0
    .kernarg_segment_align: 8
    .kernarg_segment_size: 40
    .language:       OpenCL C
    .language_version:
      - 2
      - 0
    .max_flat_workgroup_size: 256
    .name:           _ZN7rocprim17ROCPRIM_400000_NS6detail17trampoline_kernelINS0_14default_configENS1_22reduce_config_selectorIfEEZNS1_11reduce_implILb1ES3_PfS7_fN6thrust23THRUST_200600_302600_NS4plusIfEEEE10hipError_tPvRmT1_T2_T3_mT4_P12ihipStream_tbEUlT_E1_NS1_11comp_targetILNS1_3genE3ELNS1_11target_archE908ELNS1_3gpuE7ELNS1_3repE0EEENS1_30default_config_static_selectorELNS0_4arch9wavefront6targetE1EEEvSF_
    .private_segment_fixed_size: 0
    .sgpr_count:     4
    .sgpr_spill_count: 0
    .symbol:         _ZN7rocprim17ROCPRIM_400000_NS6detail17trampoline_kernelINS0_14default_configENS1_22reduce_config_selectorIfEEZNS1_11reduce_implILb1ES3_PfS7_fN6thrust23THRUST_200600_302600_NS4plusIfEEEE10hipError_tPvRmT1_T2_T3_mT4_P12ihipStream_tbEUlT_E1_NS1_11comp_targetILNS1_3genE3ELNS1_11target_archE908ELNS1_3gpuE7ELNS1_3repE0EEENS1_30default_config_static_selectorELNS0_4arch9wavefront6targetE1EEEvSF_.kd
    .uniform_work_group_size: 1
    .uses_dynamic_stack: false
    .vgpr_count:     0
    .vgpr_spill_count: 0
    .wavefront_size: 64
  - .agpr_count:     0
    .args:
      - .offset:         0
        .size:           40
        .value_kind:     by_value
    .group_segment_fixed_size: 0
    .kernarg_segment_align: 8
    .kernarg_segment_size: 40
    .language:       OpenCL C
    .language_version:
      - 2
      - 0
    .max_flat_workgroup_size: 256
    .name:           _ZN7rocprim17ROCPRIM_400000_NS6detail17trampoline_kernelINS0_14default_configENS1_22reduce_config_selectorIfEEZNS1_11reduce_implILb1ES3_PfS7_fN6thrust23THRUST_200600_302600_NS4plusIfEEEE10hipError_tPvRmT1_T2_T3_mT4_P12ihipStream_tbEUlT_E1_NS1_11comp_targetILNS1_3genE2ELNS1_11target_archE906ELNS1_3gpuE6ELNS1_3repE0EEENS1_30default_config_static_selectorELNS0_4arch9wavefront6targetE1EEEvSF_
    .private_segment_fixed_size: 0
    .sgpr_count:     4
    .sgpr_spill_count: 0
    .symbol:         _ZN7rocprim17ROCPRIM_400000_NS6detail17trampoline_kernelINS0_14default_configENS1_22reduce_config_selectorIfEEZNS1_11reduce_implILb1ES3_PfS7_fN6thrust23THRUST_200600_302600_NS4plusIfEEEE10hipError_tPvRmT1_T2_T3_mT4_P12ihipStream_tbEUlT_E1_NS1_11comp_targetILNS1_3genE2ELNS1_11target_archE906ELNS1_3gpuE6ELNS1_3repE0EEENS1_30default_config_static_selectorELNS0_4arch9wavefront6targetE1EEEvSF_.kd
    .uniform_work_group_size: 1
    .uses_dynamic_stack: false
    .vgpr_count:     0
    .vgpr_spill_count: 0
    .wavefront_size: 64
  - .agpr_count:     0
    .args:
      - .offset:         0
        .size:           40
        .value_kind:     by_value
    .group_segment_fixed_size: 0
    .kernarg_segment_align: 8
    .kernarg_segment_size: 40
    .language:       OpenCL C
    .language_version:
      - 2
      - 0
    .max_flat_workgroup_size: 256
    .name:           _ZN7rocprim17ROCPRIM_400000_NS6detail17trampoline_kernelINS0_14default_configENS1_22reduce_config_selectorIfEEZNS1_11reduce_implILb1ES3_PfS7_fN6thrust23THRUST_200600_302600_NS4plusIfEEEE10hipError_tPvRmT1_T2_T3_mT4_P12ihipStream_tbEUlT_E1_NS1_11comp_targetILNS1_3genE10ELNS1_11target_archE1201ELNS1_3gpuE5ELNS1_3repE0EEENS1_30default_config_static_selectorELNS0_4arch9wavefront6targetE1EEEvSF_
    .private_segment_fixed_size: 0
    .sgpr_count:     4
    .sgpr_spill_count: 0
    .symbol:         _ZN7rocprim17ROCPRIM_400000_NS6detail17trampoline_kernelINS0_14default_configENS1_22reduce_config_selectorIfEEZNS1_11reduce_implILb1ES3_PfS7_fN6thrust23THRUST_200600_302600_NS4plusIfEEEE10hipError_tPvRmT1_T2_T3_mT4_P12ihipStream_tbEUlT_E1_NS1_11comp_targetILNS1_3genE10ELNS1_11target_archE1201ELNS1_3gpuE5ELNS1_3repE0EEENS1_30default_config_static_selectorELNS0_4arch9wavefront6targetE1EEEvSF_.kd
    .uniform_work_group_size: 1
    .uses_dynamic_stack: false
    .vgpr_count:     0
    .vgpr_spill_count: 0
    .wavefront_size: 64
  - .agpr_count:     0
    .args:
      - .offset:         0
        .size:           40
        .value_kind:     by_value
    .group_segment_fixed_size: 0
    .kernarg_segment_align: 8
    .kernarg_segment_size: 40
    .language:       OpenCL C
    .language_version:
      - 2
      - 0
    .max_flat_workgroup_size: 256
    .name:           _ZN7rocprim17ROCPRIM_400000_NS6detail17trampoline_kernelINS0_14default_configENS1_22reduce_config_selectorIfEEZNS1_11reduce_implILb1ES3_PfS7_fN6thrust23THRUST_200600_302600_NS4plusIfEEEE10hipError_tPvRmT1_T2_T3_mT4_P12ihipStream_tbEUlT_E1_NS1_11comp_targetILNS1_3genE10ELNS1_11target_archE1200ELNS1_3gpuE4ELNS1_3repE0EEENS1_30default_config_static_selectorELNS0_4arch9wavefront6targetE1EEEvSF_
    .private_segment_fixed_size: 0
    .sgpr_count:     4
    .sgpr_spill_count: 0
    .symbol:         _ZN7rocprim17ROCPRIM_400000_NS6detail17trampoline_kernelINS0_14default_configENS1_22reduce_config_selectorIfEEZNS1_11reduce_implILb1ES3_PfS7_fN6thrust23THRUST_200600_302600_NS4plusIfEEEE10hipError_tPvRmT1_T2_T3_mT4_P12ihipStream_tbEUlT_E1_NS1_11comp_targetILNS1_3genE10ELNS1_11target_archE1200ELNS1_3gpuE4ELNS1_3repE0EEENS1_30default_config_static_selectorELNS0_4arch9wavefront6targetE1EEEvSF_.kd
    .uniform_work_group_size: 1
    .uses_dynamic_stack: false
    .vgpr_count:     0
    .vgpr_spill_count: 0
    .wavefront_size: 64
  - .agpr_count:     0
    .args:
      - .offset:         0
        .size:           40
        .value_kind:     by_value
    .group_segment_fixed_size: 0
    .kernarg_segment_align: 8
    .kernarg_segment_size: 40
    .language:       OpenCL C
    .language_version:
      - 2
      - 0
    .max_flat_workgroup_size: 256
    .name:           _ZN7rocprim17ROCPRIM_400000_NS6detail17trampoline_kernelINS0_14default_configENS1_22reduce_config_selectorIfEEZNS1_11reduce_implILb1ES3_PfS7_fN6thrust23THRUST_200600_302600_NS4plusIfEEEE10hipError_tPvRmT1_T2_T3_mT4_P12ihipStream_tbEUlT_E1_NS1_11comp_targetILNS1_3genE9ELNS1_11target_archE1100ELNS1_3gpuE3ELNS1_3repE0EEENS1_30default_config_static_selectorELNS0_4arch9wavefront6targetE1EEEvSF_
    .private_segment_fixed_size: 0
    .sgpr_count:     4
    .sgpr_spill_count: 0
    .symbol:         _ZN7rocprim17ROCPRIM_400000_NS6detail17trampoline_kernelINS0_14default_configENS1_22reduce_config_selectorIfEEZNS1_11reduce_implILb1ES3_PfS7_fN6thrust23THRUST_200600_302600_NS4plusIfEEEE10hipError_tPvRmT1_T2_T3_mT4_P12ihipStream_tbEUlT_E1_NS1_11comp_targetILNS1_3genE9ELNS1_11target_archE1100ELNS1_3gpuE3ELNS1_3repE0EEENS1_30default_config_static_selectorELNS0_4arch9wavefront6targetE1EEEvSF_.kd
    .uniform_work_group_size: 1
    .uses_dynamic_stack: false
    .vgpr_count:     0
    .vgpr_spill_count: 0
    .wavefront_size: 64
  - .agpr_count:     0
    .args:
      - .offset:         0
        .size:           40
        .value_kind:     by_value
    .group_segment_fixed_size: 0
    .kernarg_segment_align: 8
    .kernarg_segment_size: 40
    .language:       OpenCL C
    .language_version:
      - 2
      - 0
    .max_flat_workgroup_size: 256
    .name:           _ZN7rocprim17ROCPRIM_400000_NS6detail17trampoline_kernelINS0_14default_configENS1_22reduce_config_selectorIfEEZNS1_11reduce_implILb1ES3_PfS7_fN6thrust23THRUST_200600_302600_NS4plusIfEEEE10hipError_tPvRmT1_T2_T3_mT4_P12ihipStream_tbEUlT_E1_NS1_11comp_targetILNS1_3genE8ELNS1_11target_archE1030ELNS1_3gpuE2ELNS1_3repE0EEENS1_30default_config_static_selectorELNS0_4arch9wavefront6targetE1EEEvSF_
    .private_segment_fixed_size: 0
    .sgpr_count:     4
    .sgpr_spill_count: 0
    .symbol:         _ZN7rocprim17ROCPRIM_400000_NS6detail17trampoline_kernelINS0_14default_configENS1_22reduce_config_selectorIfEEZNS1_11reduce_implILb1ES3_PfS7_fN6thrust23THRUST_200600_302600_NS4plusIfEEEE10hipError_tPvRmT1_T2_T3_mT4_P12ihipStream_tbEUlT_E1_NS1_11comp_targetILNS1_3genE8ELNS1_11target_archE1030ELNS1_3gpuE2ELNS1_3repE0EEENS1_30default_config_static_selectorELNS0_4arch9wavefront6targetE1EEEvSF_.kd
    .uniform_work_group_size: 1
    .uses_dynamic_stack: false
    .vgpr_count:     0
    .vgpr_spill_count: 0
    .wavefront_size: 64
  - .agpr_count:     0
    .args:
      - .offset:         0
        .size:           56
        .value_kind:     by_value
    .group_segment_fixed_size: 0
    .kernarg_segment_align: 8
    .kernarg_segment_size: 56
    .language:       OpenCL C
    .language_version:
      - 2
      - 0
    .max_flat_workgroup_size: 256
    .name:           _ZN7rocprim17ROCPRIM_400000_NS6detail17trampoline_kernelINS0_14default_configENS1_22reduce_config_selectorIfEEZNS1_11reduce_implILb1ES3_N6thrust23THRUST_200600_302600_NS11hip_rocprim26transform_input_iterator_tIfNS8_17counting_iteratorIiNS8_11use_defaultESC_SC_EE11estimate_piEEPffNS8_4plusIfEEEE10hipError_tPvRmT1_T2_T3_mT4_P12ihipStream_tbEUlT_E0_NS1_11comp_targetILNS1_3genE0ELNS1_11target_archE4294967295ELNS1_3gpuE0ELNS1_3repE0EEENS1_30default_config_static_selectorELNS0_4arch9wavefront6targetE1EEEvSM_
    .private_segment_fixed_size: 0
    .sgpr_count:     4
    .sgpr_spill_count: 0
    .symbol:         _ZN7rocprim17ROCPRIM_400000_NS6detail17trampoline_kernelINS0_14default_configENS1_22reduce_config_selectorIfEEZNS1_11reduce_implILb1ES3_N6thrust23THRUST_200600_302600_NS11hip_rocprim26transform_input_iterator_tIfNS8_17counting_iteratorIiNS8_11use_defaultESC_SC_EE11estimate_piEEPffNS8_4plusIfEEEE10hipError_tPvRmT1_T2_T3_mT4_P12ihipStream_tbEUlT_E0_NS1_11comp_targetILNS1_3genE0ELNS1_11target_archE4294967295ELNS1_3gpuE0ELNS1_3repE0EEENS1_30default_config_static_selectorELNS0_4arch9wavefront6targetE1EEEvSM_.kd
    .uniform_work_group_size: 1
    .uses_dynamic_stack: false
    .vgpr_count:     0
    .vgpr_spill_count: 0
    .wavefront_size: 64
  - .agpr_count:     0
    .args:
      - .offset:         0
        .size:           56
        .value_kind:     by_value
    .group_segment_fixed_size: 0
    .kernarg_segment_align: 8
    .kernarg_segment_size: 56
    .language:       OpenCL C
    .language_version:
      - 2
      - 0
    .max_flat_workgroup_size: 128
    .name:           _ZN7rocprim17ROCPRIM_400000_NS6detail17trampoline_kernelINS0_14default_configENS1_22reduce_config_selectorIfEEZNS1_11reduce_implILb1ES3_N6thrust23THRUST_200600_302600_NS11hip_rocprim26transform_input_iterator_tIfNS8_17counting_iteratorIiNS8_11use_defaultESC_SC_EE11estimate_piEEPffNS8_4plusIfEEEE10hipError_tPvRmT1_T2_T3_mT4_P12ihipStream_tbEUlT_E0_NS1_11comp_targetILNS1_3genE5ELNS1_11target_archE942ELNS1_3gpuE9ELNS1_3repE0EEENS1_30default_config_static_selectorELNS0_4arch9wavefront6targetE1EEEvSM_
    .private_segment_fixed_size: 0
    .sgpr_count:     4
    .sgpr_spill_count: 0
    .symbol:         _ZN7rocprim17ROCPRIM_400000_NS6detail17trampoline_kernelINS0_14default_configENS1_22reduce_config_selectorIfEEZNS1_11reduce_implILb1ES3_N6thrust23THRUST_200600_302600_NS11hip_rocprim26transform_input_iterator_tIfNS8_17counting_iteratorIiNS8_11use_defaultESC_SC_EE11estimate_piEEPffNS8_4plusIfEEEE10hipError_tPvRmT1_T2_T3_mT4_P12ihipStream_tbEUlT_E0_NS1_11comp_targetILNS1_3genE5ELNS1_11target_archE942ELNS1_3gpuE9ELNS1_3repE0EEENS1_30default_config_static_selectorELNS0_4arch9wavefront6targetE1EEEvSM_.kd
    .uniform_work_group_size: 1
    .uses_dynamic_stack: false
    .vgpr_count:     0
    .vgpr_spill_count: 0
    .wavefront_size: 64
  - .agpr_count:     0
    .args:
      - .offset:         0
        .size:           56
        .value_kind:     by_value
    .group_segment_fixed_size: 16
    .kernarg_segment_align: 8
    .kernarg_segment_size: 56
    .language:       OpenCL C
    .language_version:
      - 2
      - 0
    .max_flat_workgroup_size: 128
    .name:           _ZN7rocprim17ROCPRIM_400000_NS6detail17trampoline_kernelINS0_14default_configENS1_22reduce_config_selectorIfEEZNS1_11reduce_implILb1ES3_N6thrust23THRUST_200600_302600_NS11hip_rocprim26transform_input_iterator_tIfNS8_17counting_iteratorIiNS8_11use_defaultESC_SC_EE11estimate_piEEPffNS8_4plusIfEEEE10hipError_tPvRmT1_T2_T3_mT4_P12ihipStream_tbEUlT_E0_NS1_11comp_targetILNS1_3genE4ELNS1_11target_archE910ELNS1_3gpuE8ELNS1_3repE0EEENS1_30default_config_static_selectorELNS0_4arch9wavefront6targetE1EEEvSM_
    .private_segment_fixed_size: 0
    .sgpr_count:     51
    .sgpr_spill_count: 0
    .symbol:         _ZN7rocprim17ROCPRIM_400000_NS6detail17trampoline_kernelINS0_14default_configENS1_22reduce_config_selectorIfEEZNS1_11reduce_implILb1ES3_N6thrust23THRUST_200600_302600_NS11hip_rocprim26transform_input_iterator_tIfNS8_17counting_iteratorIiNS8_11use_defaultESC_SC_EE11estimate_piEEPffNS8_4plusIfEEEE10hipError_tPvRmT1_T2_T3_mT4_P12ihipStream_tbEUlT_E0_NS1_11comp_targetILNS1_3genE4ELNS1_11target_archE910ELNS1_3gpuE8ELNS1_3repE0EEENS1_30default_config_static_selectorELNS0_4arch9wavefront6targetE1EEEvSM_.kd
    .uniform_work_group_size: 1
    .uses_dynamic_stack: false
    .vgpr_count:     20
    .vgpr_spill_count: 0
    .wavefront_size: 64
  - .agpr_count:     0
    .args:
      - .offset:         0
        .size:           56
        .value_kind:     by_value
    .group_segment_fixed_size: 0
    .kernarg_segment_align: 8
    .kernarg_segment_size: 56
    .language:       OpenCL C
    .language_version:
      - 2
      - 0
    .max_flat_workgroup_size: 256
    .name:           _ZN7rocprim17ROCPRIM_400000_NS6detail17trampoline_kernelINS0_14default_configENS1_22reduce_config_selectorIfEEZNS1_11reduce_implILb1ES3_N6thrust23THRUST_200600_302600_NS11hip_rocprim26transform_input_iterator_tIfNS8_17counting_iteratorIiNS8_11use_defaultESC_SC_EE11estimate_piEEPffNS8_4plusIfEEEE10hipError_tPvRmT1_T2_T3_mT4_P12ihipStream_tbEUlT_E0_NS1_11comp_targetILNS1_3genE3ELNS1_11target_archE908ELNS1_3gpuE7ELNS1_3repE0EEENS1_30default_config_static_selectorELNS0_4arch9wavefront6targetE1EEEvSM_
    .private_segment_fixed_size: 0
    .sgpr_count:     4
    .sgpr_spill_count: 0
    .symbol:         _ZN7rocprim17ROCPRIM_400000_NS6detail17trampoline_kernelINS0_14default_configENS1_22reduce_config_selectorIfEEZNS1_11reduce_implILb1ES3_N6thrust23THRUST_200600_302600_NS11hip_rocprim26transform_input_iterator_tIfNS8_17counting_iteratorIiNS8_11use_defaultESC_SC_EE11estimate_piEEPffNS8_4plusIfEEEE10hipError_tPvRmT1_T2_T3_mT4_P12ihipStream_tbEUlT_E0_NS1_11comp_targetILNS1_3genE3ELNS1_11target_archE908ELNS1_3gpuE7ELNS1_3repE0EEENS1_30default_config_static_selectorELNS0_4arch9wavefront6targetE1EEEvSM_.kd
    .uniform_work_group_size: 1
    .uses_dynamic_stack: false
    .vgpr_count:     0
    .vgpr_spill_count: 0
    .wavefront_size: 64
  - .agpr_count:     0
    .args:
      - .offset:         0
        .size:           56
        .value_kind:     by_value
    .group_segment_fixed_size: 0
    .kernarg_segment_align: 8
    .kernarg_segment_size: 56
    .language:       OpenCL C
    .language_version:
      - 2
      - 0
    .max_flat_workgroup_size: 256
    .name:           _ZN7rocprim17ROCPRIM_400000_NS6detail17trampoline_kernelINS0_14default_configENS1_22reduce_config_selectorIfEEZNS1_11reduce_implILb1ES3_N6thrust23THRUST_200600_302600_NS11hip_rocprim26transform_input_iterator_tIfNS8_17counting_iteratorIiNS8_11use_defaultESC_SC_EE11estimate_piEEPffNS8_4plusIfEEEE10hipError_tPvRmT1_T2_T3_mT4_P12ihipStream_tbEUlT_E0_NS1_11comp_targetILNS1_3genE2ELNS1_11target_archE906ELNS1_3gpuE6ELNS1_3repE0EEENS1_30default_config_static_selectorELNS0_4arch9wavefront6targetE1EEEvSM_
    .private_segment_fixed_size: 0
    .sgpr_count:     4
    .sgpr_spill_count: 0
    .symbol:         _ZN7rocprim17ROCPRIM_400000_NS6detail17trampoline_kernelINS0_14default_configENS1_22reduce_config_selectorIfEEZNS1_11reduce_implILb1ES3_N6thrust23THRUST_200600_302600_NS11hip_rocprim26transform_input_iterator_tIfNS8_17counting_iteratorIiNS8_11use_defaultESC_SC_EE11estimate_piEEPffNS8_4plusIfEEEE10hipError_tPvRmT1_T2_T3_mT4_P12ihipStream_tbEUlT_E0_NS1_11comp_targetILNS1_3genE2ELNS1_11target_archE906ELNS1_3gpuE6ELNS1_3repE0EEENS1_30default_config_static_selectorELNS0_4arch9wavefront6targetE1EEEvSM_.kd
    .uniform_work_group_size: 1
    .uses_dynamic_stack: false
    .vgpr_count:     0
    .vgpr_spill_count: 0
    .wavefront_size: 64
  - .agpr_count:     0
    .args:
      - .offset:         0
        .size:           56
        .value_kind:     by_value
    .group_segment_fixed_size: 0
    .kernarg_segment_align: 8
    .kernarg_segment_size: 56
    .language:       OpenCL C
    .language_version:
      - 2
      - 0
    .max_flat_workgroup_size: 256
    .name:           _ZN7rocprim17ROCPRIM_400000_NS6detail17trampoline_kernelINS0_14default_configENS1_22reduce_config_selectorIfEEZNS1_11reduce_implILb1ES3_N6thrust23THRUST_200600_302600_NS11hip_rocprim26transform_input_iterator_tIfNS8_17counting_iteratorIiNS8_11use_defaultESC_SC_EE11estimate_piEEPffNS8_4plusIfEEEE10hipError_tPvRmT1_T2_T3_mT4_P12ihipStream_tbEUlT_E0_NS1_11comp_targetILNS1_3genE10ELNS1_11target_archE1201ELNS1_3gpuE5ELNS1_3repE0EEENS1_30default_config_static_selectorELNS0_4arch9wavefront6targetE1EEEvSM_
    .private_segment_fixed_size: 0
    .sgpr_count:     4
    .sgpr_spill_count: 0
    .symbol:         _ZN7rocprim17ROCPRIM_400000_NS6detail17trampoline_kernelINS0_14default_configENS1_22reduce_config_selectorIfEEZNS1_11reduce_implILb1ES3_N6thrust23THRUST_200600_302600_NS11hip_rocprim26transform_input_iterator_tIfNS8_17counting_iteratorIiNS8_11use_defaultESC_SC_EE11estimate_piEEPffNS8_4plusIfEEEE10hipError_tPvRmT1_T2_T3_mT4_P12ihipStream_tbEUlT_E0_NS1_11comp_targetILNS1_3genE10ELNS1_11target_archE1201ELNS1_3gpuE5ELNS1_3repE0EEENS1_30default_config_static_selectorELNS0_4arch9wavefront6targetE1EEEvSM_.kd
    .uniform_work_group_size: 1
    .uses_dynamic_stack: false
    .vgpr_count:     0
    .vgpr_spill_count: 0
    .wavefront_size: 64
  - .agpr_count:     0
    .args:
      - .offset:         0
        .size:           56
        .value_kind:     by_value
    .group_segment_fixed_size: 0
    .kernarg_segment_align: 8
    .kernarg_segment_size: 56
    .language:       OpenCL C
    .language_version:
      - 2
      - 0
    .max_flat_workgroup_size: 256
    .name:           _ZN7rocprim17ROCPRIM_400000_NS6detail17trampoline_kernelINS0_14default_configENS1_22reduce_config_selectorIfEEZNS1_11reduce_implILb1ES3_N6thrust23THRUST_200600_302600_NS11hip_rocprim26transform_input_iterator_tIfNS8_17counting_iteratorIiNS8_11use_defaultESC_SC_EE11estimate_piEEPffNS8_4plusIfEEEE10hipError_tPvRmT1_T2_T3_mT4_P12ihipStream_tbEUlT_E0_NS1_11comp_targetILNS1_3genE10ELNS1_11target_archE1200ELNS1_3gpuE4ELNS1_3repE0EEENS1_30default_config_static_selectorELNS0_4arch9wavefront6targetE1EEEvSM_
    .private_segment_fixed_size: 0
    .sgpr_count:     4
    .sgpr_spill_count: 0
    .symbol:         _ZN7rocprim17ROCPRIM_400000_NS6detail17trampoline_kernelINS0_14default_configENS1_22reduce_config_selectorIfEEZNS1_11reduce_implILb1ES3_N6thrust23THRUST_200600_302600_NS11hip_rocprim26transform_input_iterator_tIfNS8_17counting_iteratorIiNS8_11use_defaultESC_SC_EE11estimate_piEEPffNS8_4plusIfEEEE10hipError_tPvRmT1_T2_T3_mT4_P12ihipStream_tbEUlT_E0_NS1_11comp_targetILNS1_3genE10ELNS1_11target_archE1200ELNS1_3gpuE4ELNS1_3repE0EEENS1_30default_config_static_selectorELNS0_4arch9wavefront6targetE1EEEvSM_.kd
    .uniform_work_group_size: 1
    .uses_dynamic_stack: false
    .vgpr_count:     0
    .vgpr_spill_count: 0
    .wavefront_size: 64
  - .agpr_count:     0
    .args:
      - .offset:         0
        .size:           56
        .value_kind:     by_value
    .group_segment_fixed_size: 0
    .kernarg_segment_align: 8
    .kernarg_segment_size: 56
    .language:       OpenCL C
    .language_version:
      - 2
      - 0
    .max_flat_workgroup_size: 256
    .name:           _ZN7rocprim17ROCPRIM_400000_NS6detail17trampoline_kernelINS0_14default_configENS1_22reduce_config_selectorIfEEZNS1_11reduce_implILb1ES3_N6thrust23THRUST_200600_302600_NS11hip_rocprim26transform_input_iterator_tIfNS8_17counting_iteratorIiNS8_11use_defaultESC_SC_EE11estimate_piEEPffNS8_4plusIfEEEE10hipError_tPvRmT1_T2_T3_mT4_P12ihipStream_tbEUlT_E0_NS1_11comp_targetILNS1_3genE9ELNS1_11target_archE1100ELNS1_3gpuE3ELNS1_3repE0EEENS1_30default_config_static_selectorELNS0_4arch9wavefront6targetE1EEEvSM_
    .private_segment_fixed_size: 0
    .sgpr_count:     4
    .sgpr_spill_count: 0
    .symbol:         _ZN7rocprim17ROCPRIM_400000_NS6detail17trampoline_kernelINS0_14default_configENS1_22reduce_config_selectorIfEEZNS1_11reduce_implILb1ES3_N6thrust23THRUST_200600_302600_NS11hip_rocprim26transform_input_iterator_tIfNS8_17counting_iteratorIiNS8_11use_defaultESC_SC_EE11estimate_piEEPffNS8_4plusIfEEEE10hipError_tPvRmT1_T2_T3_mT4_P12ihipStream_tbEUlT_E0_NS1_11comp_targetILNS1_3genE9ELNS1_11target_archE1100ELNS1_3gpuE3ELNS1_3repE0EEENS1_30default_config_static_selectorELNS0_4arch9wavefront6targetE1EEEvSM_.kd
    .uniform_work_group_size: 1
    .uses_dynamic_stack: false
    .vgpr_count:     0
    .vgpr_spill_count: 0
    .wavefront_size: 64
  - .agpr_count:     0
    .args:
      - .offset:         0
        .size:           56
        .value_kind:     by_value
    .group_segment_fixed_size: 0
    .kernarg_segment_align: 8
    .kernarg_segment_size: 56
    .language:       OpenCL C
    .language_version:
      - 2
      - 0
    .max_flat_workgroup_size: 256
    .name:           _ZN7rocprim17ROCPRIM_400000_NS6detail17trampoline_kernelINS0_14default_configENS1_22reduce_config_selectorIfEEZNS1_11reduce_implILb1ES3_N6thrust23THRUST_200600_302600_NS11hip_rocprim26transform_input_iterator_tIfNS8_17counting_iteratorIiNS8_11use_defaultESC_SC_EE11estimate_piEEPffNS8_4plusIfEEEE10hipError_tPvRmT1_T2_T3_mT4_P12ihipStream_tbEUlT_E0_NS1_11comp_targetILNS1_3genE8ELNS1_11target_archE1030ELNS1_3gpuE2ELNS1_3repE0EEENS1_30default_config_static_selectorELNS0_4arch9wavefront6targetE1EEEvSM_
    .private_segment_fixed_size: 0
    .sgpr_count:     4
    .sgpr_spill_count: 0
    .symbol:         _ZN7rocprim17ROCPRIM_400000_NS6detail17trampoline_kernelINS0_14default_configENS1_22reduce_config_selectorIfEEZNS1_11reduce_implILb1ES3_N6thrust23THRUST_200600_302600_NS11hip_rocprim26transform_input_iterator_tIfNS8_17counting_iteratorIiNS8_11use_defaultESC_SC_EE11estimate_piEEPffNS8_4plusIfEEEE10hipError_tPvRmT1_T2_T3_mT4_P12ihipStream_tbEUlT_E0_NS1_11comp_targetILNS1_3genE8ELNS1_11target_archE1030ELNS1_3gpuE2ELNS1_3repE0EEENS1_30default_config_static_selectorELNS0_4arch9wavefront6targetE1EEEvSM_.kd
    .uniform_work_group_size: 1
    .uses_dynamic_stack: false
    .vgpr_count:     0
    .vgpr_spill_count: 0
    .wavefront_size: 64
  - .agpr_count:     0
    .args:
      - .offset:         0
        .size:           40
        .value_kind:     by_value
    .group_segment_fixed_size: 0
    .kernarg_segment_align: 8
    .kernarg_segment_size: 40
    .language:       OpenCL C
    .language_version:
      - 2
      - 0
    .max_flat_workgroup_size: 256
    .name:           _ZN7rocprim17ROCPRIM_400000_NS6detail17trampoline_kernelINS0_14default_configENS1_22reduce_config_selectorIfEEZNS1_11reduce_implILb1ES3_N6thrust23THRUST_200600_302600_NS11hip_rocprim26transform_input_iterator_tIfNS8_17counting_iteratorIiNS8_11use_defaultESC_SC_EE11estimate_piEEPffNS8_4plusIfEEEE10hipError_tPvRmT1_T2_T3_mT4_P12ihipStream_tbEUlT_E1_NS1_11comp_targetILNS1_3genE0ELNS1_11target_archE4294967295ELNS1_3gpuE0ELNS1_3repE0EEENS1_30default_config_static_selectorELNS0_4arch9wavefront6targetE1EEEvSM_
    .private_segment_fixed_size: 0
    .sgpr_count:     4
    .sgpr_spill_count: 0
    .symbol:         _ZN7rocprim17ROCPRIM_400000_NS6detail17trampoline_kernelINS0_14default_configENS1_22reduce_config_selectorIfEEZNS1_11reduce_implILb1ES3_N6thrust23THRUST_200600_302600_NS11hip_rocprim26transform_input_iterator_tIfNS8_17counting_iteratorIiNS8_11use_defaultESC_SC_EE11estimate_piEEPffNS8_4plusIfEEEE10hipError_tPvRmT1_T2_T3_mT4_P12ihipStream_tbEUlT_E1_NS1_11comp_targetILNS1_3genE0ELNS1_11target_archE4294967295ELNS1_3gpuE0ELNS1_3repE0EEENS1_30default_config_static_selectorELNS0_4arch9wavefront6targetE1EEEvSM_.kd
    .uniform_work_group_size: 1
    .uses_dynamic_stack: false
    .vgpr_count:     0
    .vgpr_spill_count: 0
    .wavefront_size: 64
  - .agpr_count:     0
    .args:
      - .offset:         0
        .size:           40
        .value_kind:     by_value
    .group_segment_fixed_size: 0
    .kernarg_segment_align: 8
    .kernarg_segment_size: 40
    .language:       OpenCL C
    .language_version:
      - 2
      - 0
    .max_flat_workgroup_size: 128
    .name:           _ZN7rocprim17ROCPRIM_400000_NS6detail17trampoline_kernelINS0_14default_configENS1_22reduce_config_selectorIfEEZNS1_11reduce_implILb1ES3_N6thrust23THRUST_200600_302600_NS11hip_rocprim26transform_input_iterator_tIfNS8_17counting_iteratorIiNS8_11use_defaultESC_SC_EE11estimate_piEEPffNS8_4plusIfEEEE10hipError_tPvRmT1_T2_T3_mT4_P12ihipStream_tbEUlT_E1_NS1_11comp_targetILNS1_3genE5ELNS1_11target_archE942ELNS1_3gpuE9ELNS1_3repE0EEENS1_30default_config_static_selectorELNS0_4arch9wavefront6targetE1EEEvSM_
    .private_segment_fixed_size: 0
    .sgpr_count:     4
    .sgpr_spill_count: 0
    .symbol:         _ZN7rocprim17ROCPRIM_400000_NS6detail17trampoline_kernelINS0_14default_configENS1_22reduce_config_selectorIfEEZNS1_11reduce_implILb1ES3_N6thrust23THRUST_200600_302600_NS11hip_rocprim26transform_input_iterator_tIfNS8_17counting_iteratorIiNS8_11use_defaultESC_SC_EE11estimate_piEEPffNS8_4plusIfEEEE10hipError_tPvRmT1_T2_T3_mT4_P12ihipStream_tbEUlT_E1_NS1_11comp_targetILNS1_3genE5ELNS1_11target_archE942ELNS1_3gpuE9ELNS1_3repE0EEENS1_30default_config_static_selectorELNS0_4arch9wavefront6targetE1EEEvSM_.kd
    .uniform_work_group_size: 1
    .uses_dynamic_stack: false
    .vgpr_count:     0
    .vgpr_spill_count: 0
    .wavefront_size: 64
  - .agpr_count:     0
    .args:
      - .offset:         0
        .size:           40
        .value_kind:     by_value
      - .offset:         40
        .size:           4
        .value_kind:     hidden_block_count_x
      - .offset:         44
        .size:           4
        .value_kind:     hidden_block_count_y
      - .offset:         48
        .size:           4
        .value_kind:     hidden_block_count_z
      - .offset:         52
        .size:           2
        .value_kind:     hidden_group_size_x
      - .offset:         54
        .size:           2
        .value_kind:     hidden_group_size_y
      - .offset:         56
        .size:           2
        .value_kind:     hidden_group_size_z
      - .offset:         58
        .size:           2
        .value_kind:     hidden_remainder_x
      - .offset:         60
        .size:           2
        .value_kind:     hidden_remainder_y
      - .offset:         62
        .size:           2
        .value_kind:     hidden_remainder_z
      - .offset:         80
        .size:           8
        .value_kind:     hidden_global_offset_x
      - .offset:         88
        .size:           8
        .value_kind:     hidden_global_offset_y
      - .offset:         96
        .size:           8
        .value_kind:     hidden_global_offset_z
      - .offset:         104
        .size:           2
        .value_kind:     hidden_grid_dims
    .group_segment_fixed_size: 56
    .kernarg_segment_align: 8
    .kernarg_segment_size: 296
    .language:       OpenCL C
    .language_version:
      - 2
      - 0
    .max_flat_workgroup_size: 128
    .name:           _ZN7rocprim17ROCPRIM_400000_NS6detail17trampoline_kernelINS0_14default_configENS1_22reduce_config_selectorIfEEZNS1_11reduce_implILb1ES3_N6thrust23THRUST_200600_302600_NS11hip_rocprim26transform_input_iterator_tIfNS8_17counting_iteratorIiNS8_11use_defaultESC_SC_EE11estimate_piEEPffNS8_4plusIfEEEE10hipError_tPvRmT1_T2_T3_mT4_P12ihipStream_tbEUlT_E1_NS1_11comp_targetILNS1_3genE4ELNS1_11target_archE910ELNS1_3gpuE8ELNS1_3repE0EEENS1_30default_config_static_selectorELNS0_4arch9wavefront6targetE1EEEvSM_
    .private_segment_fixed_size: 104
    .sgpr_count:     100
    .sgpr_spill_count: 0
    .symbol:         _ZN7rocprim17ROCPRIM_400000_NS6detail17trampoline_kernelINS0_14default_configENS1_22reduce_config_selectorIfEEZNS1_11reduce_implILb1ES3_N6thrust23THRUST_200600_302600_NS11hip_rocprim26transform_input_iterator_tIfNS8_17counting_iteratorIiNS8_11use_defaultESC_SC_EE11estimate_piEEPffNS8_4plusIfEEEE10hipError_tPvRmT1_T2_T3_mT4_P12ihipStream_tbEUlT_E1_NS1_11comp_targetILNS1_3genE4ELNS1_11target_archE910ELNS1_3gpuE8ELNS1_3repE0EEENS1_30default_config_static_selectorELNS0_4arch9wavefront6targetE1EEEvSM_.kd
    .uniform_work_group_size: 1
    .uses_dynamic_stack: false
    .vgpr_count:     66
    .vgpr_spill_count: 0
    .wavefront_size: 64
  - .agpr_count:     0
    .args:
      - .offset:         0
        .size:           40
        .value_kind:     by_value
    .group_segment_fixed_size: 0
    .kernarg_segment_align: 8
    .kernarg_segment_size: 40
    .language:       OpenCL C
    .language_version:
      - 2
      - 0
    .max_flat_workgroup_size: 256
    .name:           _ZN7rocprim17ROCPRIM_400000_NS6detail17trampoline_kernelINS0_14default_configENS1_22reduce_config_selectorIfEEZNS1_11reduce_implILb1ES3_N6thrust23THRUST_200600_302600_NS11hip_rocprim26transform_input_iterator_tIfNS8_17counting_iteratorIiNS8_11use_defaultESC_SC_EE11estimate_piEEPffNS8_4plusIfEEEE10hipError_tPvRmT1_T2_T3_mT4_P12ihipStream_tbEUlT_E1_NS1_11comp_targetILNS1_3genE3ELNS1_11target_archE908ELNS1_3gpuE7ELNS1_3repE0EEENS1_30default_config_static_selectorELNS0_4arch9wavefront6targetE1EEEvSM_
    .private_segment_fixed_size: 0
    .sgpr_count:     4
    .sgpr_spill_count: 0
    .symbol:         _ZN7rocprim17ROCPRIM_400000_NS6detail17trampoline_kernelINS0_14default_configENS1_22reduce_config_selectorIfEEZNS1_11reduce_implILb1ES3_N6thrust23THRUST_200600_302600_NS11hip_rocprim26transform_input_iterator_tIfNS8_17counting_iteratorIiNS8_11use_defaultESC_SC_EE11estimate_piEEPffNS8_4plusIfEEEE10hipError_tPvRmT1_T2_T3_mT4_P12ihipStream_tbEUlT_E1_NS1_11comp_targetILNS1_3genE3ELNS1_11target_archE908ELNS1_3gpuE7ELNS1_3repE0EEENS1_30default_config_static_selectorELNS0_4arch9wavefront6targetE1EEEvSM_.kd
    .uniform_work_group_size: 1
    .uses_dynamic_stack: false
    .vgpr_count:     0
    .vgpr_spill_count: 0
    .wavefront_size: 64
  - .agpr_count:     0
    .args:
      - .offset:         0
        .size:           40
        .value_kind:     by_value
    .group_segment_fixed_size: 0
    .kernarg_segment_align: 8
    .kernarg_segment_size: 40
    .language:       OpenCL C
    .language_version:
      - 2
      - 0
    .max_flat_workgroup_size: 256
    .name:           _ZN7rocprim17ROCPRIM_400000_NS6detail17trampoline_kernelINS0_14default_configENS1_22reduce_config_selectorIfEEZNS1_11reduce_implILb1ES3_N6thrust23THRUST_200600_302600_NS11hip_rocprim26transform_input_iterator_tIfNS8_17counting_iteratorIiNS8_11use_defaultESC_SC_EE11estimate_piEEPffNS8_4plusIfEEEE10hipError_tPvRmT1_T2_T3_mT4_P12ihipStream_tbEUlT_E1_NS1_11comp_targetILNS1_3genE2ELNS1_11target_archE906ELNS1_3gpuE6ELNS1_3repE0EEENS1_30default_config_static_selectorELNS0_4arch9wavefront6targetE1EEEvSM_
    .private_segment_fixed_size: 0
    .sgpr_count:     4
    .sgpr_spill_count: 0
    .symbol:         _ZN7rocprim17ROCPRIM_400000_NS6detail17trampoline_kernelINS0_14default_configENS1_22reduce_config_selectorIfEEZNS1_11reduce_implILb1ES3_N6thrust23THRUST_200600_302600_NS11hip_rocprim26transform_input_iterator_tIfNS8_17counting_iteratorIiNS8_11use_defaultESC_SC_EE11estimate_piEEPffNS8_4plusIfEEEE10hipError_tPvRmT1_T2_T3_mT4_P12ihipStream_tbEUlT_E1_NS1_11comp_targetILNS1_3genE2ELNS1_11target_archE906ELNS1_3gpuE6ELNS1_3repE0EEENS1_30default_config_static_selectorELNS0_4arch9wavefront6targetE1EEEvSM_.kd
    .uniform_work_group_size: 1
    .uses_dynamic_stack: false
    .vgpr_count:     0
    .vgpr_spill_count: 0
    .wavefront_size: 64
  - .agpr_count:     0
    .args:
      - .offset:         0
        .size:           40
        .value_kind:     by_value
    .group_segment_fixed_size: 0
    .kernarg_segment_align: 8
    .kernarg_segment_size: 40
    .language:       OpenCL C
    .language_version:
      - 2
      - 0
    .max_flat_workgroup_size: 256
    .name:           _ZN7rocprim17ROCPRIM_400000_NS6detail17trampoline_kernelINS0_14default_configENS1_22reduce_config_selectorIfEEZNS1_11reduce_implILb1ES3_N6thrust23THRUST_200600_302600_NS11hip_rocprim26transform_input_iterator_tIfNS8_17counting_iteratorIiNS8_11use_defaultESC_SC_EE11estimate_piEEPffNS8_4plusIfEEEE10hipError_tPvRmT1_T2_T3_mT4_P12ihipStream_tbEUlT_E1_NS1_11comp_targetILNS1_3genE10ELNS1_11target_archE1201ELNS1_3gpuE5ELNS1_3repE0EEENS1_30default_config_static_selectorELNS0_4arch9wavefront6targetE1EEEvSM_
    .private_segment_fixed_size: 0
    .sgpr_count:     4
    .sgpr_spill_count: 0
    .symbol:         _ZN7rocprim17ROCPRIM_400000_NS6detail17trampoline_kernelINS0_14default_configENS1_22reduce_config_selectorIfEEZNS1_11reduce_implILb1ES3_N6thrust23THRUST_200600_302600_NS11hip_rocprim26transform_input_iterator_tIfNS8_17counting_iteratorIiNS8_11use_defaultESC_SC_EE11estimate_piEEPffNS8_4plusIfEEEE10hipError_tPvRmT1_T2_T3_mT4_P12ihipStream_tbEUlT_E1_NS1_11comp_targetILNS1_3genE10ELNS1_11target_archE1201ELNS1_3gpuE5ELNS1_3repE0EEENS1_30default_config_static_selectorELNS0_4arch9wavefront6targetE1EEEvSM_.kd
    .uniform_work_group_size: 1
    .uses_dynamic_stack: false
    .vgpr_count:     0
    .vgpr_spill_count: 0
    .wavefront_size: 64
  - .agpr_count:     0
    .args:
      - .offset:         0
        .size:           40
        .value_kind:     by_value
    .group_segment_fixed_size: 0
    .kernarg_segment_align: 8
    .kernarg_segment_size: 40
    .language:       OpenCL C
    .language_version:
      - 2
      - 0
    .max_flat_workgroup_size: 256
    .name:           _ZN7rocprim17ROCPRIM_400000_NS6detail17trampoline_kernelINS0_14default_configENS1_22reduce_config_selectorIfEEZNS1_11reduce_implILb1ES3_N6thrust23THRUST_200600_302600_NS11hip_rocprim26transform_input_iterator_tIfNS8_17counting_iteratorIiNS8_11use_defaultESC_SC_EE11estimate_piEEPffNS8_4plusIfEEEE10hipError_tPvRmT1_T2_T3_mT4_P12ihipStream_tbEUlT_E1_NS1_11comp_targetILNS1_3genE10ELNS1_11target_archE1200ELNS1_3gpuE4ELNS1_3repE0EEENS1_30default_config_static_selectorELNS0_4arch9wavefront6targetE1EEEvSM_
    .private_segment_fixed_size: 0
    .sgpr_count:     4
    .sgpr_spill_count: 0
    .symbol:         _ZN7rocprim17ROCPRIM_400000_NS6detail17trampoline_kernelINS0_14default_configENS1_22reduce_config_selectorIfEEZNS1_11reduce_implILb1ES3_N6thrust23THRUST_200600_302600_NS11hip_rocprim26transform_input_iterator_tIfNS8_17counting_iteratorIiNS8_11use_defaultESC_SC_EE11estimate_piEEPffNS8_4plusIfEEEE10hipError_tPvRmT1_T2_T3_mT4_P12ihipStream_tbEUlT_E1_NS1_11comp_targetILNS1_3genE10ELNS1_11target_archE1200ELNS1_3gpuE4ELNS1_3repE0EEENS1_30default_config_static_selectorELNS0_4arch9wavefront6targetE1EEEvSM_.kd
    .uniform_work_group_size: 1
    .uses_dynamic_stack: false
    .vgpr_count:     0
    .vgpr_spill_count: 0
    .wavefront_size: 64
  - .agpr_count:     0
    .args:
      - .offset:         0
        .size:           40
        .value_kind:     by_value
    .group_segment_fixed_size: 0
    .kernarg_segment_align: 8
    .kernarg_segment_size: 40
    .language:       OpenCL C
    .language_version:
      - 2
      - 0
    .max_flat_workgroup_size: 256
    .name:           _ZN7rocprim17ROCPRIM_400000_NS6detail17trampoline_kernelINS0_14default_configENS1_22reduce_config_selectorIfEEZNS1_11reduce_implILb1ES3_N6thrust23THRUST_200600_302600_NS11hip_rocprim26transform_input_iterator_tIfNS8_17counting_iteratorIiNS8_11use_defaultESC_SC_EE11estimate_piEEPffNS8_4plusIfEEEE10hipError_tPvRmT1_T2_T3_mT4_P12ihipStream_tbEUlT_E1_NS1_11comp_targetILNS1_3genE9ELNS1_11target_archE1100ELNS1_3gpuE3ELNS1_3repE0EEENS1_30default_config_static_selectorELNS0_4arch9wavefront6targetE1EEEvSM_
    .private_segment_fixed_size: 0
    .sgpr_count:     4
    .sgpr_spill_count: 0
    .symbol:         _ZN7rocprim17ROCPRIM_400000_NS6detail17trampoline_kernelINS0_14default_configENS1_22reduce_config_selectorIfEEZNS1_11reduce_implILb1ES3_N6thrust23THRUST_200600_302600_NS11hip_rocprim26transform_input_iterator_tIfNS8_17counting_iteratorIiNS8_11use_defaultESC_SC_EE11estimate_piEEPffNS8_4plusIfEEEE10hipError_tPvRmT1_T2_T3_mT4_P12ihipStream_tbEUlT_E1_NS1_11comp_targetILNS1_3genE9ELNS1_11target_archE1100ELNS1_3gpuE3ELNS1_3repE0EEENS1_30default_config_static_selectorELNS0_4arch9wavefront6targetE1EEEvSM_.kd
    .uniform_work_group_size: 1
    .uses_dynamic_stack: false
    .vgpr_count:     0
    .vgpr_spill_count: 0
    .wavefront_size: 64
  - .agpr_count:     0
    .args:
      - .offset:         0
        .size:           40
        .value_kind:     by_value
    .group_segment_fixed_size: 0
    .kernarg_segment_align: 8
    .kernarg_segment_size: 40
    .language:       OpenCL C
    .language_version:
      - 2
      - 0
    .max_flat_workgroup_size: 256
    .name:           _ZN7rocprim17ROCPRIM_400000_NS6detail17trampoline_kernelINS0_14default_configENS1_22reduce_config_selectorIfEEZNS1_11reduce_implILb1ES3_N6thrust23THRUST_200600_302600_NS11hip_rocprim26transform_input_iterator_tIfNS8_17counting_iteratorIiNS8_11use_defaultESC_SC_EE11estimate_piEEPffNS8_4plusIfEEEE10hipError_tPvRmT1_T2_T3_mT4_P12ihipStream_tbEUlT_E1_NS1_11comp_targetILNS1_3genE8ELNS1_11target_archE1030ELNS1_3gpuE2ELNS1_3repE0EEENS1_30default_config_static_selectorELNS0_4arch9wavefront6targetE1EEEvSM_
    .private_segment_fixed_size: 0
    .sgpr_count:     4
    .sgpr_spill_count: 0
    .symbol:         _ZN7rocprim17ROCPRIM_400000_NS6detail17trampoline_kernelINS0_14default_configENS1_22reduce_config_selectorIfEEZNS1_11reduce_implILb1ES3_N6thrust23THRUST_200600_302600_NS11hip_rocprim26transform_input_iterator_tIfNS8_17counting_iteratorIiNS8_11use_defaultESC_SC_EE11estimate_piEEPffNS8_4plusIfEEEE10hipError_tPvRmT1_T2_T3_mT4_P12ihipStream_tbEUlT_E1_NS1_11comp_targetILNS1_3genE8ELNS1_11target_archE1030ELNS1_3gpuE2ELNS1_3repE0EEENS1_30default_config_static_selectorELNS0_4arch9wavefront6targetE1EEEvSM_.kd
    .uniform_work_group_size: 1
    .uses_dynamic_stack: false
    .vgpr_count:     0
    .vgpr_spill_count: 0
    .wavefront_size: 64
amdhsa.target:   amdgcn-amd-amdhsa--gfx90a
amdhsa.version:
  - 1
  - 2
...

	.end_amdgpu_metadata
